;; amdgpu-corpus repo=ggml-org/llama.cpp kind=compiled arch=gfx1100 opt=O3
	.text
	.amdgcn_target "amdgcn-amd-amdhsa--gfx1100"
	.amdhsa_code_object_version 6
	.section	.text._ZL18flash_attn_ext_vecILi64ELi1EL9ggml_type3ELS0_3ELb0EEvPKcS2_S2_S2_S2_PKiPfP15HIP_vector_typeIfLj2EEffffjfiS6_IjLj3EEiiiiiiiiiiiliiliiiiil,"axG",@progbits,_ZL18flash_attn_ext_vecILi64ELi1EL9ggml_type3ELS0_3ELb0EEvPKcS2_S2_S2_S2_PKiPfP15HIP_vector_typeIfLj2EEffffjfiS6_IjLj3EEiiiiiiiiiiiliiliiiiil,comdat
	.globl	_ZL18flash_attn_ext_vecILi64ELi1EL9ggml_type3ELS0_3ELb0EEvPKcS2_S2_S2_S2_PKiPfP15HIP_vector_typeIfLj2EEffffjfiS6_IjLj3EEiiiiiiiiiiiliiliiiiil ; -- Begin function _ZL18flash_attn_ext_vecILi64ELi1EL9ggml_type3ELS0_3ELb0EEvPKcS2_S2_S2_S2_PKiPfP15HIP_vector_typeIfLj2EEffffjfiS6_IjLj3EEiiiiiiiiiiiliiliiiiil
	.p2align	8
	.type	_ZL18flash_attn_ext_vecILi64ELi1EL9ggml_type3ELS0_3ELb0EEvPKcS2_S2_S2_S2_PKiPfP15HIP_vector_typeIfLj2EEffffjfiS6_IjLj3EEiiiiiiiiiiiliiliiiiil,@function
_ZL18flash_attn_ext_vecILi64ELi1EL9ggml_type3ELS0_3ELb0EEvPKcS2_S2_S2_S2_PKiPfP15HIP_vector_typeIfLj2EEffffjfiS6_IjLj3EEiiiiiiiiiiiliiliiiiil: ; @_ZL18flash_attn_ext_vecILi64ELi1EL9ggml_type3ELS0_3ELb0EEvPKcS2_S2_S2_S2_PKiPfP15HIP_vector_typeIfLj2EEffffjfiS6_IjLj3EEiiiiiiiiiiiliiliiiiil
; %bb.0:
	s_clause 0x3
	s_load_b64 s[34:35], s[0:1], 0x64
	s_load_b64 s[38:39], s[0:1], 0x80
	;; [unrolled: 1-line block ×3, first 2 shown]
	s_load_b128 s[8:11], s[0:1], 0x40
	v_mov_b32_e32 v16, 1.0
	s_waitcnt lgkmcnt(0)
	v_cvt_f32_u32_e32 v1, s35
	s_sub_i32 s3, 0, s35
	s_delay_alu instid0(VALU_DEP_1) | instskip(SKIP_2) | instid1(VALU_DEP_1)
	v_rcp_iflag_f32_e32 v1, v1
	s_waitcnt_depctr 0xfff
	v_mul_f32_e32 v1, 0x4f7ffffe, v1
	v_cvt_u32_f32_e32 v1, v1
	s_delay_alu instid0(VALU_DEP_1) | instskip(NEXT) | instid1(VALU_DEP_1)
	v_readfirstlane_b32 s2, v1
	s_mul_i32 s3, s3, s2
	s_delay_alu instid0(SALU_CYCLE_1) | instskip(NEXT) | instid1(SALU_CYCLE_1)
	s_mul_hi_u32 s3, s2, s3
	s_add_i32 s2, s2, s3
	s_delay_alu instid0(SALU_CYCLE_1) | instskip(NEXT) | instid1(SALU_CYCLE_1)
	s_mul_hi_u32 s2, s15, s2
	s_mul_i32 s3, s2, s35
	s_add_i32 s4, s2, 1
	s_sub_i32 s3, s15, s3
	s_delay_alu instid0(SALU_CYCLE_1)
	s_sub_i32 s5, s3, s35
	s_cmp_ge_u32 s3, s35
	s_cselect_b32 s2, s4, s2
	s_cselect_b32 s3, s5, s3
	s_add_i32 s4, s2, 1
	s_cmp_ge_u32 s3, s35
	s_cselect_b32 s12, s4, s2
	s_abs_i32 s2, s39
	s_abs_i32 s6, s35
	v_cvt_f32_u32_e32 v1, s2
	s_sub_i32 s4, 0, s2
	s_xor_b32 s5, s35, s39
	s_delay_alu instid0(SALU_CYCLE_1) | instskip(NEXT) | instid1(VALU_DEP_1)
	s_ashr_i32 s5, s5, 31
	v_rcp_iflag_f32_e32 v1, v1
	s_waitcnt_depctr 0xfff
	v_mul_f32_e32 v1, 0x4f7ffffe, v1
	s_delay_alu instid0(VALU_DEP_1) | instskip(NEXT) | instid1(VALU_DEP_1)
	v_cvt_u32_f32_e32 v1, v1
	v_readfirstlane_b32 s3, v1
	s_delay_alu instid0(VALU_DEP_1) | instskip(NEXT) | instid1(SALU_CYCLE_1)
	s_mul_i32 s4, s4, s3
	s_mul_hi_u32 s4, s3, s4
	s_delay_alu instid0(SALU_CYCLE_1) | instskip(SKIP_4) | instid1(SALU_CYCLE_1)
	s_add_i32 s3, s3, s4
	s_mul_i32 s4, s12, s35
	s_mul_hi_u32 s3, s6, s3
	s_sub_i32 s36, s15, s4
	s_mul_i32 s7, s3, s2
	s_sub_i32 s4, s6, s7
	s_add_i32 s6, s3, 1
	s_sub_i32 s7, s4, s2
	s_cmp_ge_u32 s4, s2
	s_cselect_b32 s3, s6, s3
	s_cselect_b32 s4, s7, s4
	s_add_i32 s6, s3, 1
	s_cmp_ge_u32 s4, s2
	s_cselect_b32 s2, s6, s3
	s_abs_i32 s15, s40
	s_xor_b32 s2, s2, s5
	v_cvt_f32_u32_e32 v1, s15
	s_sub_i32 s6, s2, s5
	s_load_b32 s2, s[0:1], 0x50
	s_abs_i32 s33, s6
	v_cmp_le_f32_e64 s3, s9, 0
	v_cvt_f32_u32_e32 v2, s33
	v_rcp_iflag_f32_e32 v1, v1
	s_sub_i32 s4, 0, s33
	s_abs_i32 s40, s36
	s_and_b32 vcc_lo, exec_lo, s3
	v_rcp_iflag_f32_e32 v2, v2
	s_sub_i32 s3, 0, s15
	s_abs_i32 s39, s12
	s_waitcnt_depctr 0xfff
	v_dual_mul_f32 v1, 0x4f7ffffe, v1 :: v_dual_mul_f32 v2, 0x4f7ffffe, v2
	s_delay_alu instid0(VALU_DEP_1) | instskip(NEXT) | instid1(VALU_DEP_2)
	v_cvt_u32_f32_e32 v1, v1
	v_cvt_u32_f32_e32 v2, v2
	s_delay_alu instid0(VALU_DEP_2) | instskip(NEXT) | instid1(VALU_DEP_2)
	v_readfirstlane_b32 s5, v1
	v_readfirstlane_b32 s7, v2
	s_delay_alu instid0(VALU_DEP_2) | instskip(NEXT) | instid1(SALU_CYCLE_1)
	s_mul_i32 s3, s3, s5
	s_mul_hi_u32 s3, s5, s3
	s_delay_alu instid0(VALU_DEP_1) | instskip(SKIP_2) | instid1(SALU_CYCLE_1)
	s_mul_i32 s4, s4, s7
	s_add_i32 s5, s5, s3
	s_mul_hi_u32 s4, s7, s4
	s_add_i32 s7, s7, s4
	s_cbranch_vccnz .LBB0_2
; %bb.1:
	s_waitcnt lgkmcnt(0)
	s_sub_i32 s3, s36, s2
	s_add_i32 s4, s36, 1
	s_lshl_b32 s3, s3, 1
	v_mov_b32_e32 v1, s10
	s_or_b32 s3, s3, 1
	s_cmp_lt_u32 s36, s2
	s_cselect_b32 vcc_lo, -1, 0
	s_delay_alu instid0(VALU_DEP_1)
	v_cndmask_b32_e32 v3, s11, v1, vcc_lo
	s_and_b32 s2, vcc_lo, exec_lo
	s_cselect_b32 s2, s4, s3
	s_mov_b32 s3, 0x3e76c4e1
	v_cvt_f32_i32_e32 v1, s2
	v_cmp_neq_f32_e32 vcc_lo, 1.0, v3
	s_delay_alu instid0(VALU_DEP_2) | instskip(NEXT) | instid1(VALU_DEP_1)
	v_cndmask_b32_e32 v4, 1.0, v1, vcc_lo
	v_cmp_eq_f32_e32 vcc_lo, 0, v4
	v_cndmask_b32_e64 v5, |v3|, 1.0, vcc_lo
	s_delay_alu instid0(VALU_DEP_1) | instskip(NEXT) | instid1(VALU_DEP_1)
	v_frexp_mant_f32_e32 v1, v5
	v_cmp_gt_f32_e64 s2, 0x3f2aaaab, v1
	s_delay_alu instid0(VALU_DEP_1) | instskip(NEXT) | instid1(VALU_DEP_1)
	v_cndmask_b32_e64 v2, 1.0, 2.0, s2
	v_mul_f32_e32 v1, v1, v2
	s_delay_alu instid0(VALU_DEP_1) | instskip(SKIP_1) | instid1(VALU_DEP_2)
	v_add_f32_e32 v2, 1.0, v1
	v_add_f32_e32 v7, -1.0, v1
	v_rcp_f32_e32 v6, v2
	s_waitcnt_depctr 0xfff
	v_mul_f32_e32 v8, v7, v6
	s_delay_alu instid0(VALU_DEP_1) | instskip(NEXT) | instid1(VALU_DEP_1)
	v_dual_add_f32 v9, -1.0, v2 :: v_dual_mul_f32 v10, v2, v8
	v_sub_f32_e32 v1, v1, v9
	v_cndmask_b32_e64 v3, v3, 1.0, vcc_lo
	s_delay_alu instid0(VALU_DEP_3) | instskip(NEXT) | instid1(VALU_DEP_2)
	v_fma_f32 v2, v8, v2, -v10
	v_cmp_eq_f32_e64 s4, 0, v3
	s_delay_alu instid0(VALU_DEP_2) | instskip(NEXT) | instid1(VALU_DEP_1)
	v_fmac_f32_e32 v2, v8, v1
	v_add_f32_e32 v1, v10, v2
	s_delay_alu instid0(VALU_DEP_1) | instskip(NEXT) | instid1(VALU_DEP_1)
	v_dual_sub_f32 v10, v1, v10 :: v_dual_sub_f32 v9, v7, v1
	v_dual_sub_f32 v2, v10, v2 :: v_dual_sub_f32 v7, v7, v9
	s_delay_alu instid0(VALU_DEP_1) | instskip(NEXT) | instid1(VALU_DEP_1)
	v_sub_f32_e32 v1, v7, v1
	v_add_f32_e32 v1, v2, v1
	s_delay_alu instid0(VALU_DEP_1) | instskip(NEXT) | instid1(VALU_DEP_1)
	v_add_f32_e32 v1, v9, v1
	v_mul_f32_e32 v1, v6, v1
	s_delay_alu instid0(VALU_DEP_1) | instskip(NEXT) | instid1(VALU_DEP_1)
	v_add_f32_e32 v6, v8, v1
	v_sub_f32_e32 v2, v6, v8
	v_mul_f32_e32 v7, v6, v6
	s_delay_alu instid0(VALU_DEP_2) | instskip(NEXT) | instid1(VALU_DEP_2)
	v_sub_f32_e32 v8, v1, v2
	v_fma_f32 v9, v6, v6, -v7
	s_delay_alu instid0(VALU_DEP_2) | instskip(NEXT) | instid1(VALU_DEP_1)
	v_add_f32_e32 v1, v8, v8
	v_fmac_f32_e32 v9, v6, v1
	v_cvt_f64_f32_e32 v[1:2], v5
	s_delay_alu instid0(VALU_DEP_2) | instskip(NEXT) | instid1(VALU_DEP_1)
	v_add_f32_e32 v10, v7, v9
	v_fmaak_f32 v11, s3, v10, 0x3e91f4c4
	v_sub_f32_e32 v7, v10, v7
	v_mul_f32_e32 v14, v6, v10
	s_delay_alu instid0(VALU_DEP_3) | instskip(NEXT) | instid1(VALU_DEP_3)
	v_fmaak_f32 v11, v10, v11, 0x3ecccdef
	v_sub_f32_e32 v7, v9, v7
	s_delay_alu instid0(VALU_DEP_2) | instskip(NEXT) | instid1(VALU_DEP_1)
	v_mul_f32_e32 v12, v10, v11
	v_fma_f32 v9, v10, v11, -v12
	s_delay_alu instid0(VALU_DEP_1) | instskip(NEXT) | instid1(VALU_DEP_1)
	v_fmac_f32_e32 v9, v7, v11
	v_add_f32_e32 v11, v12, v9
	v_frexp_exp_i32_f64_e32 v1, v[1:2]
	s_delay_alu instid0(VALU_DEP_2) | instskip(NEXT) | instid1(VALU_DEP_1)
	v_sub_f32_e32 v12, v11, v12
	v_sub_f32_e32 v2, v9, v12
	v_fma_f32 v12, v10, v6, -v14
	s_delay_alu instid0(VALU_DEP_2) | instskip(NEXT) | instid1(VALU_DEP_2)
	v_add_f32_e32 v2, 0x31739010, v2
	v_dual_add_f32 v13, 0x3f2aaaaa, v11 :: v_dual_fmac_f32 v12, v10, v8
	v_ldexp_f32 v8, v8, 1
	s_delay_alu instid0(VALU_DEP_2) | instskip(NEXT) | instid1(VALU_DEP_1)
	v_dual_add_f32 v9, 0xbf2aaaaa, v13 :: v_dual_fmac_f32 v12, v7, v6
	v_sub_f32_e32 v9, v11, v9
	s_delay_alu instid0(VALU_DEP_1) | instskip(NEXT) | instid1(VALU_DEP_3)
	v_add_f32_e32 v2, v2, v9
	v_add_f32_e32 v9, v14, v12
	s_delay_alu instid0(VALU_DEP_2) | instskip(NEXT) | instid1(VALU_DEP_1)
	v_add_f32_e32 v7, v13, v2
	v_sub_f32_e32 v10, v13, v7
	s_delay_alu instid0(VALU_DEP_3) | instskip(SKIP_2) | instid1(VALU_DEP_4)
	v_mul_f32_e32 v11, v9, v7
	v_sub_f32_e32 v13, v9, v14
	v_subrev_co_ci_u32_e64 v1, s2, 0, v1, s2
	v_add_f32_e32 v2, v2, v10
	s_delay_alu instid0(VALU_DEP_4) | instskip(NEXT) | instid1(VALU_DEP_4)
	v_fma_f32 v10, v9, v7, -v11
	v_sub_f32_e32 v12, v12, v13
	s_delay_alu instid0(VALU_DEP_4) | instskip(NEXT) | instid1(VALU_DEP_3)
	v_cvt_f32_i32_e32 v1, v1
	v_fmac_f32_e32 v10, v9, v2
	v_ldexp_f32 v2, v6, 1
	s_delay_alu instid0(VALU_DEP_2) | instskip(NEXT) | instid1(VALU_DEP_1)
	v_fmac_f32_e32 v10, v12, v7
	v_add_f32_e32 v6, v11, v10
	s_delay_alu instid0(VALU_DEP_1) | instskip(NEXT) | instid1(VALU_DEP_1)
	v_add_f32_e32 v7, v2, v6
	v_dual_sub_f32 v2, v7, v2 :: v_dual_sub_f32 v9, v6, v11
	s_delay_alu instid0(VALU_DEP_1) | instskip(NEXT) | instid1(VALU_DEP_2)
	v_sub_f32_e32 v2, v6, v2
	v_sub_f32_e32 v9, v10, v9
	s_delay_alu instid0(VALU_DEP_1) | instskip(NEXT) | instid1(VALU_DEP_1)
	v_add_f32_e32 v6, v8, v9
	v_dual_mul_f32 v11, 0x3f317218, v1 :: v_dual_add_f32 v2, v6, v2
	s_delay_alu instid0(VALU_DEP_1) | instskip(NEXT) | instid1(VALU_DEP_2)
	v_fma_f32 v10, 0x3f317218, v1, -v11
	v_add_f32_e32 v8, v7, v2
	s_delay_alu instid0(VALU_DEP_1) | instskip(NEXT) | instid1(VALU_DEP_1)
	v_sub_f32_e32 v7, v8, v7
	v_dual_fmamk_f32 v1, v1, 0xb102e308, v10 :: v_dual_sub_f32 v2, v2, v7
	s_delay_alu instid0(VALU_DEP_1) | instskip(NEXT) | instid1(VALU_DEP_1)
	v_add_f32_e32 v6, v11, v1
	v_add_f32_e32 v9, v6, v8
	s_delay_alu instid0(VALU_DEP_1) | instskip(NEXT) | instid1(VALU_DEP_1)
	v_dual_sub_f32 v11, v6, v11 :: v_dual_sub_f32 v10, v9, v6
	v_sub_f32_e32 v12, v9, v10
	s_delay_alu instid0(VALU_DEP_2) | instskip(NEXT) | instid1(VALU_DEP_2)
	v_sub_f32_e32 v1, v1, v11
	v_dual_sub_f32 v7, v8, v10 :: v_dual_sub_f32 v6, v6, v12
	s_delay_alu instid0(VALU_DEP_2) | instskip(NEXT) | instid1(VALU_DEP_2)
	v_add_f32_e32 v8, v1, v2
	v_add_f32_e32 v6, v7, v6
	s_delay_alu instid0(VALU_DEP_1) | instskip(NEXT) | instid1(VALU_DEP_1)
	v_add_f32_e32 v6, v8, v6
	v_dual_sub_f32 v7, v8, v1 :: v_dual_add_f32 v10, v9, v6
	s_delay_alu instid0(VALU_DEP_1) | instskip(SKIP_1) | instid1(VALU_DEP_3)
	v_sub_f32_e32 v8, v8, v7
	v_sub_f32_e32 v2, v2, v7
	v_sub_f32_e32 v7, v10, v9
	s_delay_alu instid0(VALU_DEP_3) | instskip(NEXT) | instid1(VALU_DEP_1)
	v_sub_f32_e32 v1, v1, v8
	v_add_f32_e32 v1, v2, v1
	s_delay_alu instid0(VALU_DEP_3) | instskip(NEXT) | instid1(VALU_DEP_1)
	v_sub_f32_e32 v2, v6, v7
	v_add_f32_e32 v1, v1, v2
	s_delay_alu instid0(VALU_DEP_1) | instskip(NEXT) | instid1(VALU_DEP_1)
	v_add_f32_e32 v2, v10, v1
	v_mul_f32_e32 v7, v4, v2
	v_sub_f32_e32 v6, v2, v10
	s_delay_alu instid0(VALU_DEP_2) | instskip(NEXT) | instid1(VALU_DEP_2)
	v_fma_f32 v2, v4, v2, -v7
	v_sub_f32_e32 v1, v1, v6
	v_cmp_class_f32_e64 s2, v7, 0x204
	s_delay_alu instid0(VALU_DEP_2) | instskip(NEXT) | instid1(VALU_DEP_1)
	v_fmac_f32_e32 v2, v4, v1
	v_add_f32_e32 v1, v7, v2
	s_delay_alu instid0(VALU_DEP_1) | instskip(NEXT) | instid1(VALU_DEP_1)
	v_cndmask_b32_e64 v6, v1, v7, s2
	v_cmp_eq_f32_e64 s2, 0x42b17218, v6
	s_delay_alu instid0(VALU_DEP_1) | instskip(SKIP_1) | instid1(VALU_DEP_2)
	v_cndmask_b32_e64 v8, 0, 0x37000000, s2
	v_cmp_neq_f32_e64 s2, 0x7f800000, |v6|
	v_sub_f32_e32 v9, v6, v8
	v_trunc_f32_e32 v6, v4
	s_delay_alu instid0(VALU_DEP_2) | instskip(NEXT) | instid1(VALU_DEP_1)
	v_mul_f32_e32 v10, 0x3fb8aa3b, v9
	v_fma_f32 v11, 0x3fb8aa3b, v9, -v10
	v_rndne_f32_e32 v12, v10
	s_delay_alu instid0(VALU_DEP_1) | instskip(NEXT) | instid1(VALU_DEP_1)
	v_dual_fmamk_f32 v11, v9, 0x32a5705f, v11 :: v_dual_sub_f32 v10, v10, v12
	v_add_f32_e32 v10, v10, v11
	v_sub_f32_e32 v1, v1, v7
	v_cvt_i32_f32_e32 v7, v12
	s_delay_alu instid0(VALU_DEP_3) | instskip(NEXT) | instid1(VALU_DEP_2)
	v_exp_f32_e32 v10, v10
	v_sub_f32_e32 v1, v2, v1
	s_delay_alu instid0(VALU_DEP_1)
	v_cndmask_b32_e64 v1, 0, v1, s2
	v_cmp_ngt_f32_e64 s2, 0xc2ce8ed0, v9
	s_waitcnt_depctr 0xfff
	v_ldexp_f32 v2, v10, v7
	v_mul_f32_e32 v7, 0.5, v4
	v_add_f32_e32 v1, v8, v1
	s_delay_alu instid0(VALU_DEP_3) | instskip(NEXT) | instid1(VALU_DEP_3)
	v_cndmask_b32_e64 v2, 0, v2, s2
	v_trunc_f32_e32 v10, v7
	v_cmp_nlt_f32_e64 s2, 0x42b17218, v9
	s_delay_alu instid0(VALU_DEP_2) | instskip(NEXT) | instid1(VALU_DEP_2)
	v_cmp_neq_f32_e64 s3, v10, v7
	v_cndmask_b32_e64 v2, 0x7f800000, v2, s2
	v_cmp_eq_f32_e64 s2, v6, v4
	s_delay_alu instid0(VALU_DEP_2) | instskip(NEXT) | instid1(VALU_DEP_2)
	v_fma_f32 v1, v2, v1, v2
	s_and_b32 vcc_lo, s2, s3
	v_cmp_class_f32_e64 s3, v2, 0x204
	v_cndmask_b32_e32 v6, 1.0, v3, vcc_lo
	s_delay_alu instid0(VALU_DEP_2) | instskip(SKIP_1) | instid1(VALU_DEP_2)
	v_cndmask_b32_e64 v1, v1, v2, s3
	v_cmp_gt_f32_e64 s3, 0, v4
	v_bfi_b32 v1, 0x7fffffff, v1, v6
	s_delay_alu instid0(VALU_DEP_2)
	s_xor_b32 s3, s3, s4
	v_cndmask_b32_e32 v6, 0, v3, vcc_lo
	v_cndmask_b32_e64 v2, 0x7f800000, 0, s3
	v_cmp_eq_f32_e32 vcc_lo, 0x7f800000, v5
	v_cndmask_b32_e64 v4, 0x7fc00000, v1, s2
	v_cmp_gt_f32_e64 s2, 0, v3
	s_delay_alu instid0(VALU_DEP_4) | instskip(SKIP_1) | instid1(VALU_DEP_2)
	v_bfi_b32 v2, 0x7fffffff, v2, v6
	s_or_b32 vcc_lo, vcc_lo, s4
	v_cndmask_b32_e64 v1, v1, v4, s2
	s_delay_alu instid0(VALU_DEP_1) | instskip(SKIP_1) | instid1(VALU_DEP_2)
	v_cndmask_b32_e32 v1, v1, v2, vcc_lo
	v_cmp_o_f32_e32 vcc_lo, v3, v3
	v_cndmask_b32_e32 v16, 0x7fc00000, v1, vcc_lo
.LBB0_2:
	s_load_b512 s[16:31], s[0:1], 0x0
	v_bfe_u32 v14, v0, 10, 10
	v_and_b32_e32 v15, 0x3ff, v0
	s_mul_hi_u32 s10, s40, s7
	s_mul_hi_u32 s11, s39, s5
	s_waitcnt lgkmcnt(0)
	v_cmp_eq_u32_e64 s2, 0, v14
	s_delay_alu instid0(VALU_DEP_1)
	s_and_saveexec_b32 s7, s2
	s_cbranch_execz .LBB0_15
; %bb.3:
	s_load_b128 s[44:47], s[0:1], 0x70
	v_dual_mov_b32 v3, 0 :: v_dual_lshlrev_b32 v0, 4, v15
	v_cmp_gt_u32_e32 vcc_lo, 16, v15
	v_mov_b32_e32 v2, 0
	s_waitcnt lgkmcnt(0)
	s_mul_i32 s3, s12, s46
	s_mul_i32 s4, s13, s44
	;; [unrolled: 1-line block ×3, first 2 shown]
	s_add_i32 s3, s3, s4
	s_delay_alu instid0(SALU_CYCLE_1) | instskip(NEXT) | instid1(SALU_CYCLE_1)
	s_add_i32 s3, s3, s5
	s_ashr_i32 s4, s3, 31
	s_add_u32 s3, s16, s3
	s_addc_u32 s4, s17, s4
	v_add_co_u32 v0, s3, s3, v0
	s_delay_alu instid0(VALU_DEP_1)
	v_add_co_ci_u32_e64 v1, null, s4, 0, s3
	s_and_saveexec_b32 s3, vcc_lo
	s_cbranch_execz .LBB0_5
; %bb.4:
	global_load_b32 v3, v[0:1], off
	s_waitcnt vmcnt(0)
	v_mul_f32_e32 v3, s8, v3
.LBB0_5:
	s_or_b32 exec_lo, exec_lo, s3
	s_and_saveexec_b32 s3, vcc_lo
	s_cbranch_execz .LBB0_7
; %bb.6:
	global_load_b32 v2, v[0:1], off offset:4
	s_waitcnt vmcnt(0)
	v_mul_f32_e32 v2, s8, v2
.LBB0_7:
	s_or_b32 exec_lo, exec_lo, s3
	v_dual_mov_b32 v4, 0 :: v_dual_mov_b32 v5, 0
	s_and_saveexec_b32 s3, vcc_lo
	s_cbranch_execz .LBB0_9
; %bb.8:
	global_load_b32 v5, v[0:1], off offset:8
	s_waitcnt vmcnt(0)
	v_mul_f32_e32 v5, s8, v5
.LBB0_9:
	s_or_b32 exec_lo, exec_lo, s3
	s_and_saveexec_b32 s3, vcc_lo
	s_cbranch_execz .LBB0_11
; %bb.10:
	global_load_b32 v0, v[0:1], off offset:12
	s_waitcnt vmcnt(0)
	v_mul_f32_e32 v4, s8, v0
.LBB0_11:
	s_or_b32 exec_lo, exec_lo, s3
	v_mbcnt_lo_u32_b32 v0, -1, 0
	v_max_f32_e64 v1, |v2|, |v2|
	v_max_f32_e64 v6, |v3|, |v3|
	s_mov_b32 s8, exec_lo
	s_delay_alu instid0(VALU_DEP_3) | instskip(SKIP_2) | instid1(VALU_DEP_3)
	v_xor_b32_e32 v7, 4, v0
	v_xor_b32_e32 v8, 2, v0
	;; [unrolled: 1-line block ×3, first 2 shown]
	v_cmp_gt_i32_e32 vcc_lo, 32, v7
	v_dual_max_f32 v1, v6, v1 :: v_dual_cndmask_b32 v6, v0, v7
	s_delay_alu instid0(VALU_DEP_1) | instskip(SKIP_1) | instid1(VALU_DEP_3)
	v_max3_f32 v1, v1, |v5|, |v4|
	v_cmp_gt_i32_e32 vcc_lo, 32, v8
	v_lshlrev_b32_e32 v6, 2, v6
	ds_bpermute_b32 v7, v6, v1
	s_waitcnt lgkmcnt(0)
	v_dual_max_f32 v7, v7, v7 :: v_dual_cndmask_b32 v8, v0, v8
	v_cmp_gt_i32_e32 vcc_lo, 32, v9
	s_delay_alu instid0(VALU_DEP_2) | instskip(SKIP_4) | instid1(VALU_DEP_2)
	v_dual_max_f32 v1, v1, v7 :: v_dual_lshlrev_b32 v8, 2, v8
	ds_bpermute_b32 v7, v8, v1
	s_waitcnt lgkmcnt(0)
	v_dual_max_f32 v7, v7, v7 :: v_dual_cndmask_b32 v0, v0, v9
	v_add_f32_e32 v9, v3, v2
	v_dual_max_f32 v1, v1, v7 :: v_dual_lshlrev_b32 v0, 2, v0
	s_delay_alu instid0(VALU_DEP_2)
	v_add_f32_e32 v9, v9, v5
	ds_bpermute_b32 v7, v0, v1
	v_add_f32_e32 v9, v9, v4
	ds_bpermute_b32 v6, v6, v9
	s_waitcnt lgkmcnt(1)
	v_max_f32_e32 v7, v7, v7
	s_delay_alu instid0(VALU_DEP_1) | instskip(SKIP_2) | instid1(VALU_DEP_2)
	v_max_f32_e32 v7, v1, v7
	s_waitcnt lgkmcnt(0)
	v_add_f32_e32 v1, v9, v6
	v_div_scale_f32 v10, null, 0x42fe0000, 0x42fe0000, v7
	v_div_scale_f32 v9, vcc_lo, v7, 0x42fe0000, v7
	ds_bpermute_b32 v8, v8, v1
	v_rcp_f32_e32 v11, v10
	s_waitcnt_depctr 0xfff
	v_fma_f32 v6, -v10, v11, 1.0
	s_delay_alu instid0(VALU_DEP_1) | instskip(SKIP_2) | instid1(VALU_DEP_2)
	v_fmac_f32_e32 v11, v6, v11
	s_waitcnt lgkmcnt(0)
	v_add_f32_e32 v1, v1, v8
	v_mul_f32_e32 v12, v9, v11
	s_delay_alu instid0(VALU_DEP_1) | instskip(NEXT) | instid1(VALU_DEP_1)
	v_fma_f32 v6, -v10, v12, v9
	v_fmac_f32_e32 v12, v6, v11
	ds_bpermute_b32 v6, v0, v1
	v_fma_f32 v8, -v10, v12, v9
	s_delay_alu instid0(VALU_DEP_1) | instskip(NEXT) | instid1(VALU_DEP_1)
	v_div_fmas_f32 v0, v8, v11, v12
	v_div_fixup_f32 v0, v0, 0x42fe0000, v7
	v_mov_b32_e32 v7, 0
	s_delay_alu instid0(VALU_DEP_2)
	v_cmpx_neq_f32_e32 0, v0
	s_cbranch_execz .LBB0_13
; %bb.12:
	v_div_scale_f32 v7, null, v0, v0, v3
	v_div_scale_f32 v8, null, v0, v0, v2
	;; [unrolled: 1-line block ×3, first 2 shown]
	s_delay_alu instid0(VALU_DEP_3) | instskip(NEXT) | instid1(VALU_DEP_2)
	v_rcp_f32_e32 v9, v7
	v_rcp_f32_e32 v12, v8
	v_div_scale_f32 v20, vcc_lo, v3, v0, v3
	s_delay_alu instid0(VALU_DEP_2) | instskip(SKIP_1) | instid1(VALU_DEP_1)
	v_rcp_f32_e32 v17, v11
	v_div_scale_f32 v10, null, v0, v0, v5
	v_rcp_f32_e32 v13, v10
	v_fma_f32 v18, -v7, v9, 1.0
	s_delay_alu instid0(TRANS32_DEP_3) | instskip(SKIP_4) | instid1(VALU_DEP_3)
	v_fma_f32 v19, -v8, v12, 1.0
	s_waitcnt_depctr 0xfff
	v_fma_f32 v22, -v11, v17, 1.0
	v_dual_fmac_f32 v9, v18, v9 :: v_dual_fmac_f32 v12, v19, v12
	v_div_scale_f32 v18, s3, v2, v0, v2
	v_fmac_f32_e32 v17, v22, v17
	s_delay_alu instid0(VALU_DEP_3) | instskip(SKIP_1) | instid1(VALU_DEP_4)
	v_mul_f32_e32 v22, v20, v9
	v_fma_f32 v21, -v10, v13, 1.0
	v_mul_f32_e32 v23, v18, v12
	v_div_scale_f32 v19, s4, v5, v0, v5
	s_delay_alu instid0(VALU_DEP_4) | instskip(NEXT) | instid1(VALU_DEP_3)
	v_fma_f32 v26, -v7, v22, v20
	v_fma_f32 v27, -v8, v23, v18
	s_delay_alu instid0(VALU_DEP_1) | instskip(NEXT) | instid1(VALU_DEP_1)
	v_dual_fmac_f32 v22, v26, v9 :: v_dual_fmac_f32 v23, v27, v12
	v_fma_f32 v7, -v7, v22, v20
	s_delay_alu instid0(VALU_DEP_2) | instskip(NEXT) | instid1(VALU_DEP_2)
	v_fma_f32 v8, -v8, v23, v18
	v_div_fmas_f32 v7, v7, v9, v22
	s_mov_b32 vcc_lo, s3
	s_delay_alu instid0(VALU_DEP_2) | instskip(SKIP_1) | instid1(VALU_DEP_2)
	v_div_fmas_f32 v8, v8, v12, v23
	s_mov_b32 vcc_lo, s4
	v_div_fixup_f32 v3, v7, v0, v3
	s_delay_alu instid0(VALU_DEP_2) | instskip(NEXT) | instid1(VALU_DEP_2)
	v_div_fixup_f32 v2, v8, v0, v2
	v_trunc_f32_e32 v12, v3
	v_fmac_f32_e32 v13, v21, v13
	v_div_scale_f32 v21, s5, v4, v0, v4
	s_delay_alu instid0(VALU_DEP_2) | instskip(NEXT) | instid1(VALU_DEP_2)
	v_mul_f32_e32 v24, v19, v13
	v_mul_f32_e32 v25, v21, v17
	s_delay_alu instid0(VALU_DEP_2) | instskip(NEXT) | instid1(VALU_DEP_2)
	v_fma_f32 v28, -v10, v24, v19
	v_fma_f32 v29, -v11, v25, v21
	s_delay_alu instid0(VALU_DEP_2) | instskip(NEXT) | instid1(VALU_DEP_2)
	v_fmac_f32_e32 v24, v28, v13
	v_fmac_f32_e32 v25, v29, v17
	s_delay_alu instid0(VALU_DEP_2) | instskip(NEXT) | instid1(VALU_DEP_1)
	v_fma_f32 v10, -v10, v24, v19
	v_div_fmas_f32 v9, v10, v13, v24
	s_delay_alu instid0(VALU_DEP_3) | instskip(SKIP_1) | instid1(VALU_DEP_2)
	v_fma_f32 v10, -v11, v25, v21
	s_mov_b32 vcc_lo, s5
	v_div_fixup_f32 v5, v9, v0, v5
	s_delay_alu instid0(VALU_DEP_2) | instskip(NEXT) | instid1(VALU_DEP_2)
	v_div_fmas_f32 v9, v10, v17, v25
	v_trunc_f32_e32 v8, v5
	s_delay_alu instid0(VALU_DEP_2) | instskip(SKIP_1) | instid1(VALU_DEP_3)
	v_div_fixup_f32 v4, v9, v0, v4
	v_trunc_f32_e32 v9, v2
	v_sub_f32_e32 v10, v5, v8
	s_delay_alu instid0(VALU_DEP_3) | instskip(NEXT) | instid1(VALU_DEP_3)
	v_trunc_f32_e32 v7, v4
	v_sub_f32_e32 v11, v2, v9
	s_delay_alu instid0(VALU_DEP_3) | instskip(NEXT) | instid1(VALU_DEP_3)
	v_cmp_ge_f32_e64 s3, |v10|, 0.5
	v_sub_f32_e32 v13, v4, v7
	s_delay_alu instid0(VALU_DEP_2) | instskip(NEXT) | instid1(VALU_DEP_4)
	v_cndmask_b32_e64 v10, 0, 1.0, s3
	v_cmp_ge_f32_e64 s3, |v11|, 0.5
	s_delay_alu instid0(VALU_DEP_2) | instskip(NEXT) | instid1(VALU_DEP_2)
	v_bfi_b32 v5, 0x7fffffff, v10, v5
	v_cndmask_b32_e64 v11, 0, 1.0, s3
	v_sub_f32_e32 v10, v3, v12
	v_cmp_ge_f32_e64 s3, |v13|, 0.5
	s_delay_alu instid0(VALU_DEP_3) | instskip(NEXT) | instid1(VALU_DEP_2)
	v_bfi_b32 v2, 0x7fffffff, v11, v2
	v_cndmask_b32_e64 v13, 0, 1.0, s3
	s_delay_alu instid0(VALU_DEP_4) | instskip(NEXT) | instid1(VALU_DEP_3)
	v_cmp_ge_f32_e64 s3, |v10|, 0.5
	v_add_f32_e32 v2, v9, v2
	s_delay_alu instid0(VALU_DEP_3) | instskip(NEXT) | instid1(VALU_DEP_2)
	v_bfi_b32 v4, 0x7fffffff, v13, v4
	v_cvt_i32_f32_e32 v2, v2
	s_delay_alu instid0(VALU_DEP_2) | instskip(NEXT) | instid1(VALU_DEP_2)
	v_add_f32_e32 v4, v7, v4
	v_dual_add_f32 v5, v8, v5 :: v_dual_and_b32 v2, 0xff, v2
	v_cndmask_b32_e64 v8, 0, 1.0, s3
	s_delay_alu instid0(VALU_DEP_3) | instskip(NEXT) | instid1(VALU_DEP_3)
	v_cvt_i32_f32_e32 v4, v4
	v_lshlrev_b32_e32 v2, 8, v2
	s_delay_alu instid0(VALU_DEP_4) | instskip(NEXT) | instid1(VALU_DEP_4)
	v_cvt_i32_f32_e32 v5, v5
	v_bfi_b32 v3, 0x7fffffff, v8, v3
	s_delay_alu instid0(VALU_DEP_2) | instskip(NEXT) | instid1(VALU_DEP_2)
	v_and_b32_e32 v5, 0xff, v5
	v_add_f32_e32 v3, v12, v3
	s_delay_alu instid0(VALU_DEP_2) | instskip(NEXT) | instid1(VALU_DEP_2)
	v_lshlrev_b32_e32 v5, 16, v5
	v_cvt_i32_f32_e32 v3, v3
	s_delay_alu instid0(VALU_DEP_2) | instskip(NEXT) | instid1(VALU_DEP_2)
	v_lshl_or_b32 v4, v4, 24, v5
	v_and_b32_e32 v3, 0xff, v3
	s_delay_alu instid0(VALU_DEP_1)
	v_or3_b32 v7, v4, v2, v3
.LBB0_13:
	s_or_b32 exec_lo, exec_lo, s8
	v_and_b32_e32 v2, 0x77, v15
	v_lshlrev_b32_e32 v3, 2, v15
	s_delay_alu instid0(VALU_DEP_2)
	v_cmp_eq_u32_e32 vcc_lo, 0, v2
	ds_store_b32 v3, v7
	s_and_b32 exec_lo, exec_lo, vcc_lo
	s_cbranch_execz .LBB0_15
; %bb.14:
	s_waitcnt lgkmcnt(1)
	v_add_f32_e32 v1, v1, v6
	ds_store_b64 v15, v[0:1] offset:64
.LBB0_15:
	s_or_b32 exec_lo, exec_lo, s7
	v_and_b32_e32 v13, 1, v15
	s_waitcnt lgkmcnt(0)
	s_barrier
	buffer_gl0_inv
	s_ashr_i32 s37, s36, 31
	v_dual_mov_b32 v101, 0 :: v_dual_lshlrev_b32 v12, 2, v13
	s_ashr_i32 s3, s6, 31
	s_ashr_i32 s42, s12, 31
	s_cmp_eq_u64 s[26:27], 0
	ds_load_2addr_b32 v[4:5], v12 offset1:2
	ds_load_2addr_b32 v[6:7], v12 offset0:4 offset1:6
	ds_load_2addr_b32 v[8:9], v12 offset0:8 offset1:10
	;; [unrolled: 1-line block ×3, first 2 shown]
	ds_load_b128 v[0:3], v101 offset:64
	s_waitcnt lgkmcnt(0)
	s_barrier
	buffer_gl0_inv
	s_cbranch_scc1 .LBB0_17
; %bb.16:
	s_load_b32 s4, s[0:1], 0xd0
	s_mov_b32 s5, 0
	s_waitcnt lgkmcnt(0)
	s_mul_i32 s4, s4, s12
	s_delay_alu instid0(SALU_CYCLE_1) | instskip(NEXT) | instid1(SALU_CYCLE_1)
	s_add_i32 s4, s4, s13
	s_lshl_b64 s[4:5], s[4:5], 2
	s_delay_alu instid0(SALU_CYCLE_1)
	s_add_u32 s4, s26, s4
	s_addc_u32 s5, s27, s5
	s_load_b32 s38, s[4:5], 0x0
.LBB0_17:
	v_dual_mov_b32 v103, 0 :: v_dual_lshlrev_b32 v34, 5, v14
	v_dual_mov_b32 v104, 0 :: v_dual_lshlrev_b32 v19, 2, v15
	v_mbcnt_lo_u32_b32 v20, -1, 0
	s_delay_alu instid0(VALU_DEP_3)
	v_dual_mov_b32 v102, 0xfeffffff :: v_dual_add_nc_u32 v17, v34, v15
	s_lshl_b32 s16, s14, 7
	s_mov_b32 s17, 0
	s_waitcnt lgkmcnt(0)
	s_cmp_ge_i32 s16, s38
	v_lshlrev_b32_e32 v18, 1, v17
	s_cbranch_scc1 .LBB0_25
; %bb.18:
	s_clause 0x1
	s_load_b128 s[4:7], s[0:1], 0x98
	s_load_b64 s[8:9], s[0:1], 0x8c
	s_mul_i32 s26, s10, s33
	s_mul_i32 s43, s11, s15
	s_sub_i32 s11, s40, s26
	s_xor_b32 s3, s37, s3
	s_add_i32 s27, s10, 1
	s_mul_i32 s44, s13, s41
	v_xor_b32_e32 v25, 16, v20
	v_and_b32_e32 v23, 30, v20
	v_xor_b32_e32 v22, 1, v20
	v_xor_b32_e32 v24, 8, v20
	v_lshrrev_b32_e32 v37, 4, v15
	v_bfe_u32 v35, v15, 3, 1
	v_add_nc_u32_e32 v23, 2, v23
	v_dual_mov_b32 v103, 0 :: v_dual_mov_b32 v104, 0
	s_delay_alu instid0(VALU_DEP_4) | instskip(NEXT) | instid1(VALU_DEP_3)
	v_dual_mov_b32 v105, 0xfeffffff :: v_dual_add_nc_u32 v94, v37, v34
	v_cmp_lt_i32_e32 vcc_lo, v22, v23
	s_waitcnt lgkmcnt(0)
	s_mul_i32 s5, s12, s5
	s_mul_hi_u32 s26, s12, s4
	s_mul_i32 s40, s42, s4
	s_add_i32 s5, s26, s5
	s_sub_i32 s26, s11, s33
	s_add_i32 s45, s5, s40
	s_cmp_ge_u32 s11, s33
	v_dual_cndmask_b32 v22, v20, v22 :: v_dual_and_b32 v21, 0x7e, v15
	s_cselect_b32 s5, s27, s10
	s_cselect_b32 s10, s26, s11
	s_add_i32 s40, s5, 1
	s_cmp_ge_u32 s10, s33
	s_clause 0x2
	s_load_b64 s[10:11], s[0:1], 0xa8
	s_load_b64 s[26:27], s[0:1], 0xc8
	s_load_b32 s41, s[0:1], 0xd4
	s_cselect_b32 s5, s40, s5
	s_sub_i32 s33, s39, s43
	s_xor_b32 s5, s5, s3
	v_xor_b32_e32 v23, 4, v20
	s_sub_i32 s5, s5, s3
	s_sub_i32 s3, s33, s15
	s_mul_i32 s9, s5, s9
	s_mul_i32 s5, s5, s7
	s_ashr_i32 s39, s9, 31
	s_ashr_i32 s7, s5, 31
	s_cmp_ge_u32 s33, s15
	s_mul_i32 s4, s12, s4
	s_cselect_b32 s3, s3, s33
	v_add_nc_u32_e32 v44, 26, v94
	s_sub_i32 s33, s3, s15
	s_cmp_ge_u32 s3, s15
	v_add_nc_u32_e32 v48, 24, v94
	s_cselect_b32 s3, s33, s3
	s_ashr_i32 s43, s44, 31
	s_xor_b32 s3, s3, s42
	s_waitcnt lgkmcnt(0)
	s_mul_i32 s11, s12, s11
	s_sub_i32 s3, s3, s42
	s_mul_i32 s42, s42, s10
	s_mul_i32 s27, s3, s27
	s_mul_hi_u32 s33, s3, s26
	s_ashr_i32 s40, s3, 31
	s_mul_i32 s47, s3, s26
	v_cmp_eq_u32_e64 s3, 0, v13
	v_xor_b32_e32 v13, 2, v20
	s_add_i32 s27, s33, s27
	s_mul_i32 s40, s40, s26
	v_mul_lo_u32 v46, s6, v44
	s_add_i32 s46, s27, s40
	v_cmp_gt_i32_e32 vcc_lo, 32, v13
	v_and_b32_e32 v38, 12, v19
	v_add_co_u32 v12, s40, s4, v12
	s_delay_alu instid0(VALU_DEP_1)
	v_add_co_ci_u32_e64 v32, null, s45, 0, s40
	v_cndmask_b32_e32 v13, v20, v13, vcc_lo
	v_cmp_gt_i32_e32 vcc_lo, 32, v23
	s_cmp_lg_u64 s[22:23], 0
	s_mov_b32 s27, s17
	s_cselect_b32 s33, -1, 0
	s_lshl_b32 s26, s41, 7
	v_dual_cndmask_b32 v26, v20, v23 :: v_dual_lshlrev_b32 v23, 2, v13
	v_cmp_gt_i32_e32 vcc_lo, 32, v24
	v_add_nc_u32_e32 v36, v34, v21
	v_or_b32_e32 v13, v34, v37
	s_add_u32 s40, s18, s9
	s_addc_u32 s41, s19, s39
	v_cndmask_b32_e32 v27, v20, v24, vcc_lo
	v_mul_lo_u32 v39, v36, s8
	v_cmp_gt_i32_e32 vcc_lo, 32, v25
	v_lshlrev_b32_e32 v24, 2, v26
	v_add_nc_u32_e32 v34, 30, v94
	v_ashrrev_i32_e32 v47, 31, v46
	v_mul_lo_u32 v50, s6, v48
	v_dual_cndmask_b32 v28, v20, v25 :: v_dual_lshlrev_b32 v25, 2, v27
	v_add_nc_u32_e32 v30, s8, v39
	v_lshlrev_b32_e32 v27, 1, v13
	v_ashrrev_i32_e32 v40, 31, v39
	s_delay_alu instid0(VALU_DEP_4)
	v_lshlrev_b32_e32 v26, 2, v28
	v_mul_lo_u32 v41, s6, v34
	v_ashrrev_i32_e32 v31, 31, v30
	v_add_co_u32 v13, vcc_lo, v12, v30
	v_ashrrev_i32_e32 v51, 31, v50
	v_add_nc_u32_e32 v52, 22, v94
	s_delay_alu instid0(VALU_DEP_4) | instskip(NEXT) | instid1(VALU_DEP_4)
	v_add_co_ci_u32_e32 v29, vcc_lo, v32, v31, vcc_lo
	v_add_co_u32 v28, vcc_lo, s40, v13
	s_add_u32 s40, s40, s4
	s_delay_alu instid0(VALU_DEP_2)
	v_add_co_ci_u32_e32 v29, vcc_lo, s41, v29, vcc_lo
	v_add_co_u32 v12, vcc_lo, v12, s9
	v_add_co_ci_u32_e32 v13, vcc_lo, s39, v32, vcc_lo
	s_addc_u32 s41, s41, s45
	v_add_co_u32 v30, vcc_lo, s40, v30
	v_add_co_ci_u32_e32 v31, vcc_lo, s41, v31, vcc_lo
	v_add_co_u32 v12, vcc_lo, v12, v39
	s_lshl_b64 s[40:41], s[16:17], 1
	v_add_co_ci_u32_e32 v13, vcc_lo, v13, v40, vcc_lo
	s_add_u32 s17, s47, s40
	s_delay_alu instid0(VALU_DEP_2)
	v_add_co_u32 v32, vcc_lo, s18, v12
	s_addc_u32 s40, s46, s41
	v_lshlrev_b32_e32 v12, 1, v36
	v_mul_hi_u32_u24_e32 v36, 20, v35
	v_mul_u32_u24_e32 v35, 20, v35
	s_add_u32 s22, s22, s44
	s_addc_u32 s23, s23, s43
	s_add_u32 s17, s22, s17
	s_addc_u32 s22, s23, s40
	v_add_co_u32 v12, s17, s17, v12
	v_mad_u64_u32 v[96:97], null, s12, s10, v[35:36]
	v_add_co_ci_u32_e32 v33, vcc_lo, s19, v13, vcc_lo
	v_add_co_ci_u32_e64 v13, null, s22, 0, s17
	s_lshl_b64 s[22:23], s[26:27], 1
	s_add_u32 s4, s4, s9
	v_add_co_u32 v12, vcc_lo, v12, 2
	s_addc_u32 s9, s45, s39
	s_add_u32 s4, s18, s4
	v_add_co_ci_u32_e32 v13, vcc_lo, 0, v13, vcc_lo
	s_addc_u32 s9, s19, s9
	v_add3_u32 v97, s11, s42, v97
	v_add_co_u32 v34, vcc_lo, s4, v39
	v_add_co_ci_u32_e32 v35, vcc_lo, s9, v40, vcc_lo
	v_add_co_u32 v95, vcc_lo, v96, v38
	s_delay_alu instid0(VALU_DEP_4) | instskip(SKIP_4) | instid1(VALU_DEP_4)
	v_add_co_ci_u32_e32 v98, vcc_lo, 0, v97, vcc_lo
	v_ashrrev_i32_e32 v38, 31, v41
	v_add_co_u32 v34, vcc_lo, v34, 20
	v_add_co_ci_u32_e32 v35, vcc_lo, 0, v35, vcc_lo
	v_add_co_u32 v36, vcc_lo, v95, v41
	v_add_co_ci_u32_e32 v37, vcc_lo, v98, v38, vcc_lo
	s_add_u32 s4, s20, s5
	s_addc_u32 s9, s21, s7
	v_add_nc_u32_e32 v39, 28, v94
	v_add_co_u32 v36, vcc_lo, s4, v36
	v_add_co_ci_u32_e32 v37, vcc_lo, s9, v37, vcc_lo
	s_delay_alu instid0(VALU_DEP_3) | instskip(NEXT) | instid1(VALU_DEP_3)
	v_mul_lo_u32 v42, s6, v39
	v_add_co_u32 v36, vcc_lo, v36, 4
	s_delay_alu instid0(VALU_DEP_3) | instskip(SKIP_3) | instid1(VALU_DEP_3)
	v_add_co_ci_u32_e32 v37, vcc_lo, 0, v37, vcc_lo
	v_add_co_u32 v39, vcc_lo, v96, v41
	v_add_co_ci_u32_e32 v40, vcc_lo, v97, v38, vcc_lo
	v_ashrrev_i32_e32 v43, 31, v42
	v_add_co_u32 v38, vcc_lo, s4, v39
	s_delay_alu instid0(VALU_DEP_3) | instskip(SKIP_1) | instid1(VALU_DEP_4)
	v_add_co_ci_u32_e32 v39, vcc_lo, s9, v40, vcc_lo
	v_add_co_u32 v40, vcc_lo, v95, v42
	v_add_co_ci_u32_e32 v41, vcc_lo, v98, v43, vcc_lo
	v_mul_lo_u32 v54, s6, v52
	s_delay_alu instid0(VALU_DEP_3) | instskip(NEXT) | instid1(VALU_DEP_3)
	v_add_co_u32 v40, vcc_lo, s4, v40
	v_add_co_ci_u32_e32 v41, vcc_lo, s9, v41, vcc_lo
	v_add_nc_u32_e32 v56, 20, v94
	s_delay_alu instid0(VALU_DEP_3) | instskip(NEXT) | instid1(VALU_DEP_3)
	v_add_co_u32 v40, vcc_lo, v40, 4
	v_add_co_ci_u32_e32 v41, vcc_lo, 0, v41, vcc_lo
	v_add_co_u32 v42, vcc_lo, v96, v42
	v_add_co_ci_u32_e32 v43, vcc_lo, v97, v43, vcc_lo
	v_ashrrev_i32_e32 v55, 31, v54
	s_delay_alu instid0(VALU_DEP_3) | instskip(NEXT) | instid1(VALU_DEP_3)
	v_add_co_u32 v42, vcc_lo, s4, v42
	v_add_co_ci_u32_e32 v43, vcc_lo, s9, v43, vcc_lo
	v_add_co_u32 v44, vcc_lo, v95, v46
	v_add_co_ci_u32_e32 v45, vcc_lo, v98, v47, vcc_lo
	v_mul_lo_u32 v58, s6, v56
	s_delay_alu instid0(VALU_DEP_3) | instskip(NEXT) | instid1(VALU_DEP_3)
	v_add_co_u32 v44, vcc_lo, s4, v44
	v_add_co_ci_u32_e32 v45, vcc_lo, s9, v45, vcc_lo
	v_add_nc_u32_e32 v60, 18, v94
	s_delay_alu instid0(VALU_DEP_3) | instskip(NEXT) | instid1(VALU_DEP_3)
	v_add_co_u32 v44, vcc_lo, v44, 4
	v_add_co_ci_u32_e32 v45, vcc_lo, 0, v45, vcc_lo
	v_add_co_u32 v46, vcc_lo, v96, v46
	v_add_co_ci_u32_e32 v47, vcc_lo, v97, v47, vcc_lo
	v_ashrrev_i32_e32 v59, 31, v58
	s_delay_alu instid0(VALU_DEP_3) | instskip(NEXT) | instid1(VALU_DEP_3)
	v_add_co_u32 v46, vcc_lo, s4, v46
	v_add_co_ci_u32_e32 v47, vcc_lo, s9, v47, vcc_lo
	v_add_co_u32 v48, vcc_lo, v95, v50
	v_add_co_ci_u32_e32 v49, vcc_lo, v98, v51, vcc_lo
	v_mul_lo_u32 v62, s6, v60
	s_delay_alu instid0(VALU_DEP_3) | instskip(NEXT) | instid1(VALU_DEP_3)
	v_add_co_u32 v48, vcc_lo, s4, v48
	v_add_co_ci_u32_e32 v49, vcc_lo, s9, v49, vcc_lo
	v_add_nc_u32_e32 v64, 16, v94
	s_delay_alu instid0(VALU_DEP_3) | instskip(NEXT) | instid1(VALU_DEP_3)
	v_add_co_u32 v48, vcc_lo, v48, 4
	v_add_co_ci_u32_e32 v49, vcc_lo, 0, v49, vcc_lo
	v_add_co_u32 v50, vcc_lo, v96, v50
	v_add_co_ci_u32_e32 v51, vcc_lo, v97, v51, vcc_lo
	v_ashrrev_i32_e32 v63, 31, v62
	s_delay_alu instid0(VALU_DEP_3) | instskip(NEXT) | instid1(VALU_DEP_3)
	v_add_co_u32 v50, vcc_lo, s4, v50
	v_add_co_ci_u32_e32 v51, vcc_lo, s9, v51, vcc_lo
	v_add_co_u32 v52, vcc_lo, v95, v54
	v_add_co_ci_u32_e32 v53, vcc_lo, v98, v55, vcc_lo
	v_mul_lo_u32 v66, s6, v64
	s_delay_alu instid0(VALU_DEP_3) | instskip(NEXT) | instid1(VALU_DEP_3)
	v_add_co_u32 v52, vcc_lo, s4, v52
	v_add_co_ci_u32_e32 v53, vcc_lo, s9, v53, vcc_lo
	v_add_nc_u32_e32 v68, 14, v94
	s_delay_alu instid0(VALU_DEP_3) | instskip(NEXT) | instid1(VALU_DEP_3)
	v_add_co_u32 v52, vcc_lo, v52, 4
	v_add_co_ci_u32_e32 v53, vcc_lo, 0, v53, vcc_lo
	v_add_co_u32 v54, vcc_lo, v96, v54
	v_add_co_ci_u32_e32 v55, vcc_lo, v97, v55, vcc_lo
	v_ashrrev_i32_e32 v67, 31, v66
	s_delay_alu instid0(VALU_DEP_3) | instskip(NEXT) | instid1(VALU_DEP_3)
	v_add_co_u32 v54, vcc_lo, s4, v54
	v_add_co_ci_u32_e32 v55, vcc_lo, s9, v55, vcc_lo
	v_add_co_u32 v56, vcc_lo, v95, v58
	v_add_co_ci_u32_e32 v57, vcc_lo, v98, v59, vcc_lo
	v_mul_lo_u32 v70, s6, v68
	s_delay_alu instid0(VALU_DEP_3) | instskip(NEXT) | instid1(VALU_DEP_3)
	v_add_co_u32 v56, vcc_lo, s4, v56
	v_add_co_ci_u32_e32 v57, vcc_lo, s9, v57, vcc_lo
	v_add_nc_u32_e32 v72, 12, v94
	s_delay_alu instid0(VALU_DEP_3) | instskip(NEXT) | instid1(VALU_DEP_3)
	v_add_co_u32 v56, vcc_lo, v56, 4
	v_add_co_ci_u32_e32 v57, vcc_lo, 0, v57, vcc_lo
	v_add_co_u32 v58, vcc_lo, v96, v58
	v_add_co_ci_u32_e32 v59, vcc_lo, v97, v59, vcc_lo
	v_ashrrev_i32_e32 v71, 31, v70
	s_delay_alu instid0(VALU_DEP_3) | instskip(NEXT) | instid1(VALU_DEP_3)
	v_add_co_u32 v58, vcc_lo, s4, v58
	v_add_co_ci_u32_e32 v59, vcc_lo, s9, v59, vcc_lo
	v_add_co_u32 v60, vcc_lo, v95, v62
	v_add_co_ci_u32_e32 v61, vcc_lo, v98, v63, vcc_lo
	v_mul_lo_u32 v74, s6, v72
	s_delay_alu instid0(VALU_DEP_3) | instskip(NEXT) | instid1(VALU_DEP_3)
	v_add_co_u32 v60, vcc_lo, s4, v60
	v_add_co_ci_u32_e32 v61, vcc_lo, s9, v61, vcc_lo
	v_add_nc_u32_e32 v76, 10, v94
	s_delay_alu instid0(VALU_DEP_3) | instskip(NEXT) | instid1(VALU_DEP_3)
	v_add_co_u32 v60, vcc_lo, v60, 4
	v_add_co_ci_u32_e32 v61, vcc_lo, 0, v61, vcc_lo
	v_add_co_u32 v62, vcc_lo, v96, v62
	v_add_co_ci_u32_e32 v63, vcc_lo, v97, v63, vcc_lo
	v_ashrrev_i32_e32 v75, 31, v74
	s_delay_alu instid0(VALU_DEP_3) | instskip(NEXT) | instid1(VALU_DEP_3)
	v_add_co_u32 v62, vcc_lo, s4, v62
	v_add_co_ci_u32_e32 v63, vcc_lo, s9, v63, vcc_lo
	v_add_co_u32 v64, vcc_lo, v95, v66
	v_add_co_ci_u32_e32 v65, vcc_lo, v98, v67, vcc_lo
	v_mul_lo_u32 v78, s6, v76
	s_delay_alu instid0(VALU_DEP_3) | instskip(NEXT) | instid1(VALU_DEP_3)
	v_add_co_u32 v64, vcc_lo, s4, v64
	v_add_co_ci_u32_e32 v65, vcc_lo, s9, v65, vcc_lo
	v_add_nc_u32_e32 v80, 8, v94
	s_delay_alu instid0(VALU_DEP_3) | instskip(NEXT) | instid1(VALU_DEP_3)
	v_add_co_u32 v64, vcc_lo, v64, 4
	v_add_co_ci_u32_e32 v65, vcc_lo, 0, v65, vcc_lo
	v_add_co_u32 v66, vcc_lo, v96, v66
	v_add_co_ci_u32_e32 v67, vcc_lo, v97, v67, vcc_lo
	v_ashrrev_i32_e32 v79, 31, v78
	s_delay_alu instid0(VALU_DEP_3) | instskip(NEXT) | instid1(VALU_DEP_3)
	v_add_co_u32 v66, vcc_lo, s4, v66
	v_add_co_ci_u32_e32 v67, vcc_lo, s9, v67, vcc_lo
	v_add_co_u32 v68, vcc_lo, v95, v70
	v_add_co_ci_u32_e32 v69, vcc_lo, v98, v71, vcc_lo
	v_mul_lo_u32 v82, s6, v80
	s_delay_alu instid0(VALU_DEP_3) | instskip(NEXT) | instid1(VALU_DEP_3)
	v_add_co_u32 v68, vcc_lo, s4, v68
	v_add_co_ci_u32_e32 v69, vcc_lo, s9, v69, vcc_lo
	v_add_nc_u32_e32 v84, 6, v94
	s_delay_alu instid0(VALU_DEP_3) | instskip(NEXT) | instid1(VALU_DEP_3)
	v_add_co_u32 v68, vcc_lo, v68, 4
	v_add_co_ci_u32_e32 v69, vcc_lo, 0, v69, vcc_lo
	v_add_co_u32 v70, vcc_lo, v96, v70
	v_add_co_ci_u32_e32 v71, vcc_lo, v97, v71, vcc_lo
	v_ashrrev_i32_e32 v83, 31, v82
	s_delay_alu instid0(VALU_DEP_3) | instskip(NEXT) | instid1(VALU_DEP_3)
	v_add_co_u32 v70, vcc_lo, s4, v70
	v_add_co_ci_u32_e32 v71, vcc_lo, s9, v71, vcc_lo
	v_add_co_u32 v72, vcc_lo, v95, v74
	v_add_co_ci_u32_e32 v73, vcc_lo, v98, v75, vcc_lo
	v_mul_lo_u32 v86, s6, v84
	s_delay_alu instid0(VALU_DEP_3) | instskip(NEXT) | instid1(VALU_DEP_3)
	v_add_co_u32 v72, vcc_lo, s4, v72
	v_add_co_ci_u32_e32 v73, vcc_lo, s9, v73, vcc_lo
	v_add_nc_u32_e32 v88, 4, v94
	s_delay_alu instid0(VALU_DEP_3) | instskip(NEXT) | instid1(VALU_DEP_3)
	v_add_co_u32 v72, vcc_lo, v72, 4
	v_add_co_ci_u32_e32 v73, vcc_lo, 0, v73, vcc_lo
	v_add_co_u32 v74, vcc_lo, v96, v74
	v_add_co_ci_u32_e32 v75, vcc_lo, v97, v75, vcc_lo
	v_ashrrev_i32_e32 v87, 31, v86
	s_delay_alu instid0(VALU_DEP_3) | instskip(NEXT) | instid1(VALU_DEP_3)
	v_add_co_u32 v74, vcc_lo, s4, v74
	v_add_co_ci_u32_e32 v75, vcc_lo, s9, v75, vcc_lo
	v_add_co_u32 v76, vcc_lo, v95, v78
	v_add_co_ci_u32_e32 v77, vcc_lo, v98, v79, vcc_lo
	v_mul_lo_u32 v90, s6, v88
	s_delay_alu instid0(VALU_DEP_3) | instskip(NEXT) | instid1(VALU_DEP_3)
	v_add_co_u32 v76, vcc_lo, s4, v76
	v_add_co_ci_u32_e32 v77, vcc_lo, s9, v77, vcc_lo
	v_add_nc_u32_e32 v88, 2, v94
	s_delay_alu instid0(VALU_DEP_3) | instskip(NEXT) | instid1(VALU_DEP_3)
	v_add_co_u32 v76, vcc_lo, v76, 4
	v_add_co_ci_u32_e32 v77, vcc_lo, 0, v77, vcc_lo
	v_add_co_u32 v78, vcc_lo, v96, v78
	v_add_co_ci_u32_e32 v79, vcc_lo, v97, v79, vcc_lo
	v_ashrrev_i32_e32 v91, 31, v90
	s_delay_alu instid0(VALU_DEP_3) | instskip(NEXT) | instid1(VALU_DEP_3)
	v_add_co_u32 v78, vcc_lo, s4, v78
	v_add_co_ci_u32_e32 v79, vcc_lo, s9, v79, vcc_lo
	v_add_co_u32 v80, vcc_lo, v95, v82
	v_add_co_ci_u32_e32 v81, vcc_lo, v98, v83, vcc_lo
	v_mul_lo_u32 v99, s6, v88
	s_delay_alu instid0(VALU_DEP_3) | instskip(NEXT) | instid1(VALU_DEP_3)
	v_add_co_u32 v80, vcc_lo, s4, v80
	v_add_co_ci_u32_e32 v81, vcc_lo, s9, v81, vcc_lo
	v_mul_lo_u32 v101, s6, v94
	s_delay_alu instid0(VALU_DEP_3) | instskip(NEXT) | instid1(VALU_DEP_3)
	v_add_co_u32 v80, vcc_lo, v80, 4
	v_add_co_ci_u32_e32 v81, vcc_lo, 0, v81, vcc_lo
	v_add_co_u32 v82, vcc_lo, v96, v82
	v_add_co_ci_u32_e32 v83, vcc_lo, v97, v83, vcc_lo
	v_ashrrev_i32_e32 v100, 31, v99
	s_delay_alu instid0(VALU_DEP_3) | instskip(NEXT) | instid1(VALU_DEP_3)
	v_add_co_u32 v82, vcc_lo, s4, v82
	v_add_co_ci_u32_e32 v83, vcc_lo, s9, v83, vcc_lo
	v_add_co_u32 v84, vcc_lo, v95, v86
	v_add_co_ci_u32_e32 v85, vcc_lo, v98, v87, vcc_lo
	v_ashrrev_i32_e32 v102, 31, v101
	s_delay_alu instid0(VALU_DEP_3) | instskip(NEXT) | instid1(VALU_DEP_3)
	v_add_co_u32 v84, vcc_lo, s4, v84
	v_add_co_ci_u32_e32 v85, vcc_lo, s9, v85, vcc_lo
	v_lshlrev_b32_e32 v21, 2, v22
	s_delay_alu instid0(VALU_DEP_3) | instskip(NEXT) | instid1(VALU_DEP_3)
	v_add_co_u32 v84, vcc_lo, v84, 4
	v_add_co_ci_u32_e32 v85, vcc_lo, 0, v85, vcc_lo
	v_add_co_u32 v86, vcc_lo, v96, v86
	v_add_co_ci_u32_e32 v87, vcc_lo, v97, v87, vcc_lo
	;; [unrolled: 2-line block ×3, first 2 shown]
	s_delay_alu instid0(VALU_DEP_4) | instskip(NEXT) | instid1(VALU_DEP_4)
	v_add_co_u32 v86, vcc_lo, s4, v86
	v_add_co_ci_u32_e32 v87, vcc_lo, s9, v87, vcc_lo
	s_delay_alu instid0(VALU_DEP_4) | instskip(NEXT) | instid1(VALU_DEP_4)
	v_add_co_u32 v88, vcc_lo, s4, v89
	v_add_co_ci_u32_e32 v89, vcc_lo, s9, v92, vcc_lo
	v_and_b32_e32 v22, 4, v15
	s_delay_alu instid0(VALU_DEP_3) | instskip(NEXT) | instid1(VALU_DEP_3)
	v_add_co_u32 v88, vcc_lo, v88, 4
	v_add_co_ci_u32_e32 v89, vcc_lo, 0, v89, vcc_lo
	v_add_co_u32 v92, vcc_lo, v95, v99
	v_add_co_ci_u32_e32 v93, vcc_lo, v98, v100, vcc_lo
	;; [unrolled: 2-line block ×3, first 2 shown]
	s_delay_alu instid0(VALU_DEP_4) | instskip(NEXT) | instid1(VALU_DEP_4)
	v_add_co_u32 v92, vcc_lo, s4, v92
	v_add_co_ci_u32_e32 v93, vcc_lo, s9, v93, vcc_lo
	s_delay_alu instid0(VALU_DEP_4) | instskip(NEXT) | instid1(VALU_DEP_4)
	v_add_co_u32 v90, vcc_lo, s4, v90
	v_add_co_ci_u32_e32 v91, vcc_lo, s9, v91, vcc_lo
	;; [unrolled: 3-line block ×3, first 2 shown]
	v_add_co_u32 v94, vcc_lo, v96, v99
	v_add_co_ci_u32_e32 v99, vcc_lo, v97, v100, vcc_lo
	v_add_co_u32 v100, vcc_lo, v95, s5
	v_add_co_ci_u32_e32 v98, vcc_lo, s7, v98, vcc_lo
	s_delay_alu instid0(VALU_DEP_4) | instskip(NEXT) | instid1(VALU_DEP_4)
	v_add_co_u32 v94, vcc_lo, s4, v94
	v_add_co_ci_u32_e32 v95, vcc_lo, s9, v99, vcc_lo
	s_delay_alu instid0(VALU_DEP_4) | instskip(NEXT) | instid1(VALU_DEP_4)
	v_add_co_u32 v99, vcc_lo, v100, v101
	v_add_co_ci_u32_e32 v98, vcc_lo, v98, v102, vcc_lo
	v_add_co_u32 v96, vcc_lo, v96, s5
	v_add_co_ci_u32_e32 v97, vcc_lo, s7, v97, vcc_lo
	s_delay_alu instid0(VALU_DEP_4) | instskip(NEXT) | instid1(VALU_DEP_4)
	v_add_co_u32 v99, vcc_lo, v99, s20
	v_add_co_ci_u32_e32 v98, vcc_lo, s21, v98, vcc_lo
	s_delay_alu instid0(VALU_DEP_4) | instskip(NEXT) | instid1(VALU_DEP_4)
	;; [unrolled: 3-line block ×4, first 2 shown]
	v_add_co_u32 v98, vcc_lo, s20, v100
	v_add_co_ci_u32_e32 v99, vcc_lo, s21, v101, vcc_lo
	v_mov_b32_e32 v100, 0
	s_mul_i32 s15, s16, s6
	s_mul_i32 s17, s16, s8
	;; [unrolled: 1-line block ×4, first 2 shown]
.LBB0_19:                               ; =>This Inner Loop Header: Depth=1
	v_add_co_u32 v101, vcc_lo, v32, s17
	v_add_co_ci_u32_e32 v102, vcc_lo, 0, v33, vcc_lo
	v_add_co_u32 v106, vcc_lo, v34, s17
	v_add_co_ci_u32_e32 v107, vcc_lo, 0, v35, vcc_lo
	s_and_b32 vcc_lo, exec_lo, s33
	global_load_b32 v108, v[101:102], off offset:4
	global_load_b32 v109, v[106:107], off offset:-20
	s_clause 0x1
	global_load_b32 v110, v[101:102], off offset:12
	global_load_b32 v111, v[101:102], off offset:24
	global_load_b32 v106, v[106:107], off
	global_load_b32 v101, v[101:102], off offset:32
	s_waitcnt vmcnt(4)
	v_cvt_f32_f16_e32 v107, v109
	v_lshrrev_b32_e32 v109, 16, v109
	v_and_b32_e32 v102, 0xf0f0f0f, v108
	s_waitcnt vmcnt(1)
	v_cvt_f32_f16_e32 v114, v106
	v_lshrrev_b32_e32 v106, 16, v106
	v_mul_f32_e32 v107, v0, v107
	v_cvt_f32_f16_e32 v109, v109
	v_and_b32_e32 v112, 0xf0f0f0f, v110
	v_lshrrev_b32_e32 v110, 4, v110
	v_lshrrev_b32_e32 v108, 4, v108
	v_dot4_i32_iu8 v102, v102, v4, 0 neg_lo:[1,1,0]
	v_mul_f32_e32 v109, v1, v109
	v_cvt_f32_f16_e32 v106, v106
	v_and_b32_e32 v110, 0xf0f0f0f, v110
	v_dot4_i32_iu8 v112, v112, v5, 0 neg_lo:[1,1,0]
	v_cvt_f32_i32_e32 v102, v102
	s_delay_alu instid0(VALU_DEP_4) | instskip(NEXT) | instid1(VALU_DEP_4)
	v_dual_mul_f32 v109, 0x3e000000, v109 :: v_dual_mul_f32 v106, v3, v106
	v_dot4_i32_iu8 v110, v110, v7, 0 neg_lo:[1,1,0]
	s_delay_alu instid0(VALU_DEP_4) | instskip(SKIP_1) | instid1(VALU_DEP_4)
	v_cvt_f32_i32_e32 v112, v112
	v_dual_mul_f32 v114, v2, v114 :: v_dual_and_b32 v113, 0xf0f0f0f, v111
	v_fma_f32 v102, v107, v102, v109
	s_delay_alu instid0(VALU_DEP_4)
	v_cvt_f32_i32_e32 v110, v110
	v_and_b32_e32 v108, 0xf0f0f0f, v108
	s_waitcnt vmcnt(0)
	v_and_b32_e32 v115, 0xf0f0f0f, v101
	v_fma_f32 v112, v107, v112, v109
	v_add_f32_e32 v102, 0, v102
	v_lshrrev_b32_e32 v111, 4, v111
	v_dot4_i32_iu8 v108, v108, v6, 0 neg_lo:[1,1,0]
	v_lshrrev_b32_e32 v101, 4, v101
	v_dot4_i32_iu8 v113, v113, v8, 0 neg_lo:[1,1,0]
	s_delay_alu instid0(VALU_DEP_4) | instskip(NEXT) | instid1(VALU_DEP_4)
	v_dual_add_f32 v102, v102, v112 :: v_dual_and_b32 v111, 0xf0f0f0f, v111
	v_cvt_f32_i32_e32 v108, v108
	v_dot4_i32_iu8 v115, v115, v9, 0 neg_lo:[1,1,0]
	s_delay_alu instid0(VALU_DEP_4)
	v_cvt_f32_i32_e32 v112, v113
	v_mul_f32_e32 v106, 0x3e000000, v106
	v_and_b32_e32 v101, 0xf0f0f0f, v101
	v_fma_f32 v108, v107, v108, v109
	v_fmac_f32_e32 v109, v107, v110
	v_cvt_f32_i32_e32 v107, v115
	v_fma_f32 v110, v114, v112, v106
	v_dot4_i32_iu8 v101, v101, v11, 0 neg_lo:[1,1,0]
	v_add_f32_e32 v102, v102, v108
	v_dot4_i32_iu8 v108, v111, v10, 0 neg_lo:[1,1,0]
	v_fma_f32 v107, v114, v107, v106
	s_delay_alu instid0(VALU_DEP_4) | instskip(NEXT) | instid1(VALU_DEP_3)
	v_cvt_f32_i32_e32 v101, v101
	v_cvt_f32_i32_e32 v108, v108
	s_delay_alu instid0(VALU_DEP_1) | instskip(NEXT) | instid1(VALU_DEP_3)
	v_fma_f32 v108, v114, v108, v106
	v_fmac_f32_e32 v106, v114, v101
	v_add_f32_e32 v102, v102, v109
	s_delay_alu instid0(VALU_DEP_1) | instskip(NEXT) | instid1(VALU_DEP_1)
	v_add_f32_e32 v102, v102, v110
	v_add_f32_e32 v102, v102, v107
	s_delay_alu instid0(VALU_DEP_1) | instskip(NEXT) | instid1(VALU_DEP_1)
	v_add_f32_e32 v101, v102, v108
	v_add_f32_e32 v101, v101, v106
	ds_bpermute_b32 v102, v21, v101
	s_waitcnt lgkmcnt(0)
	v_add_f32_e32 v101, v101, v102
	s_cbranch_vccz .LBB0_21
; %bb.20:                               ;   in Loop: Header=BB0_19 Depth=1
	global_load_u16 v102, v[12:13], off offset:-2
	s_waitcnt vmcnt(0)
	v_fma_mix_f32 v101, v16, v102, v101 op_sel_hi:[0,1,0]
.LBB0_21:                               ;   in Loop: Header=BB0_19 Depth=1
	v_add_co_u32 v106, vcc_lo, v28, s17
	v_add_co_ci_u32_e32 v107, vcc_lo, 0, v29, vcc_lo
	v_add_co_u32 v108, vcc_lo, v30, s17
	v_add_co_ci_u32_e32 v109, vcc_lo, 0, v31, vcc_lo
	s_and_not1_b32 vcc_lo, exec_lo, s33
	global_load_b32 v102, v[106:107], off offset:4
	global_load_b32 v110, v[108:109], off
	s_clause 0x1
	global_load_b32 v111, v[106:107], off offset:12
	global_load_b32 v112, v[106:107], off offset:24
	;; [unrolled: 1-line block ×4, first 2 shown]
	s_waitcnt vmcnt(4)
	v_cvt_f32_f16_e32 v109, v110
	v_lshrrev_b32_e32 v110, 16, v110
	s_waitcnt vmcnt(2)
	v_and_b32_e32 v114, 0xf0f0f0f, v112
	s_waitcnt vmcnt(1)
	v_cvt_f32_f16_e32 v115, v108
	v_lshrrev_b32_e32 v108, 16, v108
	v_mul_f32_e32 v109, v0, v109
	v_cvt_f32_f16_e32 v110, v110
	v_and_b32_e32 v113, 0xf0f0f0f, v111
	v_lshrrev_b32_e32 v111, 4, v111
	v_cvt_f32_f16_e32 v108, v108
	v_and_b32_e32 v107, 0xf0f0f0f, v102
	v_mul_f32_e32 v110, v1, v110
	v_lshrrev_b32_e32 v102, 4, v102
	v_dot4_i32_iu8 v113, v113, v5, 0 neg_lo:[1,1,0]
	v_mul_f32_e32 v108, v3, v108
	v_dot4_i32_iu8 v107, v107, v4, 0 neg_lo:[1,1,0]
	v_mul_f32_e32 v110, 0x3e000000, v110
	s_waitcnt vmcnt(0)
	v_dual_mul_f32 v115, v2, v115 :: v_dual_and_b32 v116, 0xf0f0f0f, v106
	v_cvt_f32_i32_e32 v113, v113
	v_cvt_f32_i32_e32 v107, v107
	v_lshrrev_b32_e32 v112, 4, v112
	v_dot4_i32_iu8 v114, v114, v8, 0 neg_lo:[1,1,0]
	v_dot4_i32_iu8 v116, v116, v9, 0 neg_lo:[1,1,0]
	v_fma_f32 v113, v109, v113, v110
	v_fma_f32 v107, v109, v107, v110
	v_and_b32_e32 v102, 0xf0f0f0f, v102
	v_and_b32_e32 v112, 0xf0f0f0f, v112
	v_mul_f32_e32 v108, 0x3e000000, v108
	v_lshrrev_b32_e32 v106, 4, v106
	v_add_f32_e32 v107, 0, v107
	v_dot4_i32_iu8 v102, v102, v6, 0 neg_lo:[1,1,0]
	s_delay_alu instid0(VALU_DEP_2) | instskip(NEXT) | instid1(VALU_DEP_2)
	v_dual_add_f32 v107, v107, v113 :: v_dual_and_b32 v106, 0xf0f0f0f, v106
	v_cvt_f32_i32_e32 v102, v102
	v_cvt_f32_i32_e32 v113, v114
	s_delay_alu instid0(VALU_DEP_3) | instskip(NEXT) | instid1(VALU_DEP_3)
	v_dot4_i32_iu8 v106, v106, v11, 0 neg_lo:[1,1,0]
	v_fma_f32 v102, v109, v102, v110
	v_and_b32_e32 v111, 0xf0f0f0f, v111
	s_delay_alu instid0(VALU_DEP_3) | instskip(NEXT) | instid1(VALU_DEP_3)
	v_cvt_f32_i32_e32 v106, v106
	v_add_f32_e32 v102, v107, v102
	s_delay_alu instid0(VALU_DEP_3) | instskip(SKIP_1) | instid1(VALU_DEP_2)
	v_dot4_i32_iu8 v111, v111, v7, 0 neg_lo:[1,1,0]
	v_cvt_f32_i32_e32 v107, v116
	v_cvt_f32_i32_e32 v111, v111
	s_delay_alu instid0(VALU_DEP_2) | instskip(NEXT) | instid1(VALU_DEP_2)
	v_fma_f32 v107, v115, v107, v108
	v_fmac_f32_e32 v110, v109, v111
	v_dot4_i32_iu8 v109, v112, v10, 0 neg_lo:[1,1,0]
	v_fma_f32 v111, v115, v113, v108
	s_delay_alu instid0(VALU_DEP_3) | instskip(NEXT) | instid1(VALU_DEP_3)
	v_add_f32_e32 v102, v102, v110
	v_cvt_f32_i32_e32 v109, v109
	s_delay_alu instid0(VALU_DEP_2) | instskip(NEXT) | instid1(VALU_DEP_2)
	v_add_f32_e32 v102, v102, v111
	v_fma_f32 v109, v115, v109, v108
	v_fmac_f32_e32 v108, v115, v106
	s_delay_alu instid0(VALU_DEP_3) | instskip(NEXT) | instid1(VALU_DEP_1)
	v_add_f32_e32 v102, v102, v107
	v_add_f32_e32 v102, v102, v109
	s_delay_alu instid0(VALU_DEP_1)
	v_add_f32_e32 v102, v102, v108
	ds_bpermute_b32 v106, v21, v102
	s_waitcnt lgkmcnt(0)
	v_add_f32_e32 v102, v102, v106
	s_cbranch_vccnz .LBB0_23
; %bb.22:                               ;   in Loop: Header=BB0_19 Depth=1
	global_load_u16 v106, v[12:13], off
	s_waitcnt vmcnt(0)
	v_fma_mix_f32 v102, v16, v106, v102 op_sel_hi:[0,1,0]
.LBB0_23:                               ;   in Loop: Header=BB0_19 Depth=1
	v_add_co_u32 v106, vcc_lo, v96, s15
	v_add_co_ci_u32_e32 v107, vcc_lo, 0, v97, vcc_lo
	s_delay_alu instid0(VALU_DEP_3)
	v_cndmask_b32_e64 v132, v102, v101, s3
	v_add_co_u32 v110, s7, v88, s15
	global_load_b32 v130, v[106:107], off
	v_add_co_u32 v106, vcc_lo, v98, s15
	v_add_co_ci_u32_e32 v107, vcc_lo, 0, v99, vcc_lo
	v_add_co_u32 v113, s9, v84, s15
	v_add_co_u32 v116, s11, v80, s15
	global_load_b32 v131, v[106:107], off
	v_dual_add_f32 v106, 0x40051340, v101 :: v_dual_add_f32 v107, 0x40051340, v102
	v_add_co_u32 v101, s10, v86, s15
	v_add_co_u32 v115, s5, v82, s15
	s_delay_alu instid0(VALU_DEP_3)
	v_max3_f32 v111, v105, v106, v107
	v_add_co_u32 v106, vcc_lo, v92, s15
	v_add_co_ci_u32_e32 v107, vcc_lo, 0, v93, vcc_lo
	ds_bpermute_b32 v112, v23, v111
	v_add_co_u32 v108, vcc_lo, v94, s15
	global_load_b32 v122, v[106:107], off
	v_add_co_ci_u32_e32 v109, vcc_lo, 0, v95, vcc_lo
	v_add_co_u32 v106, s8, v90, s15
	v_add_co_u32 v128, s6, v76, s15
	;; [unrolled: 1-line block ×3, first 2 shown]
	s_delay_alu instid0(VALU_DEP_1) | instskip(SKIP_1) | instid1(SALU_CYCLE_1)
	v_add_co_ci_u32_e64 v127, s4, 0, v79, s4
	s_add_i32 s16, s16, s26
	s_cmp_ge_i32 s16, s38
	s_waitcnt lgkmcnt(0)
	v_max_f32_e32 v102, v112, v112
	global_load_b32 v112, v[108:109], off
	v_add_co_u32 v108, vcc_lo, v74, s15
	v_max_f32_e32 v109, v111, v102
	v_add_co_ci_u32_e64 v111, s7, 0, v89, s7
	v_add_co_ci_u32_e64 v107, s7, 0, v91, s8
	;; [unrolled: 1-line block ×3, first 2 shown]
	global_load_b32 v125, v[110:111], off
	ds_bpermute_b32 v110, v24, v109
	v_add_co_ci_u32_e64 v114, s7, 0, v85, s9
	v_add_co_ci_u32_e64 v117, s7, 0, v81, s11
	global_load_b32 v123, v[106:107], off
	global_load_b32 v120, v[113:114], off
	;; [unrolled: 1-line block ×4, first 2 shown]
	v_add_co_ci_u32_e64 v116, s5, 0, v83, s5
	v_add_co_ci_u32_e64 v129, s5, 0, v77, s6
	v_add_co_u32 v106, s7, v72, s15
	global_load_b32 v119, v[115:116], off
	global_load_b32 v118, v[128:129], off
	;; [unrolled: 1-line block ×3, first 2 shown]
	v_add_co_u32 v101, s8, v70, s15
	v_add_co_u32 v126, s5, v64, s15
	s_waitcnt lgkmcnt(0)
	v_max_f32_e32 v102, v110, v110
	v_add_co_u32 v110, s4, v68, s15
	s_delay_alu instid0(VALU_DEP_2)
	v_max_f32_e32 v128, v109, v102
	v_add_co_ci_u32_e32 v109, vcc_lo, 0, v75, vcc_lo
	v_add_co_ci_u32_e64 v107, vcc_lo, 0, v73, s7
	v_add_co_ci_u32_e64 v111, vcc_lo, 0, v69, s4
	global_load_b32 v116, v[106:107], off
	global_load_b32 v114, v[108:109], off
	;; [unrolled: 1-line block ×3, first 2 shown]
	ds_bpermute_b32 v108, v25, v128
	v_add_co_ci_u32_e64 v102, vcc_lo, 0, v71, s8
	v_add_co_ci_u32_e64 v127, vcc_lo, 0, v65, s5
	v_add_co_u32 v106, vcc_lo, v66, s15
	global_load_b32 v109, v[101:102], off
	global_load_b32 v111, v[126:127], off
	v_add_co_u32 v101, s4, v60, s15
	v_add_co_ci_u32_e32 v107, vcc_lo, 0, v67, vcc_lo
	v_add_co_ci_u32_e64 v102, vcc_lo, 0, v61, s4
	global_load_b32 v107, v[106:107], off
	global_load_b32 v113, v[101:102], off
	v_add_co_u32 v101, vcc_lo, v62, s15
	v_add_co_ci_u32_e32 v102, vcc_lo, 0, v63, vcc_lo
	s_waitcnt lgkmcnt(0)
	v_max_f32_e32 v106, v108, v108
	global_load_b32 v108, v[101:102], off
	v_add_co_u32 v101, vcc_lo, v56, s15
	v_max_f32_e32 v106, v128, v106
	v_add_co_ci_u32_e32 v102, vcc_lo, 0, v57, vcc_lo
	v_add_co_u32 v126, vcc_lo, v58, s15
	v_add_co_ci_u32_e32 v127, vcc_lo, 0, v59, vcc_lo
	global_load_b32 v110, v[101:102], off
	ds_bpermute_b32 v101, v26, v106
	s_waitcnt lgkmcnt(0)
	v_max_f32_e32 v101, v101, v101
	s_delay_alu instid0(VALU_DEP_1) | instskip(SKIP_2) | instid1(VALU_DEP_1)
	v_max_f32_e32 v102, v106, v101
	global_load_b32 v106, v[126:127], off
	v_sub_f32_e32 v101, v132, v102
	v_mul_f32_e32 v126, 0x3fb8aa3b, v101
	v_cmp_ngt_f32_e32 vcc_lo, 0xc2ce8ed0, v101
	v_cmp_nlt_f32_e64 s4, 0x42b17218, v101
	s_delay_alu instid0(VALU_DEP_3) | instskip(NEXT) | instid1(VALU_DEP_1)
	v_fma_f32 v127, 0x3fb8aa3b, v101, -v126
	v_fmac_f32_e32 v127, 0x32a5705f, v101
	v_sub_f32_e32 v101, v105, v102
	s_delay_alu instid0(VALU_DEP_1) | instskip(SKIP_2) | instid1(VALU_DEP_3)
	v_mul_f32_e32 v105, 0x3fb8aa3b, v101
	v_cmp_ngt_f32_e64 s5, 0xc2ce8ed0, v101
	v_cmp_nlt_f32_e64 s6, 0x42b17218, v101
	v_fma_f32 v128, 0x3fb8aa3b, v101, -v105
	s_delay_alu instid0(VALU_DEP_1) | instskip(SKIP_1) | instid1(VALU_DEP_1)
	v_fmac_f32_e32 v128, 0x32a5705f, v101
	v_rndne_f32_e32 v101, v126
	v_sub_f32_e32 v126, v126, v101
	v_cvt_i32_f32_e32 v101, v101
	s_delay_alu instid0(VALU_DEP_2) | instskip(SKIP_1) | instid1(VALU_DEP_2)
	v_add_f32_e32 v126, v126, v127
	v_rndne_f32_e32 v127, v105
	v_exp_f32_e32 v126, v126
	s_delay_alu instid0(VALU_DEP_1) | instskip(NEXT) | instid1(VALU_DEP_1)
	v_sub_f32_e32 v105, v105, v127
	v_add_f32_e32 v105, v105, v128
	s_waitcnt_depctr 0xfff
	v_ldexp_f32 v101, v126, v101
	v_exp_f32_e32 v105, v105
	v_cvt_i32_f32_e32 v126, v127
	s_delay_alu instid0(VALU_DEP_2) | instskip(NEXT) | instid1(VALU_DEP_1)
	v_cndmask_b32_e32 v101, 0, v101, vcc_lo
	v_cndmask_b32_e64 v101, 0x7f800000, v101, s4
	s_waitcnt_depctr 0xfff
	v_ldexp_f32 v105, v105, v126
	s_delay_alu instid0(VALU_DEP_1) | instskip(NEXT) | instid1(VALU_DEP_1)
	v_cndmask_b32_e64 v105, 0, v105, s5
	v_cndmask_b32_e64 v105, 0x7f800000, v105, s6
	s_waitcnt vmcnt(21)
	v_ashrrev_i32_e32 v126, v22, v130
	s_delay_alu instid0(VALU_DEP_1) | instskip(SKIP_1) | instid1(VALU_DEP_2)
	v_lshrrev_b32_e32 v127, 8, v126
	v_and_b32_e32 v128, 15, v126
	v_and_b32_e32 v127, 15, v127
	s_delay_alu instid0(VALU_DEP_2) | instskip(NEXT) | instid1(VALU_DEP_2)
	v_cvt_f16_u16_e64 v128, v128
	v_cvt_f16_u16_e32 v127, v127
	s_delay_alu instid0(VALU_DEP_1) | instskip(SKIP_3) | instid1(VALU_DEP_3)
	v_pack_b32_f16 v127, v128, v127
	v_lshrrev_b32_e32 v128, 16, v126
	v_bfe_u32 v126, v126, 24, 4
	s_waitcnt vmcnt(20)
	v_pk_fma_f16 v127, v131, v127, v131 op_sel:[0,0,1] op_sel_hi:[0,1,1]
	s_delay_alu instid0(VALU_DEP_3) | instskip(NEXT) | instid1(VALU_DEP_3)
	v_and_b32_e32 v128, 15, v128
	v_cvt_f16_u16_e32 v126, v126
	s_delay_alu instid0(VALU_DEP_2) | instskip(NEXT) | instid1(VALU_DEP_1)
	v_cvt_f16_u16_e64 v128, v128
	v_pack_b32_f16 v126, v128, v126
	v_cvt_f16_f32_e64 v128, v101
	v_fmac_f32_e32 v101, v100, v105
	s_delay_alu instid0(VALU_DEP_3)
	v_pk_fma_f16 v126, v131, v126, v131 op_sel:[0,0,1] op_sel_hi:[0,1,1]
	ds_store_b16 v18, v128
	ds_load_u16 v128, v27
	s_waitcnt vmcnt(15)
	v_ashrrev_i32_e32 v120, v22, v120
	s_waitcnt vmcnt(13)
	v_ashrrev_i32_e32 v124, v22, v124
	s_waitcnt lgkmcnt(0)
	v_pk_mul_f16 v127, v128, v127 op_sel_hi:[0,1]
	v_pk_mul_f16 v126, v128, v126 op_sel_hi:[0,1]
	v_cvt_f16_f32_e64 v128, v105
	s_waitcnt vmcnt(11)
	v_ashrrev_i32_e32 v118, v22, v118
	s_delay_alu instid0(VALU_DEP_2)
	v_pk_fma_f16 v127, v128, v103, v127 op_sel_hi:[0,1,1]
	v_add_co_u32 v103, vcc_lo, v52, s15
	v_pk_fma_f16 v126, v128, v104, v126 op_sel_hi:[0,1,1]
	v_add_co_ci_u32_e32 v104, vcc_lo, 0, v53, vcc_lo
	v_ashrrev_i32_e32 v128, v22, v122
	global_load_b32 v122, v[103:104], off
	v_lshrrev_b32_e32 v103, 8, v128
	v_and_b32_e32 v104, 15, v128
	s_delay_alu instid0(VALU_DEP_2) | instskip(NEXT) | instid1(VALU_DEP_2)
	v_and_b32_e32 v103, 15, v103
	v_cvt_f16_u16_e32 v104, v104
	s_waitcnt vmcnt(10)
	v_ashrrev_i32_e32 v116, v22, v116
	s_waitcnt vmcnt(8)
	v_ashrrev_i32_e32 v115, v22, v115
	v_cvt_f16_u16_e32 v103, v103
	s_delay_alu instid0(VALU_DEP_1) | instskip(SKIP_4) | instid1(VALU_DEP_3)
	v_pack_b32_f16 v129, v104, v103
	v_lshrrev_b32_e32 v103, 16, v128
	v_bfe_u32 v104, v128, 24, 4
	s_waitcnt vmcnt(6)
	v_ashrrev_i32_e32 v111, v22, v111
	v_and_b32_e32 v103, 15, v103
	s_delay_alu instid0(VALU_DEP_3) | instskip(SKIP_2) | instid1(VALU_DEP_3)
	v_cvt_f16_u16_e32 v104, v104
	s_waitcnt vmcnt(4)
	v_ashrrev_i32_e32 v113, v22, v113
	v_cvt_f16_u16_e32 v103, v103
	s_delay_alu instid0(VALU_DEP_1)
	v_pack_b32_f16 v128, v103, v104
	v_add_co_u32 v103, vcc_lo, v54, s15
	v_add_co_ci_u32_e32 v104, vcc_lo, 0, v55, vcc_lo
	global_load_b32 v103, v[103:104], off
	v_pk_fma_f16 v104, v112, v129, v112 op_sel:[0,0,1] op_sel_hi:[0,1,1]
	v_pk_fma_f16 v112, v112, v128, v112 op_sel:[0,0,1] op_sel_hi:[0,1,1]
	ds_load_u16 v128, v27 offset:4
	s_waitcnt vmcnt(3)
	v_ashrrev_i32_e32 v110, v22, v110
	s_waitcnt lgkmcnt(0)
	v_pk_fma_f16 v129, v128, v104, v127 op_sel_hi:[0,1,1]
	v_ashrrev_i32_e32 v104, v22, v125
	v_pk_fma_f16 v128, v128, v112, v126 op_sel_hi:[0,1,1]
	v_add_co_u32 v126, vcc_lo, v48, s15
	v_add_co_ci_u32_e32 v127, vcc_lo, 0, v49, vcc_lo
	s_delay_alu instid0(VALU_DEP_4) | instskip(SKIP_3) | instid1(VALU_DEP_2)
	v_lshrrev_b32_e32 v125, 8, v104
	global_load_b32 v112, v[126:127], off
	v_and_b32_e32 v126, 15, v104
	v_and_b32_e32 v125, 15, v125
	v_cvt_f16_u16_e32 v126, v126
	s_delay_alu instid0(VALU_DEP_2) | instskip(NEXT) | instid1(VALU_DEP_1)
	v_cvt_f16_u16_e32 v125, v125
	v_pack_b32_f16 v127, v126, v125
	v_lshrrev_b32_e32 v125, 16, v104
	v_bfe_u32 v104, v104, 24, 4
	s_delay_alu instid0(VALU_DEP_2) | instskip(NEXT) | instid1(VALU_DEP_2)
	v_and_b32_e32 v125, 15, v125
	v_cvt_f16_u16_e32 v104, v104
	s_delay_alu instid0(VALU_DEP_2) | instskip(NEXT) | instid1(VALU_DEP_1)
	v_cvt_f16_u16_e32 v125, v125
	v_pack_b32_f16 v130, v125, v104
	v_add_co_u32 v125, vcc_lo, v50, s15
	v_add_co_ci_u32_e32 v126, vcc_lo, 0, v51, vcc_lo
	global_load_b32 v104, v[125:126], off
	ds_load_u16 v126, v27 offset:8
	v_pk_fma_f16 v125, v123, v127, v123 op_sel:[0,0,1] op_sel_hi:[0,1,1]
	v_pk_fma_f16 v123, v123, v130, v123 op_sel:[0,0,1] op_sel_hi:[0,1,1]
	s_waitcnt lgkmcnt(0)
	s_delay_alu instid0(VALU_DEP_2) | instskip(SKIP_1) | instid1(VALU_DEP_3)
	v_pk_fma_f16 v127, v126, v125, v129 op_sel_hi:[0,1,1]
	v_add_co_u32 v125, vcc_lo, v44, s15
	v_pk_fma_f16 v128, v126, v123, v128 op_sel_hi:[0,1,1]
	v_add_co_ci_u32_e32 v126, vcc_lo, 0, v45, vcc_lo
	global_load_b32 v123, v[125:126], off
	v_lshrrev_b32_e32 v125, 8, v120
	v_and_b32_e32 v126, 15, v120
	s_delay_alu instid0(VALU_DEP_2) | instskip(NEXT) | instid1(VALU_DEP_2)
	v_and_b32_e32 v125, 15, v125
	v_cvt_f16_u16_e32 v126, v126
	s_delay_alu instid0(VALU_DEP_2) | instskip(NEXT) | instid1(VALU_DEP_1)
	v_cvt_f16_u16_e32 v125, v125
	v_pack_b32_f16 v129, v126, v125
	v_lshrrev_b32_e32 v125, 16, v120
	v_bfe_u32 v120, v120, 24, 4
	s_delay_alu instid0(VALU_DEP_2) | instskip(NEXT) | instid1(VALU_DEP_2)
	v_and_b32_e32 v125, 15, v125
	v_cvt_f16_u16_e32 v120, v120
	s_delay_alu instid0(VALU_DEP_2) | instskip(NEXT) | instid1(VALU_DEP_1)
	v_cvt_f16_u16_e32 v125, v125
	v_pack_b32_f16 v130, v125, v120
	v_add_co_u32 v125, vcc_lo, v46, s15
	v_add_co_ci_u32_e32 v126, vcc_lo, 0, v47, vcc_lo
	global_load_b32 v120, v[125:126], off
	ds_load_u16 v126, v27 offset:12
	v_pk_fma_f16 v125, v121, v129, v121 op_sel:[0,0,1] op_sel_hi:[0,1,1]
	v_pk_fma_f16 v121, v121, v130, v121 op_sel:[0,0,1] op_sel_hi:[0,1,1]
	s_waitcnt lgkmcnt(0)
	s_delay_alu instid0(VALU_DEP_2) | instskip(SKIP_1) | instid1(VALU_DEP_3)
	v_pk_fma_f16 v127, v126, v125, v127 op_sel_hi:[0,1,1]
	v_add_co_u32 v125, vcc_lo, v40, s15
	v_pk_fma_f16 v128, v126, v121, v128 op_sel_hi:[0,1,1]
	v_add_co_ci_u32_e32 v126, vcc_lo, 0, v41, vcc_lo
	global_load_b32 v121, v[125:126], off
	v_lshrrev_b32_e32 v125, 8, v124
	v_and_b32_e32 v126, 15, v124
	s_delay_alu instid0(VALU_DEP_2) | instskip(NEXT) | instid1(VALU_DEP_2)
	v_and_b32_e32 v125, 15, v125
	v_cvt_f16_u16_e32 v126, v126
	s_delay_alu instid0(VALU_DEP_2) | instskip(NEXT) | instid1(VALU_DEP_1)
	v_cvt_f16_u16_e32 v125, v125
	v_pack_b32_f16 v126, v126, v125
	v_lshrrev_b32_e32 v125, 16, v124
	v_bfe_u32 v124, v124, 24, 4
	s_delay_alu instid0(VALU_DEP_2) | instskip(NEXT) | instid1(VALU_DEP_2)
	v_and_b32_e32 v125, 15, v125
	v_cvt_f16_u16_e32 v124, v124
	s_delay_alu instid0(VALU_DEP_2) | instskip(NEXT) | instid1(VALU_DEP_1)
	v_cvt_f16_u16_e32 v125, v125
	v_pack_b32_f16 v129, v125, v124
	v_add_co_u32 v124, vcc_lo, v36, s15
	v_add_co_ci_u32_e32 v125, vcc_lo, 0, v37, vcc_lo
	global_load_b32 v124, v[124:125], off
	v_pk_fma_f16 v125, v119, v126, v119 op_sel:[0,0,1] op_sel_hi:[0,1,1]
	ds_load_u16 v126, v27 offset:16
	v_pk_fma_f16 v119, v119, v129, v119 op_sel:[0,0,1] op_sel_hi:[0,1,1]
	v_and_b32_e32 v129, 15, v118
	s_delay_alu instid0(VALU_DEP_1)
	v_cvt_f16_u16_e64 v129, v129
	s_waitcnt lgkmcnt(0)
	v_pk_fma_f16 v127, v126, v125, v127 op_sel_hi:[0,1,1]
	v_add_co_u32 v125, vcc_lo, v42, s15
	v_pk_fma_f16 v128, v126, v119, v128 op_sel_hi:[0,1,1]
	v_add_co_ci_u32_e32 v126, vcc_lo, 0, v43, vcc_lo
	global_load_b32 v119, v[125:126], off
	v_add_co_u32 v125, vcc_lo, v38, s15
	v_add_co_ci_u32_e32 v126, vcc_lo, 0, v39, vcc_lo
	v_add_co_u32 v28, vcc_lo, v28, s18
	v_add_co_ci_u32_e32 v29, vcc_lo, 0, v29, vcc_lo
	global_load_b32 v125, v[125:126], off
	v_lshrrev_b32_e32 v126, 8, v118
	v_add_co_u32 v30, vcc_lo, v30, s18
	v_add_co_ci_u32_e32 v31, vcc_lo, 0, v31, vcc_lo
	s_delay_alu instid0(VALU_DEP_3) | instskip(SKIP_2) | instid1(VALU_DEP_3)
	v_and_b32_e32 v126, 15, v126
	v_add_co_u32 v32, vcc_lo, v32, s18
	v_add_co_ci_u32_e32 v33, vcc_lo, 0, v33, vcc_lo
	v_cvt_f16_u16_e32 v126, v126
	v_add_co_u32 v12, vcc_lo, v12, s22
	v_add_co_ci_u32_e32 v13, vcc_lo, s23, v13, vcc_lo
	s_delay_alu instid0(VALU_DEP_3) | instskip(SKIP_3) | instid1(VALU_DEP_4)
	v_pack_b32_f16 v126, v129, v126
	v_lshrrev_b32_e32 v129, 16, v118
	v_bfe_u32 v118, v118, 24, 4
	v_add_co_u32 v34, vcc_lo, v34, s18
	v_pk_fma_f16 v126, v117, v126, v117 op_sel:[0,0,1] op_sel_hi:[0,1,1]
	s_delay_alu instid0(VALU_DEP_4) | instskip(NEXT) | instid1(VALU_DEP_4)
	v_and_b32_e32 v129, 15, v129
	v_cvt_f16_u16_e32 v118, v118
	v_add_co_ci_u32_e32 v35, vcc_lo, 0, v35, vcc_lo
	v_add_co_u32 v36, vcc_lo, v36, s19
	s_delay_alu instid0(VALU_DEP_4) | instskip(SKIP_2) | instid1(VALU_DEP_3)
	v_cvt_f16_u16_e64 v129, v129
	v_add_co_ci_u32_e32 v37, vcc_lo, 0, v37, vcc_lo
	v_add_co_u32 v38, vcc_lo, v38, s19
	v_pack_b32_f16 v118, v129, v118
	v_add_co_ci_u32_e32 v39, vcc_lo, 0, v39, vcc_lo
	v_add_co_u32 v40, vcc_lo, v40, s19
	s_delay_alu instid0(VALU_DEP_3)
	v_pk_fma_f16 v117, v117, v118, v117 op_sel:[0,0,1] op_sel_hi:[0,1,1]
	ds_load_u16 v118, v27 offset:20
	v_add_co_ci_u32_e32 v41, vcc_lo, 0, v41, vcc_lo
	v_add_co_u32 v42, vcc_lo, v42, s19
	s_waitcnt vmcnt(9)
	v_ashrrev_i32_e32 v122, v22, v122
	v_add_co_ci_u32_e32 v43, vcc_lo, 0, v43, vcc_lo
	v_add_co_u32 v44, vcc_lo, v44, s19
	v_add_co_ci_u32_e32 v45, vcc_lo, 0, v45, vcc_lo
	v_add_co_u32 v46, vcc_lo, v46, s19
	;; [unrolled: 2-line block ×3, first 2 shown]
	v_add_co_ci_u32_e32 v49, vcc_lo, 0, v49, vcc_lo
	s_waitcnt lgkmcnt(0)
	v_pk_fma_f16 v126, v118, v126, v127 op_sel_hi:[0,1,1]
	v_pk_fma_f16 v117, v118, v117, v128 op_sel_hi:[0,1,1]
	v_lshrrev_b32_e32 v118, 8, v116
	v_and_b32_e32 v127, 15, v116
	v_and_b32_e32 v128, 15, v115
	v_add_co_u32 v50, vcc_lo, v50, s19
	s_delay_alu instid0(VALU_DEP_4) | instskip(NEXT) | instid1(VALU_DEP_4)
	v_and_b32_e32 v118, 15, v118
	v_cvt_f16_u16_e32 v127, v127
	s_delay_alu instid0(VALU_DEP_4) | instskip(SKIP_1) | instid1(VALU_DEP_4)
	v_cvt_f16_u16_e64 v128, v128
	v_add_co_ci_u32_e32 v51, vcc_lo, 0, v51, vcc_lo
	v_cvt_f16_u16_e32 v118, v118
	v_add_co_u32 v52, vcc_lo, v52, s19
	v_add_co_ci_u32_e32 v53, vcc_lo, 0, v53, vcc_lo
	s_delay_alu instid0(VALU_DEP_3) | instskip(SKIP_3) | instid1(VALU_DEP_4)
	v_pack_b32_f16 v118, v127, v118
	v_lshrrev_b32_e32 v127, 16, v116
	v_bfe_u32 v116, v116, 24, 4
	v_add_co_u32 v54, vcc_lo, v54, s19
	v_pk_fma_f16 v118, v114, v118, v114 op_sel:[0,0,1] op_sel_hi:[0,1,1]
	s_delay_alu instid0(VALU_DEP_4) | instskip(NEXT) | instid1(VALU_DEP_4)
	v_and_b32_e32 v127, 15, v127
	v_cvt_f16_u16_e32 v116, v116
	v_add_co_ci_u32_e32 v55, vcc_lo, 0, v55, vcc_lo
	v_add_co_u32 v56, vcc_lo, v56, s19
	s_delay_alu instid0(VALU_DEP_4) | instskip(SKIP_2) | instid1(VALU_DEP_3)
	v_cvt_f16_u16_e32 v127, v127
	v_add_co_ci_u32_e32 v57, vcc_lo, 0, v57, vcc_lo
	v_add_co_u32 v58, vcc_lo, v58, s19
	v_pack_b32_f16 v116, v127, v116
	v_lshrrev_b32_e32 v127, 8, v115
	v_add_co_ci_u32_e32 v59, vcc_lo, 0, v59, vcc_lo
	v_add_co_u32 v60, vcc_lo, v60, s19
	s_delay_alu instid0(VALU_DEP_4) | instskip(SKIP_4) | instid1(VALU_DEP_3)
	v_pk_fma_f16 v114, v114, v116, v114 op_sel:[0,0,1] op_sel_hi:[0,1,1]
	ds_load_u16 v116, v27 offset:24
	v_and_b32_e32 v127, 15, v127
	v_add_co_ci_u32_e32 v61, vcc_lo, 0, v61, vcc_lo
	v_add_co_u32 v62, vcc_lo, v62, s19
	v_cvt_f16_u16_e32 v127, v127
	v_add_co_ci_u32_e32 v63, vcc_lo, 0, v63, vcc_lo
	v_add_co_u32 v64, vcc_lo, v64, s19
	s_delay_alu instid0(VALU_DEP_3) | instskip(SKIP_3) | instid1(VALU_DEP_4)
	v_pack_b32_f16 v127, v128, v127
	v_lshrrev_b32_e32 v128, 16, v115
	v_bfe_u32 v115, v115, 24, 4
	v_add_co_ci_u32_e32 v65, vcc_lo, 0, v65, vcc_lo
	v_pk_fma_f16 v127, v109, v127, v109 op_sel:[0,0,1] op_sel_hi:[0,1,1]
	s_delay_alu instid0(VALU_DEP_4) | instskip(NEXT) | instid1(VALU_DEP_4)
	v_and_b32_e32 v128, 15, v128
	v_cvt_f16_u16_e32 v115, v115
	v_add_co_u32 v66, vcc_lo, v66, s19
	s_waitcnt lgkmcnt(0)
	v_pk_fma_f16 v118, v116, v118, v126 op_sel_hi:[0,1,1]
	ds_load_u16 v126, v27 offset:28
	v_cvt_f16_u16_e64 v128, v128
	v_pk_fma_f16 v114, v116, v114, v117 op_sel_hi:[0,1,1]
	ds_load_u16 v116, v27 offset:32
	v_lshrrev_b32_e32 v117, 8, v111
	v_add_co_ci_u32_e32 v67, vcc_lo, 0, v67, vcc_lo
	v_pack_b32_f16 v115, v128, v115
	v_add_co_u32 v68, vcc_lo, v68, s19
	s_delay_alu instid0(VALU_DEP_4) | instskip(SKIP_1) | instid1(VALU_DEP_4)
	v_and_b32_e32 v117, 15, v117
	v_add_co_ci_u32_e32 v69, vcc_lo, 0, v69, vcc_lo
	v_pk_fma_f16 v109, v109, v115, v109 op_sel:[0,0,1] op_sel_hi:[0,1,1]
	v_and_b32_e32 v115, 15, v111
	s_delay_alu instid0(VALU_DEP_4)
	v_cvt_f16_u16_e32 v117, v117
	v_add_co_u32 v70, vcc_lo, v70, s19
	v_add_co_ci_u32_e32 v71, vcc_lo, 0, v71, vcc_lo
	s_waitcnt lgkmcnt(1)
	v_pk_fma_f16 v118, v126, v127, v118 op_sel_hi:[0,1,1]
	v_lshrrev_b32_e32 v127, 16, v111
	v_bfe_u32 v111, v111, 24, 4
	v_cvt_f16_u16_e32 v115, v115
	v_pk_fma_f16 v109, v126, v109, v114 op_sel_hi:[0,1,1]
	v_lshrrev_b32_e32 v114, 8, v113
	v_and_b32_e32 v127, 15, v127
	v_lshrrev_b32_e32 v126, 16, v113
	v_cvt_f16_u16_e32 v111, v111
	v_pack_b32_f16 v115, v115, v117
	v_and_b32_e32 v117, 15, v113
	v_cvt_f16_u16_e32 v127, v127
	v_bfe_u32 v113, v113, 24, 4
	v_and_b32_e32 v114, 15, v114
	v_and_b32_e32 v126, 15, v126
	v_cvt_f16_u16_e32 v117, v117
	v_pack_b32_f16 v111, v127, v111
	ds_load_u16 v127, v27 offset:36
	v_cvt_f16_u16_e32 v114, v114
	v_cvt_f16_u16_e32 v113, v113
	;; [unrolled: 1-line block ×3, first 2 shown]
	v_pk_fma_f16 v115, v107, v115, v107 op_sel:[0,0,1] op_sel_hi:[0,1,1]
	v_pk_fma_f16 v107, v107, v111, v107 op_sel:[0,0,1] op_sel_hi:[0,1,1]
	v_pack_b32_f16 v114, v117, v114
	ds_load_u16 v117, v27 offset:40
	v_pack_b32_f16 v113, v126, v113
	ds_load_u16 v126, v27 offset:44
	ds_load_u16 v111, v27 offset:48
	s_waitcnt lgkmcnt(4)
	v_pk_fma_f16 v115, v116, v115, v118 op_sel_hi:[0,1,1]
	ds_load_u16 v118, v27 offset:52
	v_pk_fma_f16 v114, v108, v114, v108 op_sel:[0,0,1] op_sel_hi:[0,1,1]
	v_pk_fma_f16 v107, v116, v107, v109 op_sel_hi:[0,1,1]
	ds_load_u16 v109, v27 offset:56
	v_lshrrev_b32_e32 v116, 8, v110
	v_pk_fma_f16 v108, v108, v113, v108 op_sel:[0,0,1] op_sel_hi:[0,1,1]
	v_lshrrev_b32_e32 v113, 16, v110
	v_add_co_u32 v72, vcc_lo, v72, s19
	s_waitcnt lgkmcnt(5)
	v_pk_fma_f16 v114, v127, v114, v115 op_sel_hi:[0,1,1]
	v_and_b32_e32 v115, 15, v110
	v_bfe_u32 v110, v110, 24, 4
	v_and_b32_e32 v116, 15, v116
	v_and_b32_e32 v113, 15, v113
	v_pk_fma_f16 v107, v127, v108, v107 op_sel_hi:[0,1,1]
	v_cvt_f16_u16_e32 v115, v115
	v_cvt_f16_u16_e32 v110, v110
	;; [unrolled: 1-line block ×4, first 2 shown]
	v_lshrrev_b32_e32 v127, 8, v122
	v_add_co_ci_u32_e32 v73, vcc_lo, 0, v73, vcc_lo
	s_delay_alu instid0(VALU_DEP_4)
	v_pack_b32_f16 v115, v115, v116
	v_lshrrev_b32_e32 v116, 16, v122
	v_pack_b32_f16 v110, v113, v110
	v_and_b32_e32 v113, 15, v122
	v_and_b32_e32 v127, 15, v127
	v_pk_fma_f16 v115, v106, v115, v106 op_sel:[0,0,1] op_sel_hi:[0,1,1]
	v_and_b32_e32 v116, 15, v116
	v_bfe_u32 v122, v122, 24, 4
	v_cvt_f16_u16_e32 v113, v113
	v_cvt_f16_u16_e32 v127, v127
	v_pk_fma_f16 v106, v106, v110, v106 op_sel:[0,0,1] op_sel_hi:[0,1,1]
	s_waitcnt vmcnt(7)
	v_ashrrev_i32_e32 v110, v22, v112
	v_cvt_f16_u16_e32 v112, v116
	v_cvt_f16_u16_e32 v116, v122
	v_pack_b32_f16 v113, v113, v127
	s_waitcnt lgkmcnt(4)
	v_pk_fma_f16 v114, v117, v115, v114 op_sel_hi:[0,1,1]
	v_lshrrev_b32_e32 v115, 8, v110
	v_pk_fma_f16 v106, v117, v106, v107 op_sel_hi:[0,1,1]
	v_pack_b32_f16 v107, v112, v116
	v_pk_fma_f16 v112, v103, v113, v103 op_sel:[0,0,1] op_sel_hi:[0,1,1]
	v_and_b32_e32 v113, 15, v110
	v_and_b32_e32 v115, 15, v115
	v_lshrrev_b32_e32 v116, 16, v110
	v_pk_fma_f16 v103, v103, v107, v103 op_sel:[0,0,1] op_sel_hi:[0,1,1]
	s_waitcnt lgkmcnt(3)
	v_pk_fma_f16 v107, v126, v112, v114 op_sel_hi:[0,1,1]
	v_cvt_f16_u16_e32 v112, v113
	v_cvt_f16_u16_e32 v113, v115
	v_and_b32_e32 v114, 15, v116
	s_waitcnt vmcnt(5)
	v_ashrrev_i32_e32 v115, v22, v123
	v_bfe_u32 v110, v110, 24, 4
	v_pk_fma_f16 v103, v126, v103, v106 op_sel_hi:[0,1,1]
	v_pack_b32_f16 v106, v112, v113
	v_cvt_f16_u16_e32 v112, v114
	v_lshrrev_b32_e32 v113, 8, v115
	v_cvt_f16_u16_e32 v110, v110
	v_lshrrev_b32_e32 v114, 16, v115
	v_and_b32_e32 v116, 15, v115
	v_pk_fma_f16 v106, v104, v106, v104 op_sel:[0,0,1] op_sel_hi:[0,1,1]
	v_and_b32_e32 v113, 15, v113
	v_pack_b32_f16 v110, v112, v110
	v_and_b32_e32 v112, 15, v114
	v_bfe_u32 v114, v115, 24, 4
	v_cvt_f16_u16_e32 v115, v116
	v_cvt_f16_u16_e32 v113, v113
	v_pk_fma_f16 v104, v104, v110, v104 op_sel:[0,0,1] op_sel_hi:[0,1,1]
	v_cvt_f16_u16_e32 v112, v112
	v_cvt_f16_u16_e32 v114, v114
	s_waitcnt vmcnt(3)
	v_ashrrev_i32_e32 v116, v22, v121
	s_waitcnt lgkmcnt(2)
	v_pk_fma_f16 v106, v111, v106, v107 op_sel_hi:[0,1,1]
	v_add_co_u32 v74, vcc_lo, v74, s19
	v_add_co_ci_u32_e32 v75, vcc_lo, 0, v75, vcc_lo
	v_lshrrev_b32_e32 v107, 8, v116
	v_pack_b32_f16 v110, v115, v113
	v_pack_b32_f16 v112, v112, v114
	v_pk_fma_f16 v103, v111, v104, v103 op_sel_hi:[0,1,1]
	v_and_b32_e32 v104, 15, v116
	v_and_b32_e32 v107, 15, v107
	v_add_co_u32 v76, vcc_lo, v76, s19
	v_add_co_ci_u32_e32 v77, vcc_lo, 0, v77, vcc_lo
	v_add_co_u32 v78, vcc_lo, v78, s19
	v_pk_fma_f16 v110, v120, v110, v120 op_sel:[0,0,1] op_sel_hi:[0,1,1]
	v_pk_fma_f16 v111, v120, v112, v120 op_sel:[0,0,1] op_sel_hi:[0,1,1]
	v_lshrrev_b32_e32 v112, 16, v116
	v_cvt_f16_u16_e32 v104, v104
	v_cvt_f16_u16_e32 v107, v107
	v_add_co_ci_u32_e32 v79, vcc_lo, 0, v79, vcc_lo
	v_add_co_u32 v80, vcc_lo, v80, s19
	v_add_co_ci_u32_e32 v81, vcc_lo, 0, v81, vcc_lo
	v_add_co_u32 v82, vcc_lo, v82, s19
	s_waitcnt lgkmcnt(1)
	v_pk_fma_f16 v106, v118, v110, v106 op_sel_hi:[0,1,1]
	v_and_b32_e32 v110, 15, v112
	v_bfe_u32 v112, v116, 24, 4
	v_pack_b32_f16 v104, v104, v107
	v_add_co_ci_u32_e32 v83, vcc_lo, 0, v83, vcc_lo
	v_add_co_u32 v84, vcc_lo, v84, s19
	v_add_co_ci_u32_e32 v85, vcc_lo, 0, v85, vcc_lo
	s_waitcnt vmcnt(2)
	v_ashrrev_i32_e32 v113, v22, v124
	ds_load_u16 v108, v27 offset:60
	v_cvt_f16_u16_e32 v110, v110
	v_cvt_f16_u16_e32 v112, v112
	v_add_co_u32 v86, vcc_lo, v86, s19
	v_lshrrev_b32_e32 v107, 8, v113
	v_lshrrev_b32_e32 v114, 16, v113
	v_and_b32_e32 v115, 15, v113
	v_bfe_u32 v113, v113, 24, 4
	v_add_co_ci_u32_e32 v87, vcc_lo, 0, v87, vcc_lo
	v_and_b32_e32 v107, 15, v107
	v_and_b32_e32 v114, 15, v114
	v_add_co_u32 v88, vcc_lo, v88, s19
	v_pack_b32_f16 v110, v110, v112
	v_cvt_f16_u16_e32 v112, v115
	v_cvt_f16_u16_e32 v107, v107
	;; [unrolled: 1-line block ×4, first 2 shown]
	v_add_co_ci_u32_e32 v89, vcc_lo, 0, v89, vcc_lo
	v_add_co_u32 v90, vcc_lo, v90, s19
	v_add_co_ci_u32_e32 v91, vcc_lo, 0, v91, vcc_lo
	v_add_co_u32 v92, vcc_lo, v92, s19
	v_pk_fma_f16 v103, v118, v111, v103 op_sel_hi:[0,1,1]
	s_waitcnt vmcnt(1)
	v_pk_fma_f16 v104, v119, v104, v119 op_sel:[0,0,1] op_sel_hi:[0,1,1]
	v_pk_fma_f16 v110, v119, v110, v119 op_sel:[0,0,1] op_sel_hi:[0,1,1]
	v_pack_b32_f16 v107, v112, v107
	v_pack_b32_f16 v111, v114, v113
	v_add_co_ci_u32_e32 v93, vcc_lo, 0, v93, vcc_lo
	v_add_co_u32 v94, vcc_lo, v94, s19
	v_add_co_ci_u32_e32 v95, vcc_lo, 0, v95, vcc_lo
	s_waitcnt lgkmcnt(1)
	v_pk_fma_f16 v104, v109, v104, v106 op_sel_hi:[0,1,1]
	v_pk_fma_f16 v106, v109, v110, v103 op_sel_hi:[0,1,1]
	s_waitcnt vmcnt(0)
	v_pk_fma_f16 v103, v125, v107, v125 op_sel:[0,0,1] op_sel_hi:[0,1,1]
	v_pk_fma_f16 v107, v125, v111, v125 op_sel:[0,0,1] op_sel_hi:[0,1,1]
	v_add_co_u32 v96, vcc_lo, v96, s19
	v_add_co_ci_u32_e32 v97, vcc_lo, 0, v97, vcc_lo
	v_add_co_u32 v98, vcc_lo, v98, s19
	s_waitcnt lgkmcnt(0)
	v_pk_fma_f16 v103, v108, v103, v104 op_sel_hi:[0,1,1]
	v_pk_fma_f16 v104, v108, v107, v106 op_sel_hi:[0,1,1]
	v_add_co_ci_u32_e32 v99, vcc_lo, 0, v99, vcc_lo
	s_cbranch_scc1 .LBB0_25
; %bb.24:                               ;   in Loop: Header=BB0_19 Depth=1
	v_dual_mov_b32 v105, v102 :: v_dual_mov_b32 v100, v101
	s_branch .LBB0_19
.LBB0_25:
	v_or_b32_e32 v0, s14, v14
	s_cmp_lg_u64 s[24:25], 0
	s_cselect_b32 s3, -1, 0
	s_delay_alu instid0(VALU_DEP_1) | instskip(SKIP_1) | instid1(SALU_CYCLE_1)
	v_cmp_eq_u32_e32 vcc_lo, 0, v0
	s_and_b32 s4, vcc_lo, s3
	s_and_saveexec_b32 s3, s4
	s_cbranch_execz .LBB0_27
; %bb.26:
	s_lshl_b64 s[4:5], s[36:37], 2
	v_max_f32_e32 v0, v102, v102
	s_add_u32 s4, s24, s4
	s_addc_u32 s5, s25, s5
	s_load_b32 s4, s[4:5], 0x0
	s_waitcnt lgkmcnt(0)
	v_max_f32_e64 v1, s4, s4
	s_delay_alu instid0(VALU_DEP_1) | instskip(NEXT) | instid1(VALU_DEP_1)
	v_max_f32_e32 v0, v1, v0
	v_sub_f32_e32 v1, s4, v0
	s_delay_alu instid0(VALU_DEP_1) | instskip(NEXT) | instid1(VALU_DEP_1)
	v_mul_f32_e32 v3, 0x3fb8aa3b, v1
	v_fma_f32 v5, 0x3fb8aa3b, v1, -v3
	v_rndne_f32_e32 v6, v3
	s_delay_alu instid0(VALU_DEP_2) | instskip(NEXT) | instid1(VALU_DEP_2)
	v_dual_fmac_f32 v5, 0x32a5705f, v1 :: v_dual_sub_f32 v2, v102, v0
	v_dual_sub_f32 v3, v3, v6 :: v_dual_mov_b32 v102, v0
	s_delay_alu instid0(VALU_DEP_2) | instskip(SKIP_1) | instid1(VALU_DEP_2)
	v_mul_f32_e32 v4, 0x3fb8aa3b, v2
	v_cmp_ngt_f32_e32 vcc_lo, 0xc2ce8ed0, v1
	v_fma_f32 v7, 0x3fb8aa3b, v2, -v4
	v_rndne_f32_e32 v8, v4
	s_delay_alu instid0(VALU_DEP_1) | instskip(SKIP_3) | instid1(VALU_DEP_4)
	v_dual_fmac_f32 v7, 0x32a5705f, v2 :: v_dual_sub_f32 v4, v4, v8
	v_add_f32_e32 v3, v3, v5
	v_cvt_i32_f32_e32 v5, v6
	v_cvt_i32_f32_e32 v6, v8
	v_add_f32_e32 v4, v4, v7
	s_delay_alu instid0(VALU_DEP_4) | instskip(NEXT) | instid1(VALU_DEP_1)
	v_exp_f32_e32 v3, v3
	v_exp_f32_e32 v4, v4
	s_waitcnt_depctr 0xfff
	v_ldexp_f32 v3, v3, v5
	v_ldexp_f32 v4, v4, v6
	s_delay_alu instid0(VALU_DEP_2) | instskip(SKIP_1) | instid1(VALU_DEP_3)
	v_cndmask_b32_e32 v3, 0, v3, vcc_lo
	v_cmp_ngt_f32_e32 vcc_lo, 0xc2ce8ed0, v2
	v_cndmask_b32_e32 v4, 0, v4, vcc_lo
	v_cmp_nlt_f32_e32 vcc_lo, 0x42b17218, v1
	s_delay_alu instid0(VALU_DEP_4) | instskip(SKIP_1) | instid1(VALU_DEP_4)
	v_cndmask_b32_e32 v1, 0x7f800000, v3, vcc_lo
	v_cmp_nlt_f32_e32 vcc_lo, 0x42b17218, v2
	v_cndmask_b32_e32 v2, 0x7f800000, v4, vcc_lo
	v_cmp_eq_u32_e32 vcc_lo, 0, v15
	s_delay_alu instid0(VALU_DEP_4) | instskip(NEXT) | instid1(VALU_DEP_1)
	v_cndmask_b32_e32 v1, 0, v1, vcc_lo
	v_fmac_f32_e32 v1, v101, v2
	s_delay_alu instid0(VALU_DEP_1) | instskip(SKIP_1) | instid1(VALU_DEP_1)
	v_mov_b32_e32 v101, v1
	v_cvt_f16_f32_e32 v3, v2
	v_pk_mul_f16 v103, v3, v103 op_sel_hi:[0,1]
	v_pk_mul_f16 v104, v3, v104 op_sel_hi:[0,1]
.LBB0_27:
	s_or_b32 exec_lo, exec_lo, s3
	s_and_saveexec_b32 s3, s2
	s_cbranch_execz .LBB0_29
; %bb.28:
	v_dual_mov_b32 v0, 0xfeffffff :: v_dual_mov_b32 v1, 0
	v_add_nc_u32_e32 v2, 0x400, v19
	ds_store_2addr_b32 v2, v0, v1 offset1:32
.LBB0_29:
	s_or_b32 exec_lo, exec_lo, s3
	v_cmp_eq_u32_e32 vcc_lo, 0, v15
	v_lshlrev_b32_e32 v7, 2, v14
	s_waitcnt lgkmcnt(0)
	s_barrier
	buffer_gl0_inv
	s_and_saveexec_b32 s2, vcc_lo
	s_cbranch_execz .LBB0_31
; %bb.30:
	ds_store_b32 v7, v102 offset:1024
.LBB0_31:
	s_or_b32 exec_lo, exec_lo, s2
	s_waitcnt lgkmcnt(0)
	s_barrier
	buffer_gl0_inv
	ds_load_b32 v0, v19 offset:1024
	v_xor_b32_e32 v1, 16, v20
	v_xor_b32_e32 v3, 8, v20
	v_xor_b32_e32 v4, 4, v20
	v_xor_b32_e32 v5, 2, v20
	v_lshlrev_b32_e32 v12, 3, v15
	v_cmp_gt_i32_e64 s2, 32, v1
	s_delay_alu instid0(VALU_DEP_1) | instskip(SKIP_1) | instid1(VALU_DEP_2)
	v_cndmask_b32_e64 v1, v20, v1, s2
	v_cmp_gt_i32_e64 s2, 32, v3
	v_lshlrev_b32_e32 v2, 2, v1
	s_delay_alu instid0(VALU_DEP_2)
	v_cndmask_b32_e64 v3, v20, v3, s2
	v_cmp_gt_i32_e64 s2, 32, v4
	s_waitcnt lgkmcnt(0)
	ds_bpermute_b32 v1, v2, v0
	v_max_f32_e32 v0, v0, v0
	v_cndmask_b32_e64 v4, v20, v4, s2
	v_cmp_gt_i32_e64 s2, 32, v5
	s_delay_alu instid0(VALU_DEP_2) | instskip(NEXT) | instid1(VALU_DEP_2)
	v_lshlrev_b32_e32 v4, 2, v4
	v_cndmask_b32_e64 v5, v20, v5, s2
	s_delay_alu instid0(VALU_DEP_1) | instskip(SKIP_1) | instid1(VALU_DEP_1)
	v_lshlrev_b32_e32 v6, 2, v5
	v_xor_b32_e32 v5, 1, v20
	v_cmp_gt_i32_e64 s2, 32, v5
	s_waitcnt lgkmcnt(0)
	v_max_f32_e32 v1, v1, v1
	v_lshlrev_b32_e32 v3, 2, v3
	s_delay_alu instid0(VALU_DEP_3) | instskip(NEXT) | instid1(VALU_DEP_3)
	v_cndmask_b32_e64 v5, v20, v5, s2
	v_max_f32_e32 v0, v0, v1
	s_delay_alu instid0(VALU_DEP_2) | instskip(SKIP_3) | instid1(VALU_DEP_1)
	v_lshlrev_b32_e32 v5, 2, v5
	ds_bpermute_b32 v1, v3, v0
	s_waitcnt lgkmcnt(0)
	v_max_f32_e32 v1, v1, v1
	v_max_f32_e32 v0, v0, v1
	ds_bpermute_b32 v1, v4, v0
	s_waitcnt lgkmcnt(0)
	v_max_f32_e32 v1, v1, v1
	s_delay_alu instid0(VALU_DEP_1) | instskip(SKIP_3) | instid1(VALU_DEP_1)
	v_max_f32_e32 v0, v0, v1
	ds_bpermute_b32 v1, v6, v0
	s_waitcnt lgkmcnt(0)
	v_max_f32_e32 v1, v1, v1
	v_max_f32_e32 v0, v0, v1
	ds_bpermute_b32 v1, v5, v0
	s_waitcnt lgkmcnt(0)
	v_max_f32_e32 v1, v1, v1
	s_delay_alu instid0(VALU_DEP_1) | instskip(NEXT) | instid1(VALU_DEP_1)
	v_max_f32_e32 v0, v0, v1
	v_sub_f32_e32 v1, v102, v0
	s_delay_alu instid0(VALU_DEP_1) | instskip(SKIP_1) | instid1(VALU_DEP_2)
	v_mul_f32_e32 v8, 0x3fb8aa3b, v1
	v_cmp_ngt_f32_e64 s2, 0xc2ce8ed0, v1
	v_fma_f32 v9, 0x3fb8aa3b, v1, -v8
	v_rndne_f32_e32 v10, v8
	s_delay_alu instid0(VALU_DEP_1) | instskip(NEXT) | instid1(VALU_DEP_1)
	v_dual_fmamk_f32 v9, v1, 0x32a5705f, v9 :: v_dual_sub_f32 v8, v8, v10
	v_add_f32_e32 v8, v8, v9
	v_cvt_i32_f32_e32 v9, v10
	s_delay_alu instid0(VALU_DEP_2) | instskip(SKIP_2) | instid1(VALU_DEP_1)
	v_exp_f32_e32 v8, v8
	s_waitcnt_depctr 0xfff
	v_ldexp_f32 v8, v8, v9
	v_cndmask_b32_e64 v8, 0, v8, s2
	v_cmp_nlt_f32_e64 s2, 0x42b17218, v1
	s_delay_alu instid0(VALU_DEP_1) | instskip(NEXT) | instid1(VALU_DEP_1)
	v_cndmask_b32_e64 v1, 0x7f800000, v8, s2
	v_mul_f32_e32 v8, v101, v1
	ds_bpermute_b32 v8, v2, v8
	s_waitcnt lgkmcnt(0)
	v_fmac_f32_e32 v8, v101, v1
	v_cvt_f16_f32_e32 v1, v1
	ds_bpermute_b32 v9, v3, v8
	s_waitcnt lgkmcnt(0)
	v_add_f32_e32 v8, v8, v9
	ds_bpermute_b32 v9, v4, v8
	s_waitcnt lgkmcnt(0)
	v_add_f32_e32 v8, v8, v9
	ds_bpermute_b32 v9, v6, v8
	s_waitcnt lgkmcnt(0)
	v_add_f32_e32 v10, v8, v9
	v_and_b32_e32 v8, 0x380, v12
	v_pk_mul_f16 v9, v1, v104 op_sel_hi:[0,1]
	ds_bpermute_b32 v11, v5, v10
	v_lshl_add_u32 v13, v14, 8, v8
	v_pk_mul_f16 v8, v1, v103 op_sel_hi:[0,1]
	s_delay_alu instid0(VALU_DEP_2)
	v_and_or_b32 v12, 0x78, v12, v13
	ds_store_b64 v12, v[8:9]
	s_waitcnt lgkmcnt(1)
	v_add_f32_e32 v1, v10, v11
	s_and_saveexec_b32 s2, vcc_lo
	s_cbranch_execz .LBB0_33
; %bb.32:
	ds_store_b32 v7, v1 offset:1152
.LBB0_33:
	s_or_b32 exec_lo, exec_lo, s2
	s_delay_alu instid0(SALU_CYCLE_1)
	s_mov_b32 s2, exec_lo
	s_waitcnt lgkmcnt(0)
	s_barrier
	buffer_gl0_inv
                                        ; implicit-def: $sgpr3
	v_cmpx_lt_u32_e32 63, v17
	s_xor_b32 s2, exec_lo, s2
	s_cbranch_execz .LBB0_35
; %bb.34:
	s_load_b32 s3, s[0:1], 0xd4
                                        ; implicit-def: $vgpr19
                                        ; implicit-def: $vgpr2
                                        ; implicit-def: $vgpr3
                                        ; implicit-def: $vgpr4
                                        ; implicit-def: $vgpr6
                                        ; implicit-def: $vgpr5
                                        ; implicit-def: $vgpr18
.LBB0_35:
	s_or_saveexec_b32 s2, s2
	s_waitcnt lgkmcnt(0)
	v_mov_b32_e32 v7, s3
	s_mul_i32 s3, s12, s34
	s_xor_b32 exec_lo, exec_lo, s2
	s_cbranch_execz .LBB0_37
; %bb.36:
	ds_load_b32 v1, v19 offset:1152
	ds_load_u16 v7, v18
	ds_load_u16 v8, v18 offset:128
	ds_load_u16 v9, v18 offset:256
	;; [unrolled: 1-line block ×6, first 2 shown]
	s_load_b32 s0, s[0:1], 0xd4
	s_waitcnt lgkmcnt(0)
	ds_bpermute_b32 v2, v2, v1
	s_cmp_eq_u32 s0, 1
	s_waitcnt lgkmcnt(0)
	v_add_f32_e32 v1, v1, v2
	ds_bpermute_b32 v2, v3, v1
	v_cvt_f32_f16_e32 v3, v7
	v_cvt_f32_f16_e32 v7, v10
	s_delay_alu instid0(VALU_DEP_2) | instskip(SKIP_4) | instid1(VALU_DEP_1)
	v_add_f32_e32 v3, 0, v3
	s_waitcnt lgkmcnt(0)
	v_add_f32_e32 v1, v1, v2
	ds_bpermute_b32 v2, v4, v1
	v_cvt_f32_f16_e32 v4, v8
	v_add_f32_e32 v3, v3, v4
	ds_load_u16 v4, v18 offset:896
	s_waitcnt lgkmcnt(1)
	v_add_f32_e32 v1, v1, v2
	ds_bpermute_b32 v2, v6, v1
	v_cvt_f32_f16_e32 v6, v9
	s_waitcnt lgkmcnt(1)
	v_cvt_f32_f16_e32 v4, v4
	s_delay_alu instid0(VALU_DEP_2) | instskip(SKIP_1) | instid1(VALU_DEP_2)
	v_add_f32_e32 v3, v3, v6
	v_cvt_f32_f16_e32 v6, v12
	v_add_f32_e32 v3, v3, v7
	s_waitcnt lgkmcnt(0)
	v_add_f32_e32 v1, v1, v2
	v_cvt_f32_f16_e32 v2, v11
	ds_bpermute_b32 v5, v5, v1
	v_add_f32_e32 v2, v3, v2
	v_cvt_f32_f16_e32 v3, v13
	s_waitcnt lgkmcnt(0)
	s_delay_alu instid0(VALU_DEP_2) | instskip(NEXT) | instid1(VALU_DEP_1)
	v_dual_add_f32 v1, v1, v5 :: v_dual_add_f32 v2, v2, v6
	v_add_f32_e32 v2, v2, v3
	s_delay_alu instid0(VALU_DEP_1) | instskip(NEXT) | instid1(VALU_DEP_1)
	v_add_f32_e32 v4, v2, v4
	v_div_scale_f32 v2, null, v1, v1, v4
	v_div_scale_f32 v6, vcc_lo, v4, v1, v4
	s_delay_alu instid0(VALU_DEP_2) | instskip(SKIP_2) | instid1(VALU_DEP_1)
	v_rcp_f32_e32 v3, v2
	s_waitcnt_depctr 0xfff
	v_fma_f32 v5, -v2, v3, 1.0
	v_fmac_f32_e32 v3, v5, v3
	s_delay_alu instid0(VALU_DEP_1) | instskip(NEXT) | instid1(VALU_DEP_1)
	v_mul_f32_e32 v5, v6, v3
	v_fma_f32 v7, -v2, v5, v6
	s_delay_alu instid0(VALU_DEP_1) | instskip(SKIP_1) | instid1(VALU_DEP_2)
	v_fmac_f32_e32 v5, v7, v3
	v_mov_b32_e32 v7, s0
	v_fma_f32 v2, -v2, v5, v6
	s_delay_alu instid0(VALU_DEP_1)
	v_div_fmas_f32 v2, v2, v3, v5
	s_cselect_b32 vcc_lo, -1, 0
	s_add_i32 s1, s3, s13
	v_mov_b32_e32 v3, 0
	s_mul_i32 s1, s1, s35
	v_div_fixup_f32 v5, v2, v1, v4
	s_add_i32 s1, s1, s36
	s_delay_alu instid0(SALU_CYCLE_1) | instskip(NEXT) | instid1(SALU_CYCLE_1)
	s_mul_i32 s1, s0, s1
	s_add_i32 s1, s1, s14
	s_delay_alu instid0(VALU_DEP_1) | instskip(SKIP_1) | instid1(VALU_DEP_1)
	v_cndmask_b32_e32 v4, v4, v5, vcc_lo
	v_lshl_or_b32 v2, s1, 6, v17
	v_lshlrev_b64 v[2:3], 2, v[2:3]
	s_delay_alu instid0(VALU_DEP_1) | instskip(NEXT) | instid1(VALU_DEP_2)
	v_add_co_u32 v2, vcc_lo, s28, v2
	v_add_co_ci_u32_e32 v3, vcc_lo, s29, v3, vcc_lo
	global_store_b32 v[2:3], v4, off
.LBB0_37:
	s_or_b32 exec_lo, exec_lo, s2
	v_cmp_ne_u32_e32 vcc_lo, 1, v7
	v_cmp_eq_u32_e64 s0, 0, v17
	s_delay_alu instid0(VALU_DEP_1) | instskip(NEXT) | instid1(SALU_CYCLE_1)
	s_and_b32 s0, s0, vcc_lo
	s_and_saveexec_b32 s1, s0
	s_cbranch_execz .LBB0_39
; %bb.38:
	s_add_i32 s0, s3, s13
	s_delay_alu instid0(SALU_CYCLE_1) | instskip(NEXT) | instid1(SALU_CYCLE_1)
	s_mul_i32 s0, s0, s35
	s_add_i32 s0, s0, s36
	s_delay_alu instid0(SALU_CYCLE_1) | instskip(SKIP_1) | instid1(VALU_DEP_1)
	v_mad_u64_u32 v[2:3], null, v7, s0, s[14:15]
	v_mov_b32_e32 v3, 0
	v_lshlrev_b64 v[2:3], 3, v[2:3]
	s_delay_alu instid0(VALU_DEP_1) | instskip(NEXT) | instid1(VALU_DEP_2)
	v_add_co_u32 v2, vcc_lo, s30, v2
	v_add_co_ci_u32_e32 v3, vcc_lo, s31, v3, vcc_lo
	global_store_b64 v[2:3], v[0:1], off
.LBB0_39:
	s_nop 0
	s_sendmsg sendmsg(MSG_DEALLOC_VGPRS)
	s_endpgm
	.section	.rodata,"a",@progbits
	.p2align	6, 0x0
	.amdhsa_kernel _ZL18flash_attn_ext_vecILi64ELi1EL9ggml_type3ELS0_3ELb0EEvPKcS2_S2_S2_S2_PKiPfP15HIP_vector_typeIfLj2EEffffjfiS6_IjLj3EEiiiiiiiiiiiliiliiiiil
		.amdhsa_group_segment_fixed_size 1280
		.amdhsa_private_segment_fixed_size 0
		.amdhsa_kernarg_size 464
		.amdhsa_user_sgpr_count 13
		.amdhsa_user_sgpr_dispatch_ptr 0
		.amdhsa_user_sgpr_queue_ptr 0
		.amdhsa_user_sgpr_kernarg_segment_ptr 1
		.amdhsa_user_sgpr_dispatch_id 0
		.amdhsa_user_sgpr_private_segment_size 0
		.amdhsa_wavefront_size32 1
		.amdhsa_uses_dynamic_stack 0
		.amdhsa_enable_private_segment 0
		.amdhsa_system_sgpr_workgroup_id_x 1
		.amdhsa_system_sgpr_workgroup_id_y 1
		.amdhsa_system_sgpr_workgroup_id_z 1
		.amdhsa_system_sgpr_workgroup_info 0
		.amdhsa_system_vgpr_workitem_id 1
		.amdhsa_next_free_vgpr 133
		.amdhsa_next_free_sgpr 48
		.amdhsa_reserve_vcc 1
		.amdhsa_float_round_mode_32 0
		.amdhsa_float_round_mode_16_64 0
		.amdhsa_float_denorm_mode_32 3
		.amdhsa_float_denorm_mode_16_64 3
		.amdhsa_dx10_clamp 1
		.amdhsa_ieee_mode 1
		.amdhsa_fp16_overflow 0
		.amdhsa_workgroup_processor_mode 1
		.amdhsa_memory_ordered 1
		.amdhsa_forward_progress 0
		.amdhsa_shared_vgpr_count 0
		.amdhsa_exception_fp_ieee_invalid_op 0
		.amdhsa_exception_fp_denorm_src 0
		.amdhsa_exception_fp_ieee_div_zero 0
		.amdhsa_exception_fp_ieee_overflow 0
		.amdhsa_exception_fp_ieee_underflow 0
		.amdhsa_exception_fp_ieee_inexact 0
		.amdhsa_exception_int_div_zero 0
	.end_amdhsa_kernel
	.section	.text._ZL18flash_attn_ext_vecILi64ELi1EL9ggml_type3ELS0_3ELb0EEvPKcS2_S2_S2_S2_PKiPfP15HIP_vector_typeIfLj2EEffffjfiS6_IjLj3EEiiiiiiiiiiiliiliiiiil,"axG",@progbits,_ZL18flash_attn_ext_vecILi64ELi1EL9ggml_type3ELS0_3ELb0EEvPKcS2_S2_S2_S2_PKiPfP15HIP_vector_typeIfLj2EEffffjfiS6_IjLj3EEiiiiiiiiiiiliiliiiiil,comdat
.Lfunc_end0:
	.size	_ZL18flash_attn_ext_vecILi64ELi1EL9ggml_type3ELS0_3ELb0EEvPKcS2_S2_S2_S2_PKiPfP15HIP_vector_typeIfLj2EEffffjfiS6_IjLj3EEiiiiiiiiiiiliiliiiiil, .Lfunc_end0-_ZL18flash_attn_ext_vecILi64ELi1EL9ggml_type3ELS0_3ELb0EEvPKcS2_S2_S2_S2_PKiPfP15HIP_vector_typeIfLj2EEffffjfiS6_IjLj3EEiiiiiiiiiiiliiliiiiil
                                        ; -- End function
	.section	.AMDGPU.csdata,"",@progbits
; Kernel info:
; codeLenInByte = 11428
; NumSgprs: 50
; NumVgprs: 133
; ScratchSize: 0
; MemoryBound: 0
; FloatMode: 240
; IeeeMode: 1
; LDSByteSize: 1280 bytes/workgroup (compile time only)
; SGPRBlocks: 6
; VGPRBlocks: 16
; NumSGPRsForWavesPerEU: 50
; NumVGPRsForWavesPerEU: 133
; Occupancy: 10
; WaveLimiterHint : 0
; COMPUTE_PGM_RSRC2:SCRATCH_EN: 0
; COMPUTE_PGM_RSRC2:USER_SGPR: 13
; COMPUTE_PGM_RSRC2:TRAP_HANDLER: 0
; COMPUTE_PGM_RSRC2:TGID_X_EN: 1
; COMPUTE_PGM_RSRC2:TGID_Y_EN: 1
; COMPUTE_PGM_RSRC2:TGID_Z_EN: 1
; COMPUTE_PGM_RSRC2:TIDIG_COMP_CNT: 1
	.section	.text._ZL25flash_attn_mask_to_KV_maxILi1EEvPK7__half2Piiii,"axG",@progbits,_ZL25flash_attn_mask_to_KV_maxILi1EEvPK7__half2Piiii,comdat
	.globl	_ZL25flash_attn_mask_to_KV_maxILi1EEvPK7__half2Piiii ; -- Begin function _ZL25flash_attn_mask_to_KV_maxILi1EEvPK7__half2Piiii
	.p2align	8
	.type	_ZL25flash_attn_mask_to_KV_maxILi1EEvPK7__half2Piiii,@function
_ZL25flash_attn_mask_to_KV_maxILi1EEvPK7__half2Piiii: ; @_ZL25flash_attn_mask_to_KV_maxILi1EEvPK7__half2Piiii
; %bb.0:
	s_load_b128 s[4:7], s[0:1], 0x0
	s_mov_b32 s2, exec_lo
	v_cmpx_gt_u32_e32 32, v0
	s_cbranch_execz .LBB1_2
; %bb.1:
	v_dual_mov_b32 v2, 1 :: v_dual_lshlrev_b32 v1, 2, v0
	ds_store_b32 v1, v2
.LBB1_2:
	s_or_b32 exec_lo, exec_lo, s2
	s_clause 0x1
	s_load_b128 s[8:11], s[0:1], 0x10
	s_load_b32 s1, s[0:1], 0x20
	v_dual_mov_b32 v2, 0 :: v_dual_and_b32 v1, 31, v0
	v_lshrrev_b32_e32 v3, 3, v0
	s_waitcnt lgkmcnt(0)
	s_barrier
	s_delay_alu instid0(VALU_DEP_2) | instskip(SKIP_3) | instid1(SALU_CYCLE_1)
	v_lshlrev_b32_e32 v4, 2, v1
	buffer_gl0_inv
	s_mul_i32 s0, s15, s10
	s_mul_i32 s2, s14, s9
	s_add_i32 s2, s0, s2
	v_cmp_eq_u32_e64 s0, 0, v1
	s_ashr_i32 s3, s2, 31
	s_delay_alu instid0(SALU_CYCLE_1) | instskip(NEXT) | instid1(SALU_CYCLE_1)
	s_lshl_b64 s[10:11], s[2:3], 2
	s_add_u32 s3, s4, s10
	s_addc_u32 s4, s5, s11
	s_lshl_b32 s5, s8, 8
	s_branch .LBB1_4
	.p2align	6
.LBB1_3:                                ;   in Loop: Header=BB1_4 Depth=1
	s_or_b32 exec_lo, exec_lo, s9
	s_waitcnt lgkmcnt(0)
	s_barrier
	buffer_gl0_inv
	ds_load_b32 v1, v4
	s_waitcnt lgkmcnt(0)
	s_barrier
	buffer_gl0_inv
	;;#ASMSTART
	;;#ASMEND
	v_cmp_ne_u32_e32 vcc_lo, 0, v1
	s_cmp_lg_u32 vcc_lo, exec_lo
	s_cselect_b32 s8, -1, 0
	s_delay_alu instid0(SALU_CYCLE_1)
	s_and_b32 vcc_lo, exec_lo, s8
	s_cbranch_vccnz .LBB1_8
.LBB1_4:                                ; =>This Inner Loop Header: Depth=1
	s_mov_b32 s2, s5
	s_addk_i32 s5, 0xff00
	s_delay_alu instid0(SALU_CYCLE_1)
	s_cmp_lt_i32 s5, 0
	s_cbranch_scc1 .LBB1_7
; %bb.5:                                ;   in Loop: Header=BB1_4 Depth=1
	s_lshr_b32 s9, s5, 1
	s_mov_b32 s8, exec_lo
	v_add_nc_u32_e32 v1, s9, v0
	s_delay_alu instid0(VALU_DEP_1) | instskip(NEXT) | instid1(VALU_DEP_1)
	v_lshlrev_b64 v[5:6], 2, v[1:2]
	v_add_co_u32 v5, vcc_lo, s3, v5
	s_delay_alu instid0(VALU_DEP_2) | instskip(SKIP_4) | instid1(VALU_DEP_2)
	v_add_co_ci_u32_e32 v6, vcc_lo, s4, v6, vcc_lo
	global_load_b32 v1, v[5:6], off
	s_waitcnt vmcnt(0)
	v_lshrrev_b32_e32 v5, 16, v1
	v_cmp_class_f16_e64 s9, v1, 0x204
	v_and_b32_e32 v5, 0x7fff, v5
	s_delay_alu instid0(VALU_DEP_1) | instskip(NEXT) | instid1(VALU_DEP_3)
	v_cmp_eq_f16_e32 vcc_lo, 0x7c00, v5
	s_and_b32 s9, s9, vcc_lo
	s_delay_alu instid0(SALU_CYCLE_1) | instskip(SKIP_1) | instid1(VALU_DEP_1)
	v_cndmask_b32_e64 v1, 0, 1, s9
	;;#ASMSTART
	;;#ASMEND
	v_cmp_ne_u32_e32 vcc_lo, 0, v1
	s_and_saveexec_b32 s9, s0
	s_cbranch_execz .LBB1_3
; %bb.6:                                ;   in Loop: Header=BB1_4 Depth=1
	s_cmp_eq_u32 vcc_lo, s8
	s_cselect_b32 s8, -1, 0
	s_delay_alu instid0(SALU_CYCLE_1)
	v_cndmask_b32_e64 v1, 0, 1, s8
	ds_store_b32 v3, v1
	s_branch .LBB1_3
.LBB1_7:                                ;   in Loop: Header=BB1_4 Depth=1
                                        ; implicit-def: $sgpr5
	s_cbranch_execz .LBB1_4
.LBB1_8:
	s_mov_b32 s0, exec_lo
	v_cmpx_eq_u32_e32 0, v0
	s_cbranch_execz .LBB1_10
; %bb.9:
	s_mul_i32 s0, s1, s15
	v_dual_mov_b32 v0, 0 :: v_dual_mov_b32 v1, s2
	s_add_i32 s0, s0, s14
	s_delay_alu instid0(SALU_CYCLE_1) | instskip(NEXT) | instid1(SALU_CYCLE_1)
	s_ashr_i32 s1, s0, 31
	s_lshl_b64 s[0:1], s[0:1], 2
	s_delay_alu instid0(SALU_CYCLE_1)
	s_add_u32 s0, s6, s0
	s_addc_u32 s1, s7, s1
	global_store_b32 v0, v1, s[0:1]
.LBB1_10:
	s_nop 0
	s_sendmsg sendmsg(MSG_DEALLOC_VGPRS)
	s_endpgm
	.section	.rodata,"a",@progbits
	.p2align	6, 0x0
	.amdhsa_kernel _ZL25flash_attn_mask_to_KV_maxILi1EEvPK7__half2Piiii
		.amdhsa_group_segment_fixed_size 128
		.amdhsa_private_segment_fixed_size 0
		.amdhsa_kernarg_size 288
		.amdhsa_user_sgpr_count 14
		.amdhsa_user_sgpr_dispatch_ptr 0
		.amdhsa_user_sgpr_queue_ptr 0
		.amdhsa_user_sgpr_kernarg_segment_ptr 1
		.amdhsa_user_sgpr_dispatch_id 0
		.amdhsa_user_sgpr_private_segment_size 0
		.amdhsa_wavefront_size32 1
		.amdhsa_uses_dynamic_stack 0
		.amdhsa_enable_private_segment 0
		.amdhsa_system_sgpr_workgroup_id_x 1
		.amdhsa_system_sgpr_workgroup_id_y 1
		.amdhsa_system_sgpr_workgroup_id_z 0
		.amdhsa_system_sgpr_workgroup_info 0
		.amdhsa_system_vgpr_workitem_id 0
		.amdhsa_next_free_vgpr 7
		.amdhsa_next_free_sgpr 16
		.amdhsa_reserve_vcc 1
		.amdhsa_float_round_mode_32 0
		.amdhsa_float_round_mode_16_64 0
		.amdhsa_float_denorm_mode_32 3
		.amdhsa_float_denorm_mode_16_64 3
		.amdhsa_dx10_clamp 1
		.amdhsa_ieee_mode 1
		.amdhsa_fp16_overflow 0
		.amdhsa_workgroup_processor_mode 1
		.amdhsa_memory_ordered 1
		.amdhsa_forward_progress 0
		.amdhsa_shared_vgpr_count 0
		.amdhsa_exception_fp_ieee_invalid_op 0
		.amdhsa_exception_fp_denorm_src 0
		.amdhsa_exception_fp_ieee_div_zero 0
		.amdhsa_exception_fp_ieee_overflow 0
		.amdhsa_exception_fp_ieee_underflow 0
		.amdhsa_exception_fp_ieee_inexact 0
		.amdhsa_exception_int_div_zero 0
	.end_amdhsa_kernel
	.section	.text._ZL25flash_attn_mask_to_KV_maxILi1EEvPK7__half2Piiii,"axG",@progbits,_ZL25flash_attn_mask_to_KV_maxILi1EEvPK7__half2Piiii,comdat
.Lfunc_end1:
	.size	_ZL25flash_attn_mask_to_KV_maxILi1EEvPK7__half2Piiii, .Lfunc_end1-_ZL25flash_attn_mask_to_KV_maxILi1EEvPK7__half2Piiii
                                        ; -- End function
	.section	.AMDGPU.csdata,"",@progbits
; Kernel info:
; codeLenInByte = 456
; NumSgprs: 18
; NumVgprs: 7
; ScratchSize: 0
; MemoryBound: 0
; FloatMode: 240
; IeeeMode: 1
; LDSByteSize: 128 bytes/workgroup (compile time only)
; SGPRBlocks: 2
; VGPRBlocks: 0
; NumSGPRsForWavesPerEU: 18
; NumVGPRsForWavesPerEU: 7
; Occupancy: 16
; WaveLimiterHint : 0
; COMPUTE_PGM_RSRC2:SCRATCH_EN: 0
; COMPUTE_PGM_RSRC2:USER_SGPR: 14
; COMPUTE_PGM_RSRC2:TRAP_HANDLER: 0
; COMPUTE_PGM_RSRC2:TGID_X_EN: 1
; COMPUTE_PGM_RSRC2:TGID_Y_EN: 1
; COMPUTE_PGM_RSRC2:TGID_Z_EN: 0
; COMPUTE_PGM_RSRC2:TIDIG_COMP_CNT: 0
	.section	.text._ZL33flash_attn_stream_k_fixup_uniformILi64ELi1ELi1EEvPfPK15HIP_vector_typeIfLj2EEiiiiiiS1_IjLj3EES5_S5_,"axG",@progbits,_ZL33flash_attn_stream_k_fixup_uniformILi64ELi1ELi1EEvPfPK15HIP_vector_typeIfLj2EEiiiiiiS1_IjLj3EES5_S5_,comdat
	.globl	_ZL33flash_attn_stream_k_fixup_uniformILi64ELi1ELi1EEvPfPK15HIP_vector_typeIfLj2EEiiiiiiS1_IjLj3EES5_S5_ ; -- Begin function _ZL33flash_attn_stream_k_fixup_uniformILi64ELi1ELi1EEvPfPK15HIP_vector_typeIfLj2EEiiiiiiS1_IjLj3EES5_S5_
	.p2align	8
	.type	_ZL33flash_attn_stream_k_fixup_uniformILi64ELi1ELi1EEvPfPK15HIP_vector_typeIfLj2EEiiiiiiS1_IjLj3EES5_S5_,@function
_ZL33flash_attn_stream_k_fixup_uniformILi64ELi1ELi1EEvPfPK15HIP_vector_typeIfLj2EEiiiiiiS1_IjLj3EES5_S5_: ; @_ZL33flash_attn_stream_k_fixup_uniformILi64ELi1ELi1EEvPfPK15HIP_vector_typeIfLj2EEiiiiiiS1_IjLj3EES5_S5_
; %bb.0:
	s_clause 0x1
	s_load_b256 s[4:11], s[0:1], 0x1c
	s_load_b128 s[16:19], s[0:1], 0x3c
	s_waitcnt lgkmcnt(0)
	s_mul_hi_u32 s2, s7, s13
	s_delay_alu instid0(SALU_CYCLE_1) | instskip(NEXT) | instid1(SALU_CYCLE_1)
	s_add_i32 s2, s13, s2
	s_lshr_b32 s7, s2, s8
	s_delay_alu instid0(SALU_CYCLE_1) | instskip(SKIP_2) | instid1(SALU_CYCLE_1)
	s_mul_i32 s2, s7, s9
	s_load_b64 s[8:9], s[0:1], 0x10
	s_sub_i32 s2, s13, s2
	s_mul_hi_u32 s3, s2, s10
	s_delay_alu instid0(SALU_CYCLE_1) | instskip(NEXT) | instid1(SALU_CYCLE_1)
	s_add_i32 s3, s2, s3
	s_lshr_b32 s10, s3, s11
	s_delay_alu instid0(SALU_CYCLE_1) | instskip(NEXT) | instid1(SALU_CYCLE_1)
	s_mul_i32 s3, s10, s16
	s_sub_i32 s2, s2, s3
	s_delay_alu instid0(SALU_CYCLE_1) | instskip(NEXT) | instid1(SALU_CYCLE_1)
	s_mul_hi_u32 s3, s2, s17
	s_add_i32 s3, s2, s3
	s_delay_alu instid0(SALU_CYCLE_1) | instskip(NEXT) | instid1(SALU_CYCLE_1)
	s_lshr_b32 s12, s3, s18
	s_mul_i32 s3, s12, s19
	s_delay_alu instid0(SALU_CYCLE_1) | instskip(NEXT) | instid1(SALU_CYCLE_1)
	s_sub_i32 s11, s2, s3
	s_add_i32 s11, s11, s14
	s_waitcnt lgkmcnt(0)
	s_cmp_lt_i32 s11, s8
	s_cselect_b32 s2, -1, 0
	s_add_i32 s12, s12, s15
	s_delay_alu instid0(SALU_CYCLE_1) | instskip(SKIP_1) | instid1(SALU_CYCLE_1)
	s_cmp_lt_i32 s12, s5
	s_cselect_b32 s3, -1, 0
	s_and_b32 s2, s2, s3
	s_delay_alu instid0(SALU_CYCLE_1)
	s_and_not1_b32 vcc_lo, exec_lo, s2
	s_cbranch_vccnz .LBB2_6
; %bb.1:
	s_mul_i32 s7, s7, s8
	s_mul_i32 s10, s10, s5
	s_add_i32 s5, s11, s7
	s_load_b128 s[0:3], s[0:1], 0x0
	s_add_i32 s7, s12, s10
	s_mul_i32 s5, s5, s9
	s_delay_alu instid0(SALU_CYCLE_1) | instskip(SKIP_4) | instid1(SALU_CYCLE_1)
	s_add_i32 s7, s7, s5
	s_mul_i32 s5, s13, s6
	v_lshl_or_b32 v1, s7, 6, v0
	s_add_i32 s7, s14, s15
	s_add_i32 s6, s5, s6
	;; [unrolled: 1-line block ×3, first 2 shown]
	s_delay_alu instid0(VALU_DEP_1) | instskip(NEXT) | instid1(VALU_DEP_1)
	v_ashrrev_i32_e32 v2, 31, v1
	v_lshlrev_b64 v[1:2], 2, v[1:2]
	s_waitcnt lgkmcnt(0)
	s_delay_alu instid0(VALU_DEP_1) | instskip(NEXT) | instid1(VALU_DEP_2)
	v_add_co_u32 v1, vcc_lo, s0, v1
	v_add_co_ci_u32_e32 v2, vcc_lo, s1, v2, vcc_lo
	s_add_i32 s0, s8, -1
	s_delay_alu instid0(SALU_CYCLE_1) | instskip(SKIP_2) | instid1(SALU_CYCLE_1)
	s_ashr_i32 s1, s0, 31
	global_load_b32 v5, v[1:2], off
	s_lshl_b64 s[0:1], s[0:1], 3
	s_add_u32 s0, s2, s0
	s_addc_u32 s1, s3, s1
	s_add_i32 s10, s6, -2
	s_load_b32 s9, s[0:1], 0x4
	s_cmp_lt_i32 s10, s5
	s_cbranch_scc1 .LBB2_4
; %bb.2:
	s_load_b32 s10, s[0:1], 0x0
	v_lshl_or_b32 v0, s8, 6, v0
	s_lshl_b32 s0, s4, 2
	s_waitcnt lgkmcnt(0)
	v_mov_b32_e32 v6, s9
	s_ashr_i32 s1, s0, 31
	s_delay_alu instid0(SALU_CYCLE_1)
	s_lshl_b64 s[0:1], s[0:1], 2
	v_add_nc_u32_e32 v3, 0xffffff80, v0
	s_add_u32 s0, s2, s0
	s_addc_u32 s1, s3, s1
	s_add_i32 s6, s6, -1
	s_add_i32 s4, s7, s4
	v_mov_b32_e32 v0, s10
.LBB2_3:                                ; =>This Inner Loop Header: Depth=1
	v_ashrrev_i32_e32 v4, 31, v3
	s_add_i32 s6, s6, -1
	s_delay_alu instid0(SALU_CYCLE_1) | instskip(NEXT) | instid1(SALU_CYCLE_1)
	s_add_i32 s8, s6, s4
	s_ashr_i32 s9, s8, 31
	s_delay_alu instid0(VALU_DEP_1)
	v_lshlrev_b64 v[7:8], 2, v[3:4]
	s_lshl_b64 s[8:9], s[8:9], 3
	v_subrev_nc_u32_e32 v3, 64, v3
	s_add_u32 s8, s2, s8
	s_addc_u32 s9, s3, s9
	s_cmp_le_i32 s6, s5
	v_add_co_u32 v7, vcc_lo, s0, v7
	v_add_co_ci_u32_e32 v8, vcc_lo, s1, v8, vcc_lo
	s_load_b64 s[8:9], s[8:9], 0x0
	global_load_b32 v4, v[7:8], off
	v_max_f32_e32 v7, v0, v0
	s_waitcnt lgkmcnt(0)
	v_max_f32_e64 v8, s8, s8
	s_delay_alu instid0(VALU_DEP_1) | instskip(NEXT) | instid1(VALU_DEP_1)
	v_max_f32_e32 v7, v7, v8
	v_sub_f32_e32 v8, s8, v7
	s_delay_alu instid0(VALU_DEP_1) | instskip(NEXT) | instid1(VALU_DEP_1)
	v_dual_sub_f32 v0, v0, v7 :: v_dual_mul_f32 v9, 0x3fb8aa3b, v8
	v_fma_f32 v10, 0x3fb8aa3b, v8, -v9
	v_rndne_f32_e32 v11, v9
	s_delay_alu instid0(VALU_DEP_3) | instskip(NEXT) | instid1(VALU_DEP_2)
	v_mul_f32_e32 v12, 0x3fb8aa3b, v0
	v_dual_fmac_f32 v10, 0x32a5705f, v8 :: v_dual_sub_f32 v9, v9, v11
	v_cvt_i32_f32_e32 v11, v11
	s_delay_alu instid0(VALU_DEP_3) | instskip(SKIP_1) | instid1(VALU_DEP_4)
	v_fma_f32 v13, 0x3fb8aa3b, v0, -v12
	v_rndne_f32_e32 v14, v12
	v_add_f32_e32 v9, v9, v10
	v_cmp_ngt_f32_e32 vcc_lo, 0xc2ce8ed0, v8
	s_delay_alu instid0(VALU_DEP_3) | instskip(NEXT) | instid1(VALU_DEP_3)
	v_sub_f32_e32 v10, v12, v14
	v_exp_f32_e32 v9, v9
	s_waitcnt_depctr 0xfff
	v_ldexp_f32 v9, v9, v11
	v_cvt_i32_f32_e32 v11, v14
	s_delay_alu instid0(VALU_DEP_2) | instskip(SKIP_1) | instid1(VALU_DEP_2)
	v_cndmask_b32_e32 v9, 0, v9, vcc_lo
	v_cmp_nlt_f32_e32 vcc_lo, 0x42b17218, v8
	v_cndmask_b32_e32 v9, 0x7f800000, v9, vcc_lo
	v_cmp_ngt_f32_e32 vcc_lo, 0xc2ce8ed0, v0
	v_fmac_f32_e32 v13, 0x32a5705f, v0
	s_delay_alu instid0(VALU_DEP_1) | instskip(NEXT) | instid1(VALU_DEP_1)
	v_add_f32_e32 v10, v10, v13
	v_exp_f32_e32 v10, v10
	s_waitcnt_depctr 0xfff
	v_ldexp_f32 v10, v10, v11
	s_delay_alu instid0(VALU_DEP_1)
	v_dual_mov_b32 v11, v6 :: v_dual_cndmask_b32 v10, 0, v10
	v_cmp_le_f32_e32 vcc_lo, 0xc1a00000, v8
	s_waitcnt vmcnt(1)
	v_dual_cndmask_b32 v8, 0, v9 :: v_dual_mov_b32 v9, v5
	v_cmp_nlt_f32_e32 vcc_lo, 0x42b17218, v0
	v_cndmask_b32_e32 v5, 0x7f800000, v10, vcc_lo
	s_delay_alu instid0(VALU_DEP_3) | instskip(SKIP_2) | instid1(VALU_DEP_3)
	v_mul_f32_e32 v10, s9, v8
	v_cmp_le_f32_e32 vcc_lo, 0xc1a00000, v0
	v_mov_b32_e32 v0, v7
	v_mov_b32_e32 v6, v10
	s_waitcnt vmcnt(0)
	v_dual_cndmask_b32 v12, 0, v5 :: v_dual_mul_f32 v5, v4, v8
	s_delay_alu instid0(VALU_DEP_1) | instskip(NEXT) | instid1(VALU_DEP_2)
	v_fmac_f32_e32 v6, v11, v12
	v_fmac_f32_e32 v5, v9, v12
	s_cbranch_scc0 .LBB2_3
	s_branch .LBB2_5
.LBB2_4:
	s_waitcnt lgkmcnt(0)
	v_mov_b32_e32 v6, s9
.LBB2_5:
	s_waitcnt vmcnt(0)
	s_delay_alu instid0(VALU_DEP_1) | instskip(NEXT) | instid1(VALU_DEP_1)
	v_div_scale_f32 v0, null, v6, v6, v5
	v_rcp_f32_e32 v3, v0
	s_waitcnt_depctr 0xfff
	v_fma_f32 v4, -v0, v3, 1.0
	s_delay_alu instid0(VALU_DEP_1) | instskip(SKIP_1) | instid1(VALU_DEP_1)
	v_fmac_f32_e32 v3, v4, v3
	v_div_scale_f32 v4, vcc_lo, v5, v6, v5
	v_mul_f32_e32 v7, v4, v3
	s_delay_alu instid0(VALU_DEP_1) | instskip(NEXT) | instid1(VALU_DEP_1)
	v_fma_f32 v8, -v0, v7, v4
	v_fmac_f32_e32 v7, v8, v3
	s_delay_alu instid0(VALU_DEP_1) | instskip(NEXT) | instid1(VALU_DEP_1)
	v_fma_f32 v0, -v0, v7, v4
	v_div_fmas_f32 v0, v0, v3, v7
	s_delay_alu instid0(VALU_DEP_1)
	v_div_fixup_f32 v0, v0, v6, v5
	global_store_b32 v[1:2], v0, off
.LBB2_6:
	s_nop 0
	s_sendmsg sendmsg(MSG_DEALLOC_VGPRS)
	s_endpgm
	.section	.rodata,"a",@progbits
	.p2align	6, 0x0
	.amdhsa_kernel _ZL33flash_attn_stream_k_fixup_uniformILi64ELi1ELi1EEvPfPK15HIP_vector_typeIfLj2EEiiiiiiS1_IjLj3EES5_S5_
		.amdhsa_group_segment_fixed_size 0
		.amdhsa_private_segment_fixed_size 0
		.amdhsa_kernarg_size 76
		.amdhsa_user_sgpr_count 13
		.amdhsa_user_sgpr_dispatch_ptr 0
		.amdhsa_user_sgpr_queue_ptr 0
		.amdhsa_user_sgpr_kernarg_segment_ptr 1
		.amdhsa_user_sgpr_dispatch_id 0
		.amdhsa_user_sgpr_private_segment_size 0
		.amdhsa_wavefront_size32 1
		.amdhsa_uses_dynamic_stack 0
		.amdhsa_enable_private_segment 0
		.amdhsa_system_sgpr_workgroup_id_x 1
		.amdhsa_system_sgpr_workgroup_id_y 1
		.amdhsa_system_sgpr_workgroup_id_z 1
		.amdhsa_system_sgpr_workgroup_info 0
		.amdhsa_system_vgpr_workitem_id 0
		.amdhsa_next_free_vgpr 15
		.amdhsa_next_free_sgpr 20
		.amdhsa_reserve_vcc 1
		.amdhsa_float_round_mode_32 0
		.amdhsa_float_round_mode_16_64 0
		.amdhsa_float_denorm_mode_32 3
		.amdhsa_float_denorm_mode_16_64 3
		.amdhsa_dx10_clamp 1
		.amdhsa_ieee_mode 1
		.amdhsa_fp16_overflow 0
		.amdhsa_workgroup_processor_mode 1
		.amdhsa_memory_ordered 1
		.amdhsa_forward_progress 0
		.amdhsa_shared_vgpr_count 0
		.amdhsa_exception_fp_ieee_invalid_op 0
		.amdhsa_exception_fp_denorm_src 0
		.amdhsa_exception_fp_ieee_div_zero 0
		.amdhsa_exception_fp_ieee_overflow 0
		.amdhsa_exception_fp_ieee_underflow 0
		.amdhsa_exception_fp_ieee_inexact 0
		.amdhsa_exception_int_div_zero 0
	.end_amdhsa_kernel
	.section	.text._ZL33flash_attn_stream_k_fixup_uniformILi64ELi1ELi1EEvPfPK15HIP_vector_typeIfLj2EEiiiiiiS1_IjLj3EES5_S5_,"axG",@progbits,_ZL33flash_attn_stream_k_fixup_uniformILi64ELi1ELi1EEvPfPK15HIP_vector_typeIfLj2EEiiiiiiS1_IjLj3EES5_S5_,comdat
.Lfunc_end2:
	.size	_ZL33flash_attn_stream_k_fixup_uniformILi64ELi1ELi1EEvPfPK15HIP_vector_typeIfLj2EEiiiiiiS1_IjLj3EES5_S5_, .Lfunc_end2-_ZL33flash_attn_stream_k_fixup_uniformILi64ELi1ELi1EEvPfPK15HIP_vector_typeIfLj2EEiiiiiiS1_IjLj3EES5_S5_
                                        ; -- End function
	.section	.AMDGPU.csdata,"",@progbits
; Kernel info:
; codeLenInByte = 908
; NumSgprs: 22
; NumVgprs: 15
; ScratchSize: 0
; MemoryBound: 0
; FloatMode: 240
; IeeeMode: 1
; LDSByteSize: 0 bytes/workgroup (compile time only)
; SGPRBlocks: 2
; VGPRBlocks: 1
; NumSGPRsForWavesPerEU: 22
; NumVGPRsForWavesPerEU: 15
; Occupancy: 16
; WaveLimiterHint : 0
; COMPUTE_PGM_RSRC2:SCRATCH_EN: 0
; COMPUTE_PGM_RSRC2:USER_SGPR: 13
; COMPUTE_PGM_RSRC2:TRAP_HANDLER: 0
; COMPUTE_PGM_RSRC2:TGID_X_EN: 1
; COMPUTE_PGM_RSRC2:TGID_Y_EN: 1
; COMPUTE_PGM_RSRC2:TGID_Z_EN: 1
; COMPUTE_PGM_RSRC2:TIDIG_COMP_CNT: 0
	.section	.text._ZL33flash_attn_stream_k_fixup_generalILi64ELi1ELi1EEvPfPK15HIP_vector_typeIfLj2EEiiiiS1_IjLj3EES5_S5_S5_,"axG",@progbits,_ZL33flash_attn_stream_k_fixup_generalILi64ELi1ELi1EEvPfPK15HIP_vector_typeIfLj2EEiiiiS1_IjLj3EES5_S5_S5_,comdat
	.globl	_ZL33flash_attn_stream_k_fixup_generalILi64ELi1ELi1EEvPfPK15HIP_vector_typeIfLj2EEiiiiS1_IjLj3EES5_S5_S5_ ; -- Begin function _ZL33flash_attn_stream_k_fixup_generalILi64ELi1ELi1EEvPfPK15HIP_vector_typeIfLj2EEiiiiS1_IjLj3EES5_S5_S5_
	.p2align	8
	.type	_ZL33flash_attn_stream_k_fixup_generalILi64ELi1ELi1EEvPfPK15HIP_vector_typeIfLj2EEiiiiS1_IjLj3EES5_S5_S5_,@function
_ZL33flash_attn_stream_k_fixup_generalILi64ELi1ELi1EEvPfPK15HIP_vector_typeIfLj2EEiiiiS1_IjLj3EES5_S5_S5_: ; @_ZL33flash_attn_stream_k_fixup_generalILi64ELi1ELi1EEvPfPK15HIP_vector_typeIfLj2EEiiiiS1_IjLj3EES5_S5_S5_
; %bb.0:
	s_clause 0x1
	s_load_b128 s[4:7], s[0:1], 0x10
	s_load_b32 s20, s[0:1], 0x50
	s_mov_b32 s2, 0
	s_waitcnt lgkmcnt(0)
	s_mul_hi_i32 s3, s7, s13
	s_mul_i32 s12, s7, s13
	s_cmp_lg_u64 s[2:3], 0
	s_cbranch_scc0 .LBB3_21
; %bb.1:
	v_cvt_f32_ubyte0_e32 v1, 0
	v_cvt_f32_u32_e32 v2, s20
	s_sub_u32 s10, 0, s20
	s_subb_u32 s11, 0, 0
	s_delay_alu instid0(VALU_DEP_1) | instskip(NEXT) | instid1(VALU_DEP_1)
	v_fmamk_f32 v1, v1, 0x4f800000, v2
	v_rcp_f32_e32 v1, v1
	s_waitcnt_depctr 0xfff
	v_mul_f32_e32 v1, 0x5f7ffffc, v1
	s_delay_alu instid0(VALU_DEP_1) | instskip(NEXT) | instid1(VALU_DEP_1)
	v_mul_f32_e32 v2, 0x2f800000, v1
	v_trunc_f32_e32 v2, v2
	s_delay_alu instid0(VALU_DEP_1) | instskip(SKIP_1) | instid1(VALU_DEP_2)
	v_fmamk_f32 v1, v2, 0xcf800000, v1
	v_cvt_u32_f32_e32 v2, v2
	v_cvt_u32_f32_e32 v1, v1
	s_delay_alu instid0(VALU_DEP_2) | instskip(NEXT) | instid1(VALU_DEP_2)
	v_readfirstlane_b32 s8, v2
	v_readfirstlane_b32 s9, v1
	s_delay_alu instid0(VALU_DEP_2) | instskip(NEXT) | instid1(VALU_DEP_1)
	s_mul_i32 s16, s10, s8
	s_mul_hi_u32 s18, s10, s9
	s_mul_i32 s17, s11, s9
	s_add_i32 s16, s18, s16
	s_mul_i32 s19, s10, s9
	s_add_i32 s16, s16, s17
	s_mul_hi_u32 s18, s9, s19
	s_mul_hi_u32 s21, s8, s19
	s_mul_i32 s17, s8, s19
	s_mul_hi_u32 s19, s9, s16
	s_mul_i32 s9, s9, s16
	s_mul_hi_u32 s22, s8, s16
	s_add_u32 s9, s18, s9
	s_addc_u32 s18, 0, s19
	s_add_u32 s9, s9, s17
	s_mul_i32 s16, s8, s16
	s_addc_u32 s9, s18, s21
	s_addc_u32 s17, s22, 0
	s_add_u32 s9, s9, s16
	s_addc_u32 s16, 0, s17
	v_add_co_u32 v1, s9, v1, s9
	s_delay_alu instid0(VALU_DEP_1) | instskip(SKIP_1) | instid1(VALU_DEP_1)
	s_cmp_lg_u32 s9, 0
	s_addc_u32 s8, s8, s16
	v_readfirstlane_b32 s9, v1
	s_mul_i32 s16, s10, s8
	s_delay_alu instid0(VALU_DEP_1)
	s_mul_hi_u32 s17, s10, s9
	s_mul_i32 s11, s11, s9
	s_add_i32 s16, s17, s16
	s_mul_i32 s10, s10, s9
	s_add_i32 s16, s16, s11
	s_mul_hi_u32 s17, s8, s10
	s_mul_i32 s18, s8, s10
	s_mul_hi_u32 s10, s9, s10
	s_mul_hi_u32 s19, s9, s16
	s_mul_i32 s9, s9, s16
	s_mul_hi_u32 s11, s8, s16
	s_add_u32 s9, s10, s9
	s_addc_u32 s10, 0, s19
	s_add_u32 s9, s9, s18
	s_mul_i32 s16, s8, s16
	s_addc_u32 s9, s10, s17
	s_addc_u32 s10, s11, 0
	s_add_u32 s9, s9, s16
	s_addc_u32 s10, 0, s10
	v_add_co_u32 v1, s9, v1, s9
	s_delay_alu instid0(VALU_DEP_1) | instskip(SKIP_2) | instid1(SALU_CYCLE_1)
	s_cmp_lg_u32 s9, 0
	s_addc_u32 s16, s8, s10
	s_ashr_i32 s8, s3, 31
	s_add_u32 s10, s12, s8
	s_addc_u32 s11, s3, s8
	v_readfirstlane_b32 s3, v1
	s_mov_b32 s9, s8
	s_delay_alu instid0(SALU_CYCLE_1) | instskip(NEXT) | instid1(SALU_CYCLE_1)
	s_xor_b64 s[10:11], s[10:11], s[8:9]
	s_mul_i32 s18, s10, s16
	s_delay_alu instid0(VALU_DEP_1)
	s_mul_hi_u32 s19, s10, s3
	s_mul_hi_u32 s17, s10, s16
	s_mul_hi_u32 s22, s11, s3
	s_mul_i32 s3, s11, s3
	s_add_u32 s18, s19, s18
	s_addc_u32 s17, 0, s17
	s_mul_hi_u32 s21, s11, s16
	s_add_u32 s3, s18, s3
	s_mul_i32 s16, s11, s16
	s_addc_u32 s3, s17, s22
	s_addc_u32 s17, s21, 0
	s_add_u32 s3, s3, s16
	s_addc_u32 s16, 0, s17
	s_mul_i32 s18, s20, s3
	s_add_u32 s17, s3, 1
	v_sub_co_u32 v1, s10, s10, s18
	s_mul_hi_u32 s18, s20, s3
	s_addc_u32 s19, s16, 0
	s_mul_i32 s21, s20, s16
	s_delay_alu instid0(VALU_DEP_1)
	v_sub_co_u32 v2, s22, v1, s20
	s_add_u32 s23, s3, 2
	s_addc_u32 s24, s16, 0
	s_add_i32 s18, s18, s21
	s_cmp_lg_u32 s10, 0
	v_readfirstlane_b32 s10, v2
	s_subb_u32 s11, s11, s18
	s_cmp_lg_u32 s22, 0
	s_subb_u32 s18, s11, 0
	s_delay_alu instid0(VALU_DEP_1) | instskip(SKIP_4) | instid1(SALU_CYCLE_1)
	s_cmp_ge_u32 s10, s20
	s_cselect_b32 s10, -1, 0
	s_cmp_eq_u32 s18, 0
	v_readfirstlane_b32 s18, v1
	s_cselect_b32 s10, s10, -1
	s_cmp_lg_u32 s10, 0
	s_cselect_b32 s10, s23, s17
	s_cselect_b32 s17, s24, s19
	s_cmp_ge_u32 s18, s20
	s_cselect_b32 s18, -1, 0
	s_cmp_eq_u32 s11, 0
	s_cselect_b32 s11, s18, -1
	s_delay_alu instid0(SALU_CYCLE_1) | instskip(SKIP_2) | instid1(SALU_CYCLE_1)
	s_cmp_lg_u32 s11, 0
	s_cselect_b32 s11, s17, s16
	s_cselect_b32 s10, s10, s3
	s_xor_b64 s[10:11], s[10:11], s[8:9]
	s_delay_alu instid0(SALU_CYCLE_1)
	s_sub_u32 s16, s10, s8
	s_load_b128 s[8:11], s[0:1], 0x44
	s_and_not1_b32 vcc_lo, exec_lo, s2
	s_cbranch_vccnz .LBB3_3
.LBB3_2:
	v_cvt_f32_u32_e32 v1, s20
	s_sub_i32 s3, 0, s20
	s_delay_alu instid0(VALU_DEP_1) | instskip(SKIP_2) | instid1(VALU_DEP_1)
	v_rcp_iflag_f32_e32 v1, v1
	s_waitcnt_depctr 0xfff
	v_mul_f32_e32 v1, 0x4f7ffffe, v1
	v_cvt_u32_f32_e32 v1, v1
	s_delay_alu instid0(VALU_DEP_1) | instskip(NEXT) | instid1(VALU_DEP_1)
	v_readfirstlane_b32 s2, v1
	s_mul_i32 s3, s3, s2
	s_delay_alu instid0(SALU_CYCLE_1) | instskip(NEXT) | instid1(SALU_CYCLE_1)
	s_mul_hi_u32 s3, s2, s3
	s_add_i32 s2, s2, s3
	s_delay_alu instid0(SALU_CYCLE_1) | instskip(NEXT) | instid1(SALU_CYCLE_1)
	s_mul_hi_u32 s2, s12, s2
	s_mul_i32 s3, s2, s20
	s_waitcnt lgkmcnt(0)
	s_add_i32 s11, s2, 1
	s_sub_i32 s3, s12, s3
	s_delay_alu instid0(SALU_CYCLE_1)
	s_sub_i32 s12, s3, s20
	s_cmp_ge_u32 s3, s20
	s_cselect_b32 s2, s11, s2
	s_cselect_b32 s3, s12, s3
	s_add_i32 s11, s2, 1
	s_cmp_ge_u32 s3, s20
	s_cselect_b32 s16, s11, s2
.LBB3_3:
	s_waitcnt lgkmcnt(0)
	s_add_i32 s11, s13, 1
	s_mov_b32 s2, 0
	s_mul_hi_i32 s3, s7, s11
	s_mul_i32 s11, s7, s11
	s_cmp_lg_u64 s[2:3], 0
	s_cbranch_scc0 .LBB3_22
; %bb.4:
	v_cvt_f32_ubyte0_e32 v1, 0
	v_cvt_f32_u32_e32 v2, s20
	s_sub_u32 s18, 0, s20
	s_subb_u32 s19, 0, 0
	s_delay_alu instid0(VALU_DEP_1) | instskip(NEXT) | instid1(VALU_DEP_1)
	v_fmamk_f32 v1, v1, 0x4f800000, v2
	v_rcp_f32_e32 v1, v1
	s_waitcnt_depctr 0xfff
	v_mul_f32_e32 v1, 0x5f7ffffc, v1
	s_delay_alu instid0(VALU_DEP_1) | instskip(NEXT) | instid1(VALU_DEP_1)
	v_mul_f32_e32 v2, 0x2f800000, v1
	v_trunc_f32_e32 v2, v2
	s_delay_alu instid0(VALU_DEP_1) | instskip(SKIP_1) | instid1(VALU_DEP_2)
	v_fmamk_f32 v1, v2, 0xcf800000, v1
	v_cvt_u32_f32_e32 v2, v2
	v_cvt_u32_f32_e32 v1, v1
	s_delay_alu instid0(VALU_DEP_2) | instskip(NEXT) | instid1(VALU_DEP_2)
	v_readfirstlane_b32 s12, v2
	v_readfirstlane_b32 s17, v1
	s_delay_alu instid0(VALU_DEP_2) | instskip(NEXT) | instid1(VALU_DEP_1)
	s_mul_i32 s21, s18, s12
	s_mul_hi_u32 s23, s18, s17
	s_mul_i32 s22, s19, s17
	s_add_i32 s21, s23, s21
	s_mul_i32 s24, s18, s17
	s_add_i32 s21, s21, s22
	s_mul_hi_u32 s23, s17, s24
	s_mul_hi_u32 s25, s12, s24
	s_mul_i32 s22, s12, s24
	s_mul_hi_u32 s24, s17, s21
	s_mul_i32 s17, s17, s21
	s_mul_hi_u32 s26, s12, s21
	s_add_u32 s17, s23, s17
	s_addc_u32 s23, 0, s24
	s_add_u32 s17, s17, s22
	s_mul_i32 s21, s12, s21
	s_addc_u32 s17, s23, s25
	s_addc_u32 s22, s26, 0
	s_add_u32 s17, s17, s21
	s_addc_u32 s21, 0, s22
	v_add_co_u32 v1, s17, v1, s17
	s_delay_alu instid0(VALU_DEP_1) | instskip(SKIP_1) | instid1(VALU_DEP_1)
	s_cmp_lg_u32 s17, 0
	s_addc_u32 s12, s12, s21
	v_readfirstlane_b32 s17, v1
	s_mul_i32 s21, s18, s12
	s_delay_alu instid0(VALU_DEP_1)
	s_mul_hi_u32 s22, s18, s17
	s_mul_i32 s19, s19, s17
	s_add_i32 s21, s22, s21
	s_mul_i32 s18, s18, s17
	s_add_i32 s21, s21, s19
	s_mul_hi_u32 s22, s12, s18
	s_mul_i32 s23, s12, s18
	s_mul_hi_u32 s18, s17, s18
	s_mul_hi_u32 s24, s17, s21
	s_mul_i32 s17, s17, s21
	s_mul_hi_u32 s19, s12, s21
	s_add_u32 s17, s18, s17
	s_addc_u32 s18, 0, s24
	s_add_u32 s17, s17, s23
	s_mul_i32 s21, s12, s21
	s_addc_u32 s17, s18, s22
	s_addc_u32 s18, s19, 0
	s_add_u32 s17, s17, s21
	s_addc_u32 s18, 0, s18
	v_add_co_u32 v1, s17, v1, s17
	s_delay_alu instid0(VALU_DEP_1) | instskip(SKIP_2) | instid1(SALU_CYCLE_1)
	s_cmp_lg_u32 s17, 0
	s_addc_u32 s12, s12, s18
	s_ashr_i32 s18, s3, 31
	s_add_u32 s22, s11, s18
	s_addc_u32 s23, s3, s18
	v_readfirstlane_b32 s3, v1
	s_mov_b32 s19, s18
	s_delay_alu instid0(SALU_CYCLE_1) | instskip(NEXT) | instid1(SALU_CYCLE_1)
	s_xor_b64 s[22:23], s[22:23], s[18:19]
	s_mul_i32 s21, s22, s12
	s_delay_alu instid0(VALU_DEP_1)
	s_mul_hi_u32 s24, s22, s3
	s_mul_hi_u32 s17, s22, s12
	;; [unrolled: 1-line block ×3, first 2 shown]
	s_mul_i32 s3, s23, s3
	s_add_u32 s21, s24, s21
	s_addc_u32 s17, 0, s17
	s_mul_hi_u32 s25, s23, s12
	s_add_u32 s3, s21, s3
	s_mul_i32 s12, s23, s12
	s_addc_u32 s3, s17, s26
	s_addc_u32 s17, s25, 0
	s_add_u32 s3, s3, s12
	s_addc_u32 s12, 0, s17
	s_mul_i32 s21, s20, s3
	s_add_u32 s17, s3, 1
	v_sub_co_u32 v1, s21, s22, s21
	s_mul_hi_u32 s22, s20, s3
	s_addc_u32 s24, s12, 0
	s_mul_i32 s25, s20, s12
	s_delay_alu instid0(VALU_DEP_1)
	v_sub_co_u32 v2, s26, v1, s20
	s_add_u32 s27, s3, 2
	s_addc_u32 s28, s12, 0
	s_add_i32 s22, s22, s25
	s_cmp_lg_u32 s21, 0
	v_readfirstlane_b32 s21, v2
	s_subb_u32 s22, s23, s22
	s_cmp_lg_u32 s26, 0
	s_subb_u32 s23, s22, 0
	s_delay_alu instid0(VALU_DEP_1) | instskip(SKIP_4) | instid1(SALU_CYCLE_1)
	s_cmp_ge_u32 s21, s20
	s_cselect_b32 s21, -1, 0
	s_cmp_eq_u32 s23, 0
	v_readfirstlane_b32 s23, v1
	s_cselect_b32 s21, s21, -1
	s_cmp_lg_u32 s21, 0
	s_cselect_b32 s17, s27, s17
	s_cselect_b32 s21, s28, s24
	s_cmp_ge_u32 s23, s20
	s_cselect_b32 s23, -1, 0
	s_cmp_eq_u32 s22, 0
	s_cselect_b32 s22, s23, -1
	s_delay_alu instid0(SALU_CYCLE_1) | instskip(SKIP_2) | instid1(SALU_CYCLE_1)
	s_cmp_lg_u32 s22, 0
	s_cselect_b32 s23, s21, s12
	s_cselect_b32 s22, s17, s3
	s_xor_b64 s[22:23], s[22:23], s[18:19]
	s_delay_alu instid0(SALU_CYCLE_1)
	s_sub_u32 s18, s22, s18
	s_and_not1_b32 vcc_lo, exec_lo, s2
	s_cbranch_vccnz .LBB3_6
.LBB3_5:
	v_cvt_f32_u32_e32 v1, s20
	s_sub_i32 s3, 0, s20
	s_delay_alu instid0(VALU_DEP_1) | instskip(SKIP_2) | instid1(VALU_DEP_1)
	v_rcp_iflag_f32_e32 v1, v1
	s_waitcnt_depctr 0xfff
	v_mul_f32_e32 v1, 0x4f7ffffe, v1
	v_cvt_u32_f32_e32 v1, v1
	s_delay_alu instid0(VALU_DEP_1) | instskip(NEXT) | instid1(VALU_DEP_1)
	v_readfirstlane_b32 s2, v1
	s_mul_i32 s3, s3, s2
	s_delay_alu instid0(SALU_CYCLE_1) | instskip(NEXT) | instid1(SALU_CYCLE_1)
	s_mul_hi_u32 s3, s2, s3
	s_add_i32 s2, s2, s3
	s_delay_alu instid0(SALU_CYCLE_1) | instskip(NEXT) | instid1(SALU_CYCLE_1)
	s_mul_hi_u32 s2, s11, s2
	s_mul_i32 s3, s2, s20
	s_delay_alu instid0(SALU_CYCLE_1)
	s_sub_i32 s3, s11, s3
	s_add_i32 s11, s2, 1
	s_sub_i32 s12, s3, s20
	s_cmp_ge_u32 s3, s20
	s_cselect_b32 s2, s11, s2
	s_cselect_b32 s3, s12, s3
	s_add_i32 s11, s2, 1
	s_cmp_ge_u32 s3, s20
	s_cselect_b32 s18, s11, s2
.LBB3_6:
	s_delay_alu instid0(SALU_CYCLE_1) | instskip(SKIP_3) | instid1(SALU_CYCLE_1)
	s_cmp_eq_u32 s16, s18
	s_mul_hi_u32 s2, s16, s8
	s_cselect_b32 s3, -1, 0
	s_add_i32 s2, s2, s16
	s_lshr_b32 s11, s2, s9
	s_delay_alu instid0(SALU_CYCLE_1) | instskip(NEXT) | instid1(SALU_CYCLE_1)
	s_mul_i32 s2, s11, s10
	s_cmp_eq_u32 s2, s16
	s_mul_hi_u32 s2, s18, s8
	s_cselect_b32 s12, -1, 0
	s_add_i32 s2, s2, s18
	s_delay_alu instid0(SALU_CYCLE_1) | instskip(NEXT) | instid1(SALU_CYCLE_1)
	s_lshr_b32 s2, s2, s9
	s_cmp_eq_u32 s11, s2
	s_mul_i32 s2, s2, s10
	s_cselect_b32 s17, -1, 0
	s_cmp_lg_u32 s2, s18
	s_cselect_b32 s2, -1, 0
	s_or_b32 s3, s3, s12
	s_and_b32 s2, s17, s2
	s_delay_alu instid0(SALU_CYCLE_1) | instskip(NEXT) | instid1(SALU_CYCLE_1)
	s_or_b32 s2, s3, s2
	s_and_b32 vcc_lo, exec_lo, s2
	s_cbranch_vccnz .LBB3_24
; %bb.7:
	s_load_b256 s[24:31], s[0:1], 0x20
	s_waitcnt lgkmcnt(0)
	s_mul_hi_u32 s2, s16, s24
	s_delay_alu instid0(SALU_CYCLE_1) | instskip(NEXT) | instid1(SALU_CYCLE_1)
	s_add_i32 s2, s2, s16
	s_lshr_b32 s17, s2, s25
	s_load_b32 s2, s[0:1], 0x40
	s_mul_i32 s3, s17, s26
	s_delay_alu instid0(SALU_CYCLE_1) | instskip(NEXT) | instid1(SALU_CYCLE_1)
	s_sub_i32 s3, s16, s3
	s_mul_hi_u32 s12, s3, s27
	s_delay_alu instid0(SALU_CYCLE_1) | instskip(NEXT) | instid1(SALU_CYCLE_1)
	s_add_i32 s12, s3, s12
	s_lshr_b32 s18, s12, s28
	s_delay_alu instid0(SALU_CYCLE_1) | instskip(NEXT) | instid1(SALU_CYCLE_1)
	s_mul_i32 s12, s18, s29
	s_sub_i32 s3, s3, s12
	s_delay_alu instid0(SALU_CYCLE_1) | instskip(NEXT) | instid1(SALU_CYCLE_1)
	s_mul_hi_u32 s12, s3, s30
	s_add_i32 s12, s3, s12
	s_delay_alu instid0(SALU_CYCLE_1) | instskip(SKIP_3) | instid1(SALU_CYCLE_1)
	s_lshr_b32 s21, s12, s31
	s_mov_b32 s12, 0
	s_waitcnt lgkmcnt(0)
	s_mul_i32 s2, s21, s2
	s_sub_i32 s2, s3, s2
	s_delay_alu instid0(SALU_CYCLE_1) | instskip(NEXT) | instid1(SALU_CYCLE_1)
	s_mul_hi_u32 s3, s2, s8
	s_add_i32 s2, s2, s3
	s_delay_alu instid0(SALU_CYCLE_1) | instskip(NEXT) | instid1(SALU_CYCLE_1)
	s_lshr_b32 s19, s2, s9
	s_add_i32 s19, s19, s14
	s_delay_alu instid0(SALU_CYCLE_1) | instskip(SKIP_2) | instid1(SALU_CYCLE_1)
	s_cmp_lt_i32 s19, s4
	s_cselect_b32 s2, -1, 0
	s_add_i32 s21, s21, s15
	s_cmp_lt_i32 s21, s6
	s_cselect_b32 s3, -1, 0
	s_delay_alu instid0(SALU_CYCLE_1) | instskip(NEXT) | instid1(SALU_CYCLE_1)
	s_and_b32 s2, s2, s3
	s_and_not1_b32 vcc_lo, exec_lo, s2
	s_cbranch_vccnz .LBB3_24
; %bb.8:
	s_load_b128 s[0:3], s[0:1], 0x0
	s_lshl_b32 s22, s20, 2
	s_mov_b32 s23, s12
	s_add_i32 s14, s14, s15
	s_lshl_b64 s[22:23], s[22:23], 2
	s_mul_i32 s17, s17, s4
	s_mul_i32 s18, s18, s6
	v_cvt_f32_ubyte0_e32 v4, 0
	v_cvt_f32_u32_e32 v5, s20
	s_waitcnt lgkmcnt(0)
	s_add_u32 s6, s2, s22
	s_addc_u32 s15, s3, s23
	s_add_i32 s4, s19, s17
	s_add_i32 s17, s21, s18
	s_mul_i32 s4, s4, s5
	s_delay_alu instid0(SALU_CYCLE_1) | instskip(NEXT) | instid1(SALU_CYCLE_1)
	s_add_i32 s17, s17, s4
	v_lshl_or_b32 v1, s17, 6, v0
	s_delay_alu instid0(VALU_DEP_1) | instskip(NEXT) | instid1(VALU_DEP_1)
	v_ashrrev_i32_e32 v2, 31, v1
	v_lshlrev_b64 v[1:2], 2, v[1:2]
	s_delay_alu instid0(VALU_DEP_1) | instskip(NEXT) | instid1(VALU_DEP_2)
	v_add_co_u32 v1, vcc_lo, s0, v1
	v_add_co_ci_u32_e32 v2, vcc_lo, s1, v2, vcc_lo
	s_add_i32 s0, s14, s13
	s_delay_alu instid0(SALU_CYCLE_1) | instskip(SKIP_2) | instid1(SALU_CYCLE_1)
	s_ashr_i32 s1, s0, 31
	global_load_b32 v3, v[1:2], off
	s_lshl_b64 s[0:1], s[0:1], 3
	s_add_u32 s0, s2, s0
	s_addc_u32 s1, s3, s1
	s_add_i32 s18, s13, -1
	s_load_b64 s[0:1], s[0:1], 0x0
	v_fmac_f32_e32 v5, 0x4f800000, v4
	s_sub_i32 s17, 0, s20
	s_waitcnt lgkmcnt(0)
	v_mov_b32_e32 v8, s0
	s_delay_alu instid0(VALU_DEP_2) | instskip(SKIP_2) | instid1(VALU_DEP_2)
	v_rcp_f32_e32 v4, v5
	v_cvt_f32_u32_e32 v5, s20
	v_mov_b32_e32 v7, s1
	v_rcp_iflag_f32_e32 v5, v5
	s_waitcnt_depctr 0xfff
	v_mul_f32_e32 v4, 0x5f7ffffc, v4
	s_delay_alu instid0(VALU_DEP_1) | instskip(SKIP_1) | instid1(VALU_DEP_2)
	v_mul_f32_e32 v6, 0x2f800000, v4
	v_mul_f32_e32 v9, 0x4f7ffffe, v5
	v_trunc_f32_e32 v6, v6
	s_delay_alu instid0(VALU_DEP_1) | instskip(SKIP_1) | instid1(VALU_DEP_4)
	v_fmac_f32_e32 v4, 0xcf800000, v6
	v_cvt_u32_f32_e32 v5, v6
	v_cvt_u32_f32_e32 v6, v9
	s_delay_alu instid0(VALU_DEP_3)
	v_cvt_u32_f32_e32 v4, v4
.LBB3_9:                                ; =>This Inner Loop Header: Depth=1
	s_mul_hi_i32 s13, s18, s7
	s_mul_i32 s4, s18, s7
	s_cmp_lg_u64 s[12:13], 0
	s_mov_b32 s5, -1
                                        ; implicit-def: $sgpr0_sgpr1
	s_cbranch_scc0 .LBB3_11
; %bb.10:                               ;   in Loop: Header=BB3_9 Depth=1
	v_readfirstlane_b32 s0, v4
	v_readfirstlane_b32 s1, v5
	s_sub_u32 s5, 0, s20
	s_subb_u32 s19, 0, 0
	s_delay_alu instid0(VALU_DEP_2) | instskip(NEXT) | instid1(VALU_DEP_1)
	s_mul_hi_u32 s21, s5, s0
	s_mul_i32 s22, s5, s1
	s_mul_i32 s23, s19, s0
	s_add_i32 s21, s21, s22
	s_mul_i32 s22, s5, s0
	s_add_i32 s21, s21, s23
	s_mul_hi_u32 s23, s0, s22
	s_mul_i32 s24, s0, s21
	s_mul_hi_u32 s0, s0, s21
	s_add_u32 s23, s23, s24
	s_mul_i32 s25, s1, s22
	s_addc_u32 s0, 0, s0
	s_mul_hi_u32 s22, s1, s22
	s_mul_hi_u32 s24, s1, s21
	s_add_u32 s23, s23, s25
	s_addc_u32 s0, s0, s22
	s_mul_i32 s21, s1, s21
	s_addc_u32 s22, s24, 0
	s_add_u32 s0, s0, s21
	s_addc_u32 s21, 0, s22
	v_add_co_u32 v9, s0, v4, s0
	s_delay_alu instid0(VALU_DEP_1) | instskip(SKIP_1) | instid1(VALU_DEP_1)
	s_cmp_lg_u32 s0, 0
	s_addc_u32 s1, s1, s21
	v_readfirstlane_b32 s0, v9
	s_mul_i32 s21, s5, s1
	s_delay_alu instid0(VALU_DEP_1)
	s_mul_hi_u32 s22, s5, s0
	s_mul_i32 s19, s19, s0
	s_add_i32 s21, s22, s21
	s_mul_i32 s5, s5, s0
	s_add_i32 s21, s21, s19
	s_mul_hi_u32 s19, s1, s5
	s_mul_i32 s23, s1, s5
	s_mul_i32 s24, s0, s21
	s_mul_hi_u32 s5, s0, s5
	s_mul_hi_u32 s0, s0, s21
	s_add_u32 s5, s5, s24
	s_addc_u32 s0, 0, s0
	s_mul_hi_u32 s22, s1, s21
	s_add_u32 s5, s5, s23
	s_addc_u32 s0, s0, s19
	s_mul_i32 s5, s1, s21
	s_addc_u32 s19, s22, 0
	s_add_u32 s0, s0, s5
	s_addc_u32 s5, 0, s19
	v_add_co_u32 v9, s0, v9, s0
	s_delay_alu instid0(VALU_DEP_1) | instskip(SKIP_2) | instid1(SALU_CYCLE_1)
	s_cmp_lg_u32 s0, 0
	s_addc_u32 s5, s1, s5
	s_ashr_i32 s0, s13, 31
	s_add_u32 s22, s4, s0
	s_addc_u32 s23, s13, s0
	v_readfirstlane_b32 s13, v9
	s_mov_b32 s1, s0
	s_delay_alu instid0(SALU_CYCLE_1) | instskip(NEXT) | instid1(SALU_CYCLE_1)
	s_xor_b64 s[22:23], s[22:23], s[0:1]
	s_mul_i32 s19, s22, s5
	s_delay_alu instid0(VALU_DEP_1)
	s_mul_hi_u32 s21, s22, s13
	s_mul_hi_u32 s24, s22, s5
	s_add_u32 s19, s21, s19
	s_mul_i32 s25, s23, s13
	s_addc_u32 s21, 0, s24
	s_mul_hi_u32 s13, s23, s13
	s_mul_hi_u32 s24, s23, s5
	s_add_u32 s19, s19, s25
	s_addc_u32 s13, s21, s13
	s_mul_i32 s5, s23, s5
	s_addc_u32 s19, s24, 0
	s_add_u32 s5, s13, s5
	s_addc_u32 s13, 0, s19
	s_mul_i32 s21, s20, s5
	s_add_u32 s19, s5, 1
	v_sub_co_u32 v9, s21, s22, s21
	s_addc_u32 s22, s13, 0
	s_mul_i32 s25, s20, s13
	s_mul_hi_u32 s27, s20, s5
	s_delay_alu instid0(VALU_DEP_1)
	v_sub_co_u32 v10, s26, v9, s20
	s_add_u32 s24, s5, 2
	s_addc_u32 s28, s13, 0
	s_add_i32 s27, s27, s25
	s_cmp_lg_u32 s21, 0
	v_readfirstlane_b32 s21, v10
	s_subb_u32 s23, s23, s27
	s_cmp_lg_u32 s26, 0
	s_subb_u32 s25, s23, 0
	s_delay_alu instid0(VALU_DEP_1) | instskip(SKIP_4) | instid1(SALU_CYCLE_1)
	s_cmp_ge_u32 s21, s20
	s_cselect_b32 s21, -1, 0
	s_cmp_eq_u32 s25, 0
	v_readfirstlane_b32 s25, v9
	s_cselect_b32 s21, s21, -1
	s_cmp_lg_u32 s21, 0
	s_cselect_b32 s19, s24, s19
	s_cselect_b32 s21, s28, s22
	s_cmp_ge_u32 s25, s20
	s_cselect_b32 s22, -1, 0
	s_cmp_eq_u32 s23, 0
	s_cselect_b32 s22, s22, -1
	s_delay_alu instid0(SALU_CYCLE_1) | instskip(SKIP_4) | instid1(SALU_CYCLE_1)
	s_cmp_lg_u32 s22, 0
	s_cselect_b32 s23, s21, s13
	s_cselect_b32 s22, s19, s5
	s_mov_b32 s5, 0
	s_xor_b64 s[22:23], s[22:23], s[0:1]
	s_sub_u32 s0, s22, s0
.LBB3_11:                               ;   in Loop: Header=BB3_9 Depth=1
	s_and_not1_b32 vcc_lo, exec_lo, s5
	s_cbranch_vccnz .LBB3_13
; %bb.12:                               ;   in Loop: Header=BB3_9 Depth=1
	v_readfirstlane_b32 s0, v6
	s_delay_alu instid0(VALU_DEP_1) | instskip(NEXT) | instid1(SALU_CYCLE_1)
	s_mul_i32 s1, s17, s0
	s_mul_hi_u32 s1, s0, s1
	s_delay_alu instid0(SALU_CYCLE_1) | instskip(NEXT) | instid1(SALU_CYCLE_1)
	s_add_i32 s0, s0, s1
	s_mul_hi_u32 s0, s4, s0
	s_delay_alu instid0(SALU_CYCLE_1) | instskip(NEXT) | instid1(SALU_CYCLE_1)
	s_mul_i32 s1, s0, s20
	s_sub_i32 s1, s4, s1
	s_add_i32 s4, s0, 1
	s_sub_i32 s5, s1, s20
	s_cmp_ge_u32 s1, s20
	s_cselect_b32 s0, s4, s0
	s_cselect_b32 s1, s5, s1
	s_add_i32 s4, s0, 1
	s_cmp_ge_u32 s1, s20
	s_cselect_b32 s0, s4, s0
.LBB3_13:                               ;   in Loop: Header=BB3_9 Depth=1
	s_delay_alu instid0(SALU_CYCLE_1)
	s_cmp_lg_u32 s16, s0
	s_cbranch_scc0 .LBB3_17
; %bb.14:                               ;   in Loop: Header=BB3_9 Depth=1
	s_add_i32 s21, s18, s14
	s_mov_b32 s5, s12
	s_add_i32 s4, s21, s20
	s_mul_hi_u32 s1, s0, s8
	s_lshl_b64 s[4:5], s[4:5], 3
	s_mov_b32 s19, s16
	s_add_u32 s4, s2, s4
	s_addc_u32 s5, s3, s5
	s_add_i32 s1, s1, s0
	s_delay_alu instid0(SALU_CYCLE_1) | instskip(NEXT) | instid1(SALU_CYCLE_1)
	s_lshr_b32 s1, s1, s9
	s_mul_i32 s13, s1, s10
	s_delay_alu instid0(SALU_CYCLE_1) | instskip(SKIP_3) | instid1(SALU_CYCLE_1)
	s_cmp_eq_u32 s13, s0
	s_cselect_b32 s13, -1, 0
	s_cmp_lt_u32 s1, s11
	s_cselect_b32 s1, -1, 0
	s_or_b32 s1, s1, s13
	s_mov_b32 s13, -1
	s_and_b32 vcc_lo, exec_lo, s1
	s_mov_b32 s1, s18
	s_cbranch_vccnz .LBB3_16
; %bb.15:                               ;   in Loop: Header=BB3_9 Depth=1
	s_add_i32 s1, s18, -1
	s_mov_b32 s13, 0
	s_mov_b32 s19, s0
.LBB3_16:                               ;   in Loop: Header=BB3_9 Depth=1
	v_lshl_or_b32 v9, s21, 6, v0
	s_load_b64 s[4:5], s[4:5], 0x0
	s_delay_alu instid0(VALU_DEP_1) | instskip(NEXT) | instid1(VALU_DEP_1)
	v_ashrrev_i32_e32 v10, 31, v9
	v_lshlrev_b64 v[9:10], 2, v[9:10]
	s_delay_alu instid0(VALU_DEP_1) | instskip(NEXT) | instid1(VALU_DEP_2)
	v_add_co_u32 v9, vcc_lo, s6, v9
	v_add_co_ci_u32_e32 v10, vcc_lo, s15, v10, vcc_lo
	s_waitcnt lgkmcnt(0)
	v_max_f32_e64 v11, s4, s4
	global_load_b32 v10, v[9:10], off
	v_max_f32_e32 v9, v8, v8
	s_delay_alu instid0(VALU_DEP_1) | instskip(NEXT) | instid1(VALU_DEP_1)
	v_max_f32_e32 v9, v9, v11
	v_sub_f32_e32 v12, v8, v9
	s_delay_alu instid0(VALU_DEP_1) | instskip(NEXT) | instid1(VALU_DEP_1)
	v_dual_mul_f32 v14, 0x3fb8aa3b, v12 :: v_dual_sub_f32 v11, s4, v9
	v_rndne_f32_e32 v18, v14
	s_delay_alu instid0(VALU_DEP_2) | instskip(SKIP_2) | instid1(VALU_DEP_4)
	v_mul_f32_e32 v13, 0x3fb8aa3b, v11
	v_fma_f32 v17, 0x3fb8aa3b, v12, -v14
	v_cmp_ngt_f32_e32 vcc_lo, 0xc2ce8ed0, v11
	v_sub_f32_e32 v14, v14, v18
	s_delay_alu instid0(VALU_DEP_4) | instskip(SKIP_2) | instid1(VALU_DEP_3)
	v_fma_f32 v15, 0x3fb8aa3b, v11, -v13
	v_rndne_f32_e32 v16, v13
	v_fmac_f32_e32 v17, 0x32a5705f, v12
	v_fmac_f32_e32 v15, 0x32a5705f, v11
	s_delay_alu instid0(VALU_DEP_2) | instskip(NEXT) | instid1(VALU_DEP_1)
	v_dual_sub_f32 v13, v13, v16 :: v_dual_add_f32 v14, v14, v17
	v_add_f32_e32 v13, v13, v15
	s_delay_alu instid0(VALU_DEP_2) | instskip(SKIP_2) | instid1(VALU_DEP_3)
	v_exp_f32_e32 v14, v14
	v_cvt_i32_f32_e32 v15, v16
	v_cvt_i32_f32_e32 v16, v18
	v_exp_f32_e32 v13, v13
	s_waitcnt_depctr 0xfff
	v_ldexp_f32 v14, v14, v16
	v_ldexp_f32 v13, v13, v15
	s_delay_alu instid0(VALU_DEP_1) | instskip(SKIP_1) | instid1(VALU_DEP_4)
	v_cndmask_b32_e32 v13, 0, v13, vcc_lo
	v_cmp_ngt_f32_e32 vcc_lo, 0xc2ce8ed0, v12
	v_cndmask_b32_e32 v14, 0, v14, vcc_lo
	v_cmp_nlt_f32_e32 vcc_lo, 0x42b17218, v11
	s_delay_alu instid0(VALU_DEP_4) | instskip(SKIP_1) | instid1(VALU_DEP_4)
	v_cndmask_b32_e32 v13, 0x7f800000, v13, vcc_lo
	v_cmp_nlt_f32_e32 vcc_lo, 0x42b17218, v12
	v_cndmask_b32_e32 v14, 0x7f800000, v14, vcc_lo
	v_cmp_le_f32_e32 vcc_lo, 0xc1a00000, v11
	s_delay_alu instid0(VALU_DEP_4) | instskip(SKIP_1) | instid1(VALU_DEP_4)
	v_cndmask_b32_e32 v11, 0, v13, vcc_lo
	v_cmp_le_f32_e32 vcc_lo, 0xc1a00000, v12
	v_cndmask_b32_e32 v12, 0, v14, vcc_lo
	s_waitcnt vmcnt(0)
	s_delay_alu instid0(VALU_DEP_3) | instskip(NEXT) | instid1(VALU_DEP_1)
	v_mul_f32_e32 v10, v10, v11
	v_dual_mul_f32 v11, s5, v11 :: v_dual_fmac_f32 v10, v3, v12
	s_delay_alu instid0(VALU_DEP_1)
	v_fmac_f32_e32 v11, v7, v12
	s_cbranch_execz .LBB3_18
	s_branch .LBB3_19
.LBB3_17:                               ;   in Loop: Header=BB3_9 Depth=1
                                        ; implicit-def: $sgpr13
                                        ; implicit-def: $vgpr10
                                        ; implicit-def: $vgpr9
                                        ; implicit-def: $vgpr11
                                        ; implicit-def: $sgpr1
                                        ; implicit-def: $sgpr19
.LBB3_18:                               ;   in Loop: Header=BB3_9 Depth=1
	v_mov_b32_e32 v11, v7
	s_waitcnt vmcnt(0)
	v_dual_mov_b32 v9, v8 :: v_dual_mov_b32 v10, v3
	s_add_i32 s1, s18, -1
	s_mov_b32 s13, 0
	s_mov_b32 s19, s16
.LBB3_19:                               ;   in Loop: Header=BB3_9 Depth=1
	s_and_not1_b32 vcc_lo, exec_lo, s13
	s_cbranch_vccz .LBB3_23
; %bb.20:                               ;   in Loop: Header=BB3_9 Depth=1
	v_dual_mov_b32 v7, v11 :: v_dual_mov_b32 v8, v9
	s_waitcnt vmcnt(0)
	v_mov_b32_e32 v3, v10
	s_mov_b32 s16, s19
	s_mov_b32 s18, s1
	s_branch .LBB3_9
.LBB3_21:
                                        ; implicit-def: $sgpr16_sgpr17
	s_load_b128 s[8:11], s[0:1], 0x44
	s_branch .LBB3_2
.LBB3_22:
                                        ; implicit-def: $sgpr18_sgpr19
	s_branch .LBB3_5
.LBB3_23:
	v_div_scale_f32 v0, null, v11, v11, v10
	s_waitcnt vmcnt(0)
	s_delay_alu instid0(VALU_DEP_1) | instskip(SKIP_2) | instid1(VALU_DEP_1)
	v_rcp_f32_e32 v3, v0
	s_waitcnt_depctr 0xfff
	v_fma_f32 v4, -v0, v3, 1.0
	v_fmac_f32_e32 v3, v4, v3
	v_div_scale_f32 v4, vcc_lo, v10, v11, v10
	s_delay_alu instid0(VALU_DEP_1) | instskip(NEXT) | instid1(VALU_DEP_1)
	v_mul_f32_e32 v5, v4, v3
	v_fma_f32 v6, -v0, v5, v4
	s_delay_alu instid0(VALU_DEP_1) | instskip(NEXT) | instid1(VALU_DEP_1)
	v_fmac_f32_e32 v5, v6, v3
	v_fma_f32 v0, -v0, v5, v4
	s_delay_alu instid0(VALU_DEP_1) | instskip(NEXT) | instid1(VALU_DEP_1)
	v_div_fmas_f32 v0, v0, v3, v5
	v_div_fixup_f32 v0, v0, v11, v10
	global_store_b32 v[1:2], v0, off
.LBB3_24:
	s_nop 0
	s_sendmsg sendmsg(MSG_DEALLOC_VGPRS)
	s_endpgm
	.section	.rodata,"a",@progbits
	.p2align	6, 0x0
	.amdhsa_kernel _ZL33flash_attn_stream_k_fixup_generalILi64ELi1ELi1EEvPfPK15HIP_vector_typeIfLj2EEiiiiS1_IjLj3EES5_S5_S5_
		.amdhsa_group_segment_fixed_size 0
		.amdhsa_private_segment_fixed_size 0
		.amdhsa_kernarg_size 336
		.amdhsa_user_sgpr_count 13
		.amdhsa_user_sgpr_dispatch_ptr 0
		.amdhsa_user_sgpr_queue_ptr 0
		.amdhsa_user_sgpr_kernarg_segment_ptr 1
		.amdhsa_user_sgpr_dispatch_id 0
		.amdhsa_user_sgpr_private_segment_size 0
		.amdhsa_wavefront_size32 1
		.amdhsa_uses_dynamic_stack 0
		.amdhsa_enable_private_segment 0
		.amdhsa_system_sgpr_workgroup_id_x 1
		.amdhsa_system_sgpr_workgroup_id_y 1
		.amdhsa_system_sgpr_workgroup_id_z 1
		.amdhsa_system_sgpr_workgroup_info 0
		.amdhsa_system_vgpr_workitem_id 0
		.amdhsa_next_free_vgpr 19
		.amdhsa_next_free_sgpr 32
		.amdhsa_reserve_vcc 1
		.amdhsa_float_round_mode_32 0
		.amdhsa_float_round_mode_16_64 0
		.amdhsa_float_denorm_mode_32 3
		.amdhsa_float_denorm_mode_16_64 3
		.amdhsa_dx10_clamp 1
		.amdhsa_ieee_mode 1
		.amdhsa_fp16_overflow 0
		.amdhsa_workgroup_processor_mode 1
		.amdhsa_memory_ordered 1
		.amdhsa_forward_progress 0
		.amdhsa_shared_vgpr_count 0
		.amdhsa_exception_fp_ieee_invalid_op 0
		.amdhsa_exception_fp_denorm_src 0
		.amdhsa_exception_fp_ieee_div_zero 0
		.amdhsa_exception_fp_ieee_overflow 0
		.amdhsa_exception_fp_ieee_underflow 0
		.amdhsa_exception_fp_ieee_inexact 0
		.amdhsa_exception_int_div_zero 0
	.end_amdhsa_kernel
	.section	.text._ZL33flash_attn_stream_k_fixup_generalILi64ELi1ELi1EEvPfPK15HIP_vector_typeIfLj2EEiiiiS1_IjLj3EES5_S5_S5_,"axG",@progbits,_ZL33flash_attn_stream_k_fixup_generalILi64ELi1ELi1EEvPfPK15HIP_vector_typeIfLj2EEiiiiS1_IjLj3EES5_S5_S5_,comdat
.Lfunc_end3:
	.size	_ZL33flash_attn_stream_k_fixup_generalILi64ELi1ELi1EEvPfPK15HIP_vector_typeIfLj2EEiiiiS1_IjLj3EES5_S5_S5_, .Lfunc_end3-_ZL33flash_attn_stream_k_fixup_generalILi64ELi1ELi1EEvPfPK15HIP_vector_typeIfLj2EEiiiiS1_IjLj3EES5_S5_S5_
                                        ; -- End function
	.section	.AMDGPU.csdata,"",@progbits
; Kernel info:
; codeLenInByte = 3168
; NumSgprs: 34
; NumVgprs: 19
; ScratchSize: 0
; MemoryBound: 0
; FloatMode: 240
; IeeeMode: 1
; LDSByteSize: 0 bytes/workgroup (compile time only)
; SGPRBlocks: 4
; VGPRBlocks: 2
; NumSGPRsForWavesPerEU: 34
; NumVGPRsForWavesPerEU: 19
; Occupancy: 16
; WaveLimiterHint : 0
; COMPUTE_PGM_RSRC2:SCRATCH_EN: 0
; COMPUTE_PGM_RSRC2:USER_SGPR: 13
; COMPUTE_PGM_RSRC2:TRAP_HANDLER: 0
; COMPUTE_PGM_RSRC2:TGID_X_EN: 1
; COMPUTE_PGM_RSRC2:TGID_Y_EN: 1
; COMPUTE_PGM_RSRC2:TGID_Z_EN: 1
; COMPUTE_PGM_RSRC2:TIDIG_COMP_CNT: 0
	.section	.text._ZL26flash_attn_combine_resultsILi64EEvPKfPK15HIP_vector_typeIfLj2EEPfi,"axG",@progbits,_ZL26flash_attn_combine_resultsILi64EEvPKfPK15HIP_vector_typeIfLj2EEPfi,comdat
	.globl	_ZL26flash_attn_combine_resultsILi64EEvPKfPK15HIP_vector_typeIfLj2EEPfi ; -- Begin function _ZL26flash_attn_combine_resultsILi64EEvPKfPK15HIP_vector_typeIfLj2EEPfi
	.p2align	8
	.type	_ZL26flash_attn_combine_resultsILi64EEvPKfPK15HIP_vector_typeIfLj2EEPfi,@function
_ZL26flash_attn_combine_resultsILi64EEvPKfPK15HIP_vector_typeIfLj2EEPfi: ; @_ZL26flash_attn_combine_resultsILi64EEvPKfPK15HIP_vector_typeIfLj2EEPfi
; %bb.0:
	s_clause 0x3
	s_load_b64 s[2:3], s[0:1], 0x20
	s_load_b32 s11, s[0:1], 0x18
	s_load_b128 s[4:7], s[0:1], 0x0
	s_load_b64 s[8:9], s[0:1], 0x10
	v_lshlrev_b32_e32 v5, 2, v0
	s_mov_b32 s12, exec_lo
	s_waitcnt lgkmcnt(0)
	s_mul_i32 s0, s2, s15
	s_lshl_b32 s1, s11, 1
	s_add_i32 s0, s0, s13
	s_delay_alu instid0(SALU_CYCLE_1) | instskip(NEXT) | instid1(SALU_CYCLE_1)
	s_mul_i32 s10, s0, s3
	s_add_i32 s10, s10, s14
	s_delay_alu instid0(SALU_CYCLE_1)
	s_mul_i32 s2, s10, s11
	v_cmpx_gt_i32_e64 s1, v0
	s_cbranch_execz .LBB4_3
; %bb.1:
	s_ashr_i32 s3, s2, 31
	v_dual_mov_b32 v4, v0 :: v_dual_add_nc_u32 v3, 0, v5
	s_lshl_b64 s[14:15], s[2:3], 3
	s_delay_alu instid0(SALU_CYCLE_1) | instskip(SKIP_2) | instid1(VALU_DEP_1)
	s_add_u32 s0, s6, s14
	s_addc_u32 s3, s7, s15
	v_add_co_u32 v1, s0, s0, v5
	v_add_co_ci_u32_e64 v2, null, s3, 0, s0
	s_mov_b32 s3, 0
.LBB4_2:                                ; =>This Inner Loop Header: Depth=1
	global_load_b32 v6, v[1:2], off
	v_add_nc_u32_e32 v4, 64, v4
	v_add_co_u32 v1, vcc_lo, 0x100, v1
	v_add_co_ci_u32_e32 v2, vcc_lo, 0, v2, vcc_lo
	s_delay_alu instid0(VALU_DEP_3) | instskip(NEXT) | instid1(VALU_DEP_1)
	v_cmp_le_i32_e64 s0, s1, v4
	s_or_b32 s3, s0, s3
	s_waitcnt vmcnt(0)
	ds_store_b32 v3, v6
	v_add_nc_u32_e32 v3, 0x100, v3
	s_and_not1_b32 exec_lo, exec_lo, s3
	s_cbranch_execnz .LBB4_2
.LBB4_3:
	s_or_b32 exec_lo, exec_lo, s12
	v_mov_b32_e32 v1, 0
	s_waitcnt lgkmcnt(0)
	s_barrier
	buffer_gl0_inv
	s_cmp_lt_i32 s11, 2
	ds_load_b32 v6, v1
	s_cbranch_scc1 .LBB4_11
; %bb.4:
	s_add_i32 s1, s11, -2
	s_add_i32 s0, s11, -1
	s_cmp_lt_u32 s1, 7
	s_cbranch_scc1 .LBB4_8
; %bb.5:
	s_mov_b32 s3, 0
	s_add_i32 s1, 0, 8
	s_and_b32 s6, s0, -8
	.p2align	6
.LBB4_6:                                ; =>This Inner Loop Header: Depth=1
	v_mov_b32_e32 v9, s1
	s_mov_b32 s7, s3
	s_add_i32 s3, s3, 8
	s_add_i32 s1, s1, 64
	s_cmp_eq_u32 s6, s3
	ds_load_2addr_b32 v[1:2], v9 offset1:2
	ds_load_2addr_b32 v[3:4], v9 offset0:4 offset1:6
	ds_load_2addr_b32 v[7:8], v9 offset0:8 offset1:10
	;; [unrolled: 1-line block ×3, first 2 shown]
	s_waitcnt lgkmcnt(3)
	v_max3_f32 v1, v6, v1, v2
	s_waitcnt lgkmcnt(2)
	s_delay_alu instid0(VALU_DEP_1) | instskip(SKIP_1) | instid1(VALU_DEP_1)
	v_max3_f32 v1, v1, v3, v4
	s_waitcnt lgkmcnt(1)
	v_max3_f32 v1, v1, v7, v8
	s_waitcnt lgkmcnt(0)
	s_delay_alu instid0(VALU_DEP_1)
	v_max3_f32 v6, v1, v9, v10
	s_cbranch_scc0 .LBB4_6
; %bb.7:
	s_add_i32 s1, s7, 9
	s_and_b32 s0, s0, 7
	s_delay_alu instid0(SALU_CYCLE_1)
	s_cmp_eq_u32 s0, 0
	s_cbranch_scc0 .LBB4_9
	s_branch .LBB4_11
.LBB4_8:
	s_mov_b32 s1, 1
	s_and_b32 s0, s0, 7
	s_delay_alu instid0(SALU_CYCLE_1)
	s_cmp_eq_u32 s0, 0
	s_cbranch_scc1 .LBB4_11
.LBB4_9:
	s_lshl_b32 s1, s1, 3
	s_delay_alu instid0(SALU_CYCLE_1)
	s_add_i32 s1, s1, 0
.LBB4_10:                               ; =>This Inner Loop Header: Depth=1
	s_waitcnt lgkmcnt(0)
	s_delay_alu instid0(VALU_DEP_1)
	v_dual_mov_b32 v1, s1 :: v_dual_max_f32 v2, v6, v6
	s_add_i32 s0, s0, -1
	s_add_i32 s1, s1, 8
	s_cmp_lg_u32 s0, 0
	ds_load_b32 v1, v1
	s_waitcnt lgkmcnt(0)
	v_max_f32_e32 v1, v1, v1
	s_delay_alu instid0(VALU_DEP_1)
	v_max_f32_e32 v6, v2, v1
	s_cbranch_scc1 .LBB4_10
.LBB4_11:
	s_cmp_lt_i32 s11, 1
	s_cbranch_scc1 .LBB4_16
; %bb.12:
	s_lshl_b32 s0, s2, 6
	v_mov_b32_e32 v7, 0
	s_ashr_i32 s1, s0, 31
	s_mov_b32 s13, 0
	s_lshl_b64 s[0:1], s[0:1], 2
	s_delay_alu instid0(SALU_CYCLE_1)
	s_add_u32 s6, s4, s0
	s_addc_u32 s7, s5, s1
	s_cmp_lt_u32 s11, 8
	s_cbranch_scc1 .LBB4_17
; %bb.13:
	v_or_b32_e32 v1, 0x1c0, v0
	v_dual_mov_b32 v4, 0 :: v_dual_mov_b32 v7, 0
	v_mov_b32_e32 v8, 0
	s_and_b32 s12, s11, 0x7ffffff8
	s_mov_b32 s14, 0
.LBB4_14:                               ; =>This Inner Loop Header: Depth=1
	s_delay_alu instid0(VALU_DEP_2) | instskip(SKIP_3) | instid1(VALU_DEP_2)
	v_dual_mov_b32 v2, v4 :: v_dual_add_nc_u32 v3, 0xfffffe40, v1
	v_mov_b32_e32 v21, s13
	s_add_i32 s14, s14, 8
	s_add_i32 s13, s13, 64
	v_lshlrev_b64 v[9:10], 2, v[3:4]
	v_add_nc_u32_e32 v3, 0xfffffe80, v1
	v_lshlrev_b64 v[11:12], 2, v[1:2]
	s_cmp_eq_u32 s12, s14
	s_delay_alu instid0(VALU_DEP_2) | instskip(NEXT) | instid1(VALU_DEP_4)
	v_lshlrev_b64 v[13:14], 2, v[3:4]
	v_add_co_u32 v9, vcc_lo, s6, v9
	v_add_co_ci_u32_e32 v10, vcc_lo, s7, v10, vcc_lo
	v_add_nc_u32_e32 v3, 0xfffffec0, v1
	s_delay_alu instid0(VALU_DEP_4)
	v_add_co_u32 v13, vcc_lo, s6, v13
	global_load_b32 v25, v[9:10], off
	v_add_co_ci_u32_e32 v14, vcc_lo, s7, v14, vcc_lo
	v_lshlrev_b64 v[15:16], 2, v[3:4]
	v_add_nc_u32_e32 v3, 0xffffff00, v1
	global_load_b32 v26, v[13:14], off
	v_lshlrev_b64 v[9:10], 2, v[3:4]
	v_add_nc_u32_e32 v3, 0xffffff40, v1
	v_add_co_u32 v13, vcc_lo, s6, v15
	v_add_co_ci_u32_e32 v14, vcc_lo, s7, v16, vcc_lo
	s_delay_alu instid0(VALU_DEP_4) | instskip(NEXT) | instid1(VALU_DEP_4)
	v_add_co_u32 v9, vcc_lo, s6, v9
	v_lshlrev_b64 v[15:16], 2, v[3:4]
	v_add_nc_u32_e32 v3, 0xffffff80, v1
	v_add_co_ci_u32_e32 v10, vcc_lo, s7, v10, vcc_lo
	s_clause 0x1
	global_load_b32 v27, v[13:14], off
	global_load_b32 v28, v[9:10], off
	v_lshlrev_b64 v[13:14], 2, v[3:4]
	v_subrev_nc_u32_e32 v3, 64, v1
	v_add_co_u32 v9, vcc_lo, s6, v15
	v_add_co_ci_u32_e32 v10, vcc_lo, s7, v16, vcc_lo
	s_delay_alu instid0(VALU_DEP_4) | instskip(NEXT) | instid1(VALU_DEP_4)
	v_add_co_u32 v13, vcc_lo, s6, v13
	v_lshlrev_b64 v[2:3], 2, v[3:4]
	v_add_co_ci_u32_e32 v14, vcc_lo, s7, v14, vcc_lo
	s_clause 0x1
	global_load_b32 v29, v[9:10], off
	global_load_b32 v30, v[13:14], off
	v_add_co_u32 v2, vcc_lo, s6, v2
	v_add_co_ci_u32_e32 v3, vcc_lo, s7, v3, vcc_lo
	v_add_co_u32 v9, vcc_lo, s6, v11
	v_add_co_ci_u32_e32 v10, vcc_lo, s7, v12, vcc_lo
	s_clause 0x1
	global_load_b32 v2, v[2:3], off
	global_load_b32 v3, v[9:10], off
	ds_load_2addr_b64 v[9:12], v21 offset1:1
	ds_load_2addr_b64 v[13:16], v21 offset0:2 offset1:3
	ds_load_2addr_b64 v[17:20], v21 offset0:4 offset1:5
	;; [unrolled: 1-line block ×3, first 2 shown]
	v_add_nc_u32_e32 v1, 0x200, v1
	s_waitcnt lgkmcnt(1)
	v_sub_f32_e32 v19, v19, v6
	v_sub_f32_e32 v11, v11, v6
	s_waitcnt lgkmcnt(0)
	v_sub_f32_e32 v23, v23, v6
	s_delay_alu instid0(VALU_DEP_3) | instskip(NEXT) | instid1(VALU_DEP_3)
	v_dual_sub_f32 v13, v13, v6 :: v_dual_mul_f32 v36, 0x3fb8aa3b, v19
	v_mul_f32_e32 v32, 0x3fb8aa3b, v11
	s_delay_alu instid0(VALU_DEP_2) | instskip(SKIP_1) | instid1(VALU_DEP_4)
	v_dual_mul_f32 v38, 0x3fb8aa3b, v23 :: v_dual_mul_f32 v33, 0x3fb8aa3b, v13
	v_cmp_ngt_f32_e32 vcc_lo, 0xc2ce8ed0, v13
	v_fma_f32 v49, 0x3fb8aa3b, v19, -v36
	s_delay_alu instid0(VALU_DEP_4) | instskip(SKIP_4) | instid1(VALU_DEP_4)
	v_fma_f32 v41, 0x3fb8aa3b, v11, -v32
	v_rndne_f32_e32 v42, v32
	v_fma_f32 v43, 0x3fb8aa3b, v13, -v33
	v_rndne_f32_e32 v44, v33
	v_rndne_f32_e32 v54, v38
	v_dual_fmac_f32 v41, 0x32a5705f, v11 :: v_dual_sub_f32 v32, v32, v42
	v_sub_f32_e32 v15, v15, v6
	v_fmac_f32_e32 v43, 0x32a5705f, v13
	v_sub_f32_e32 v33, v33, v44
	v_cvt_i32_f32_e32 v42, v42
	v_dual_add_f32 v32, v32, v41 :: v_dual_sub_f32 v9, v9, v6
	v_mul_f32_e32 v34, 0x3fb8aa3b, v15
	s_delay_alu instid0(VALU_DEP_4) | instskip(SKIP_1) | instid1(VALU_DEP_4)
	v_add_f32_e32 v33, v33, v43
	v_cvt_i32_f32_e32 v44, v44
	v_exp_f32_e32 v32, v32
	v_mul_f32_e32 v31, 0x3fb8aa3b, v9
	v_fma_f32 v45, 0x3fb8aa3b, v15, -v34
	v_rndne_f32_e32 v46, v34
	v_exp_f32_e32 v33, v33
	v_cmp_ngt_f32_e64 s5, 0xc2ce8ed0, v9
	v_fma_f32 v39, 0x3fb8aa3b, v9, -v31
	v_rndne_f32_e32 v40, v31
	v_dual_fmac_f32 v45, 0x32a5705f, v15 :: v_dual_sub_f32 v34, v34, v46
	v_sub_f32_e32 v17, v17, v6
	s_delay_alu instid0(VALU_DEP_4) | instskip(NEXT) | instid1(VALU_DEP_4)
	v_fmac_f32_e32 v39, 0x32a5705f, v9
	v_sub_f32_e32 v31, v31, v40
	v_cvt_i32_f32_e32 v40, v40
	v_add_f32_e32 v34, v34, v45
	v_ldexp_f32 v32, v32, v42
	v_ldexp_f32 v33, v33, v44
	v_add_f32_e32 v31, v31, v39
	v_cvt_i32_f32_e32 v46, v46
	v_exp_f32_e32 v34, v34
	v_cmp_ngt_f32_e64 s0, 0xc2ce8ed0, v15
	v_cmp_ngt_f32_e64 s1, 0xc2ce8ed0, v17
	v_exp_f32_e32 v31, v31
	v_rndne_f32_e32 v50, v36
	s_delay_alu instid0(VALU_DEP_1)
	v_dual_fmac_f32 v49, 0x32a5705f, v19 :: v_dual_sub_f32 v36, v36, v50
	s_waitcnt_depctr 0xfff
	v_ldexp_f32 v34, v34, v46
	v_cvt_i32_f32_e32 v50, v50
	v_ldexp_f32 v31, v31, v40
	v_add_f32_e32 v36, v36, v49
	v_cmp_ngt_f32_e64 s2, 0xc2ce8ed0, v19
	s_delay_alu instid0(VALU_DEP_3) | instskip(SKIP_1) | instid1(VALU_DEP_4)
	v_cndmask_b32_e64 v31, 0, v31, s5
	v_cmp_ngt_f32_e64 s5, 0xc2ce8ed0, v11
	v_exp_f32_e32 v36, v36
	s_delay_alu instid0(VALU_DEP_1) | instskip(SKIP_1) | instid1(VALU_DEP_1)
	v_cndmask_b32_e64 v32, 0, v32, s5
	v_cmp_nlt_f32_e64 s5, 0x42b17218, v9
	v_cndmask_b32_e64 v9, 0x7f800000, v31, s5
	v_cndmask_b32_e32 v31, 0, v33, vcc_lo
	v_cmp_nlt_f32_e32 vcc_lo, 0x42b17218, v11
	s_waitcnt_depctr 0xfff
	v_ldexp_f32 v36, v36, v50
	v_dual_fmac_f32 v8, v9, v10 :: v_dual_cndmask_b32 v11, 0x7f800000, v32
	v_cmp_nlt_f32_e32 vcc_lo, 0x42b17218, v13
	s_delay_alu instid0(VALU_DEP_2)
	v_fmac_f32_e32 v8, v11, v12
	v_cndmask_b32_e32 v10, 0x7f800000, v31, vcc_lo
	v_cmp_nlt_f32_e32 vcc_lo, 0x42b17218, v15
	v_fma_f32 v53, 0x3fb8aa3b, v23, -v38
	v_sub_f32_e32 v38, v38, v54
	v_cvt_i32_f32_e32 v54, v54
	v_fmac_f32_e32 v8, v10, v14
	v_cmp_ngt_f32_e64 s4, 0xc2ce8ed0, v23
	v_fmac_f32_e32 v53, 0x32a5705f, v23
	s_delay_alu instid0(VALU_DEP_1) | instskip(NEXT) | instid1(VALU_DEP_1)
	v_dual_sub_f32 v21, v21, v6 :: v_dual_add_f32 v38, v38, v53
	v_cmp_ngt_f32_e64 s3, 0xc2ce8ed0, v21
	s_delay_alu instid0(VALU_DEP_2)
	v_exp_f32_e32 v38, v38
	s_waitcnt_depctr 0xfff
	v_ldexp_f32 v38, v38, v54
	s_waitcnt vmcnt(7)
	v_fmac_f32_e32 v7, v25, v9
	v_cndmask_b32_e64 v9, 0, v34, s0
	s_delay_alu instid0(VALU_DEP_1)
	v_cndmask_b32_e32 v9, 0x7f800000, v9, vcc_lo
	v_mul_f32_e32 v35, 0x3fb8aa3b, v17
	s_waitcnt vmcnt(6)
	v_fmac_f32_e32 v7, v26, v11
	v_cmp_nlt_f32_e32 vcc_lo, 0x42b17218, v17
	v_fmac_f32_e32 v8, v9, v16
	v_fma_f32 v47, 0x3fb8aa3b, v17, -v35
	v_rndne_f32_e32 v48, v35
	s_delay_alu instid0(VALU_DEP_2) | instskip(NEXT) | instid1(VALU_DEP_2)
	v_fmac_f32_e32 v47, 0x32a5705f, v17
	v_sub_f32_e32 v35, v35, v48
	v_cvt_i32_f32_e32 v48, v48
	s_waitcnt vmcnt(5)
	v_fmac_f32_e32 v7, v27, v10
	v_cndmask_b32_e64 v10, 0, v36, s2
	v_add_f32_e32 v35, v35, v47
	s_waitcnt vmcnt(4)
	s_delay_alu instid0(VALU_DEP_3) | instskip(NEXT) | instid1(VALU_DEP_2)
	v_fmac_f32_e32 v7, v28, v9
	v_exp_f32_e32 v35, v35
	s_waitcnt_depctr 0xfff
	v_ldexp_f32 v35, v35, v48
	s_delay_alu instid0(VALU_DEP_1) | instskip(NEXT) | instid1(VALU_DEP_1)
	v_cndmask_b32_e64 v11, 0, v35, s1
	v_cndmask_b32_e32 v11, 0x7f800000, v11, vcc_lo
	v_mul_f32_e32 v37, 0x3fb8aa3b, v21
	v_cmp_nlt_f32_e32 vcc_lo, 0x42b17218, v19
	s_delay_alu instid0(VALU_DEP_3) | instskip(NEXT) | instid1(VALU_DEP_3)
	v_fmac_f32_e32 v8, v11, v18
	v_fma_f32 v51, 0x3fb8aa3b, v21, -v37
	v_rndne_f32_e32 v52, v37
	s_waitcnt vmcnt(3)
	v_dual_cndmask_b32 v10, 0x7f800000, v10 :: v_dual_fmac_f32 v7, v29, v11
	v_cmp_nlt_f32_e32 vcc_lo, 0x42b17218, v21
	v_fmac_f32_e32 v51, 0x32a5705f, v21
	v_sub_f32_e32 v37, v37, v52
	v_cvt_i32_f32_e32 v52, v52
	v_cndmask_b32_e64 v11, 0, v38, s4
	v_fmac_f32_e32 v8, v10, v20
	s_waitcnt vmcnt(2)
	v_fmac_f32_e32 v7, v30, v10
	v_add_f32_e32 v37, v37, v51
	s_delay_alu instid0(VALU_DEP_1) | instskip(SKIP_2) | instid1(VALU_DEP_1)
	v_exp_f32_e32 v37, v37
	s_waitcnt_depctr 0xfff
	v_ldexp_f32 v37, v37, v52
	v_cndmask_b32_e64 v9, 0, v37, s3
	s_delay_alu instid0(VALU_DEP_1) | instskip(SKIP_1) | instid1(VALU_DEP_2)
	v_cndmask_b32_e32 v9, 0x7f800000, v9, vcc_lo
	v_cmp_nlt_f32_e32 vcc_lo, 0x42b17218, v23
	v_fmac_f32_e32 v8, v9, v22
	s_waitcnt vmcnt(1)
	v_dual_cndmask_b32 v10, 0x7f800000, v11 :: v_dual_fmac_f32 v7, v2, v9
	s_waitcnt vmcnt(0)
	s_delay_alu instid0(VALU_DEP_1)
	v_dual_fmac_f32 v8, v10, v24 :: v_dual_fmac_f32 v7, v3, v10
	s_cbranch_scc0 .LBB4_14
; %bb.15:
	s_and_b32 s0, s11, 7
	s_delay_alu instid0(SALU_CYCLE_1)
	s_cmp_eq_u32 s0, 0
	s_cbranch_scc0 .LBB4_18
	s_branch .LBB4_20
.LBB4_16:
	v_mov_b32_e32 v0, 0x7fc00000
	s_branch .LBB4_21
.LBB4_17:
	v_mov_b32_e32 v8, 0
	s_mov_b32 s12, 0
	s_and_b32 s0, s11, 7
	s_delay_alu instid0(SALU_CYCLE_1)
	s_cmp_eq_u32 s0, 0
	s_cbranch_scc1 .LBB4_20
.LBB4_18:
	v_lshl_or_b32 v0, s12, 6, v0
	v_mov_b32_e32 v1, 0
	s_lshl_b32 s1, s12, 3
	s_delay_alu instid0(SALU_CYCLE_1)
	s_add_i32 s1, s1, 0
	s_set_inst_prefetch_distance 0x1
	.p2align	6
.LBB4_19:                               ; =>This Inner Loop Header: Depth=1
	s_delay_alu instid0(VALU_DEP_1) | instskip(SKIP_2) | instid1(VALU_DEP_2)
	v_lshlrev_b64 v[2:3], 2, v[0:1]
	s_add_i32 s0, s0, -1
	v_add_nc_u32_e32 v0, 64, v0
	v_add_co_u32 v2, vcc_lo, s6, v2
	s_delay_alu instid0(VALU_DEP_3)
	v_add_co_ci_u32_e32 v3, vcc_lo, s7, v3, vcc_lo
	global_load_b32 v4, v[2:3], off
	v_mov_b32_e32 v2, s1
	s_add_i32 s1, s1, 8
	s_cmp_lg_u32 s0, 0
	ds_load_b64 v[2:3], v2
	s_waitcnt lgkmcnt(0)
	v_sub_f32_e32 v2, v2, v6
	s_delay_alu instid0(VALU_DEP_1) | instskip(SKIP_1) | instid1(VALU_DEP_2)
	v_mul_f32_e32 v9, 0x3fb8aa3b, v2
	v_cmp_ngt_f32_e32 vcc_lo, 0xc2ce8ed0, v2
	v_fma_f32 v10, 0x3fb8aa3b, v2, -v9
	v_rndne_f32_e32 v11, v9
	s_delay_alu instid0(VALU_DEP_1) | instskip(NEXT) | instid1(VALU_DEP_1)
	v_dual_fmac_f32 v10, 0x32a5705f, v2 :: v_dual_sub_f32 v9, v9, v11
	v_add_f32_e32 v9, v9, v10
	v_cvt_i32_f32_e32 v10, v11
	s_delay_alu instid0(VALU_DEP_2) | instskip(SKIP_2) | instid1(VALU_DEP_1)
	v_exp_f32_e32 v9, v9
	s_waitcnt_depctr 0xfff
	v_ldexp_f32 v9, v9, v10
	v_cndmask_b32_e32 v9, 0, v9, vcc_lo
	v_cmp_nlt_f32_e32 vcc_lo, 0x42b17218, v2
	s_delay_alu instid0(VALU_DEP_2) | instskip(SKIP_1) | instid1(VALU_DEP_1)
	v_cndmask_b32_e32 v2, 0x7f800000, v9, vcc_lo
	s_waitcnt vmcnt(0)
	v_dual_fmac_f32 v8, v2, v3 :: v_dual_fmac_f32 v7, v4, v2
	s_cbranch_scc1 .LBB4_19
.LBB4_20:
	s_set_inst_prefetch_distance 0x2
	s_delay_alu instid0(VALU_DEP_1) | instskip(NEXT) | instid1(VALU_DEP_1)
	v_div_scale_f32 v0, null, v8, v8, v7
	v_rcp_f32_e32 v1, v0
	s_waitcnt_depctr 0xfff
	v_fma_f32 v2, -v0, v1, 1.0
	s_delay_alu instid0(VALU_DEP_1) | instskip(SKIP_1) | instid1(VALU_DEP_1)
	v_fmac_f32_e32 v1, v2, v1
	v_div_scale_f32 v2, vcc_lo, v7, v8, v7
	v_mul_f32_e32 v3, v2, v1
	s_delay_alu instid0(VALU_DEP_1) | instskip(NEXT) | instid1(VALU_DEP_1)
	v_fma_f32 v4, -v0, v3, v2
	v_fmac_f32_e32 v3, v4, v1
	s_delay_alu instid0(VALU_DEP_1) | instskip(NEXT) | instid1(VALU_DEP_1)
	v_fma_f32 v0, -v0, v3, v2
	v_div_fmas_f32 v0, v0, v1, v3
	s_delay_alu instid0(VALU_DEP_1)
	v_div_fixup_f32 v0, v0, v8, v7
.LBB4_21:
	s_lshl_b32 s0, s10, 6
	s_delay_alu instid0(SALU_CYCLE_1) | instskip(NEXT) | instid1(SALU_CYCLE_1)
	s_ashr_i32 s1, s0, 31
	s_lshl_b64 s[0:1], s[0:1], 2
	s_delay_alu instid0(SALU_CYCLE_1)
	s_add_u32 s0, s8, s0
	s_addc_u32 s1, s9, s1
	global_store_b32 v5, v0, s[0:1]
	s_nop 0
	s_sendmsg sendmsg(MSG_DEALLOC_VGPRS)
	s_endpgm
	.section	.rodata,"a",@progbits
	.p2align	6, 0x0
	.amdhsa_kernel _ZL26flash_attn_combine_resultsILi64EEvPKfPK15HIP_vector_typeIfLj2EEPfi
		.amdhsa_group_segment_fixed_size 0
		.amdhsa_private_segment_fixed_size 0
		.amdhsa_kernarg_size 288
		.amdhsa_user_sgpr_count 13
		.amdhsa_user_sgpr_dispatch_ptr 0
		.amdhsa_user_sgpr_queue_ptr 0
		.amdhsa_user_sgpr_kernarg_segment_ptr 1
		.amdhsa_user_sgpr_dispatch_id 0
		.amdhsa_user_sgpr_private_segment_size 0
		.amdhsa_wavefront_size32 1
		.amdhsa_uses_dynamic_stack 0
		.amdhsa_enable_private_segment 0
		.amdhsa_system_sgpr_workgroup_id_x 1
		.amdhsa_system_sgpr_workgroup_id_y 1
		.amdhsa_system_sgpr_workgroup_id_z 1
		.amdhsa_system_sgpr_workgroup_info 0
		.amdhsa_system_vgpr_workitem_id 0
		.amdhsa_next_free_vgpr 55
		.amdhsa_next_free_sgpr 16
		.amdhsa_reserve_vcc 1
		.amdhsa_float_round_mode_32 0
		.amdhsa_float_round_mode_16_64 0
		.amdhsa_float_denorm_mode_32 3
		.amdhsa_float_denorm_mode_16_64 3
		.amdhsa_dx10_clamp 1
		.amdhsa_ieee_mode 1
		.amdhsa_fp16_overflow 0
		.amdhsa_workgroup_processor_mode 1
		.amdhsa_memory_ordered 1
		.amdhsa_forward_progress 0
		.amdhsa_shared_vgpr_count 0
		.amdhsa_exception_fp_ieee_invalid_op 0
		.amdhsa_exception_fp_denorm_src 0
		.amdhsa_exception_fp_ieee_div_zero 0
		.amdhsa_exception_fp_ieee_overflow 0
		.amdhsa_exception_fp_ieee_underflow 0
		.amdhsa_exception_fp_ieee_inexact 0
		.amdhsa_exception_int_div_zero 0
	.end_amdhsa_kernel
	.section	.text._ZL26flash_attn_combine_resultsILi64EEvPKfPK15HIP_vector_typeIfLj2EEPfi,"axG",@progbits,_ZL26flash_attn_combine_resultsILi64EEvPKfPK15HIP_vector_typeIfLj2EEPfi,comdat
.Lfunc_end4:
	.size	_ZL26flash_attn_combine_resultsILi64EEvPKfPK15HIP_vector_typeIfLj2EEPfi, .Lfunc_end4-_ZL26flash_attn_combine_resultsILi64EEvPKfPK15HIP_vector_typeIfLj2EEPfi
                                        ; -- End function
	.section	.AMDGPU.csdata,"",@progbits
; Kernel info:
; codeLenInByte = 2344
; NumSgprs: 18
; NumVgprs: 55
; ScratchSize: 0
; MemoryBound: 0
; FloatMode: 240
; IeeeMode: 1
; LDSByteSize: 0 bytes/workgroup (compile time only)
; SGPRBlocks: 2
; VGPRBlocks: 6
; NumSGPRsForWavesPerEU: 18
; NumVGPRsForWavesPerEU: 55
; Occupancy: 16
; WaveLimiterHint : 0
; COMPUTE_PGM_RSRC2:SCRATCH_EN: 0
; COMPUTE_PGM_RSRC2:USER_SGPR: 13
; COMPUTE_PGM_RSRC2:TRAP_HANDLER: 0
; COMPUTE_PGM_RSRC2:TGID_X_EN: 1
; COMPUTE_PGM_RSRC2:TGID_Y_EN: 1
; COMPUTE_PGM_RSRC2:TGID_Z_EN: 1
; COMPUTE_PGM_RSRC2:TIDIG_COMP_CNT: 0
	.text
	.p2align	2                               ; -- Begin function __ockl_printf_append_string_n
	.type	__ockl_printf_append_string_n,@function
__ockl_printf_append_string_n:          ; @__ockl_printf_append_string_n
; %bb.0:
	s_waitcnt vmcnt(0) expcnt(0) lgkmcnt(0)
	v_dual_mov_b32 v7, v3 :: v_dual_mov_b32 v6, v2
	v_mov_b32_e32 v3, v0
	v_mbcnt_lo_u32_b32 v32, -1, 0
	s_mov_b32 s0, exec_lo
	s_delay_alu instid0(VALU_DEP_3)
	v_cmpx_ne_u64_e32 0, v[6:7]
	s_xor_b32 s10, exec_lo, s0
	s_cbranch_execz .LBB5_86
; %bb.1:
	s_load_b64 s[2:3], s[8:9], 0x50
	v_dual_mov_b32 v10, 2 :: v_dual_and_b32 v33, 2, v3
	v_dual_mov_b32 v9, 0 :: v_dual_and_b32 v0, -3, v3
	v_mov_b32_e32 v11, 1
	s_mov_b32 s12, 0
	s_mov_b32 s11, 0
	s_branch .LBB5_3
.LBB5_2:                                ;   in Loop: Header=BB5_3 Depth=1
	s_or_b32 exec_lo, exec_lo, s1
	v_sub_co_u32 v4, vcc_lo, v4, v28
	v_sub_co_ci_u32_e32 v5, vcc_lo, v5, v29, vcc_lo
	v_add_co_u32 v6, s0, v6, v28
	s_delay_alu instid0(VALU_DEP_1) | instskip(NEXT) | instid1(VALU_DEP_3)
	v_add_co_ci_u32_e64 v7, s0, v7, v29, s0
	v_cmp_eq_u64_e32 vcc_lo, 0, v[4:5]
	s_or_b32 s11, vcc_lo, s11
	s_delay_alu instid0(SALU_CYCLE_1)
	s_and_not1_b32 exec_lo, exec_lo, s11
	s_cbranch_execz .LBB5_85
.LBB5_3:                                ; =>This Loop Header: Depth=1
                                        ;     Child Loop BB5_6 Depth 2
                                        ;     Child Loop BB5_14 Depth 2
	;; [unrolled: 1-line block ×11, first 2 shown]
	v_cmp_gt_u64_e32 vcc_lo, 56, v[4:5]
	s_mov_b32 s1, exec_lo
                                        ; implicit-def: $vgpr2_vgpr3
                                        ; implicit-def: $sgpr4
	v_dual_cndmask_b32 v29, 0, v5 :: v_dual_cndmask_b32 v28, 56, v4
	v_cmpx_gt_u64_e32 8, v[4:5]
	s_xor_b32 s1, exec_lo, s1
	s_cbranch_execz .LBB5_9
; %bb.4:                                ;   in Loop: Header=BB5_3 Depth=1
	s_waitcnt vmcnt(0)
	v_mov_b32_e32 v2, 0
	v_mov_b32_e32 v3, 0
	s_mov_b64 s[4:5], 0
	s_mov_b32 s6, exec_lo
	v_cmpx_ne_u64_e32 0, v[4:5]
	s_cbranch_execz .LBB5_8
; %bb.5:                                ;   in Loop: Header=BB5_3 Depth=1
	v_lshlrev_b64 v[12:13], 3, v[28:29]
	v_mov_b32_e32 v2, 0
	v_dual_mov_b32 v3, 0 :: v_dual_mov_b32 v14, v7
	v_mov_b32_e32 v13, v6
	s_mov_b32 s7, 0
	.p2align	6
.LBB5_6:                                ;   Parent Loop BB5_3 Depth=1
                                        ; =>  This Inner Loop Header: Depth=2
	flat_load_u8 v8, v[13:14]
	v_mov_b32_e32 v16, s12
	v_add_co_u32 v13, vcc_lo, v13, 1
	v_add_co_ci_u32_e32 v14, vcc_lo, 0, v14, vcc_lo
	s_waitcnt vmcnt(0) lgkmcnt(0)
	v_and_b32_e32 v15, 0xffff, v8
	s_delay_alu instid0(VALU_DEP_1) | instskip(SKIP_3) | instid1(VALU_DEP_2)
	v_lshlrev_b64 v[15:16], s4, v[15:16]
	s_add_u32 s4, s4, 8
	s_addc_u32 s5, s5, 0
	v_cmp_eq_u32_e64 s0, s4, v12
	v_or_b32_e32 v3, v16, v3
	s_delay_alu instid0(VALU_DEP_3) | instskip(NEXT) | instid1(VALU_DEP_3)
	v_or_b32_e32 v2, v15, v2
	s_or_b32 s7, s0, s7
	s_delay_alu instid0(SALU_CYCLE_1)
	s_and_not1_b32 exec_lo, exec_lo, s7
	s_cbranch_execnz .LBB5_6
; %bb.7:                                ;   in Loop: Header=BB5_3 Depth=1
	s_or_b32 exec_lo, exec_lo, s7
.LBB5_8:                                ;   in Loop: Header=BB5_3 Depth=1
	s_delay_alu instid0(SALU_CYCLE_1)
	s_or_b32 exec_lo, exec_lo, s6
	s_mov_b32 s4, 0
.LBB5_9:                                ;   in Loop: Header=BB5_3 Depth=1
	s_or_saveexec_b32 s0, s1
	v_dual_mov_b32 v8, s4 :: v_dual_mov_b32 v25, v7
	v_mov_b32_e32 v24, v6
	s_xor_b32 exec_lo, exec_lo, s0
	s_cbranch_execz .LBB5_11
; %bb.10:                               ;   in Loop: Header=BB5_3 Depth=1
	s_waitcnt vmcnt(0)
	flat_load_b64 v[2:3], v[6:7]
	v_add_co_u32 v24, vcc_lo, v6, 8
	v_add_co_ci_u32_e32 v25, vcc_lo, 0, v7, vcc_lo
	s_waitcnt vmcnt(0) lgkmcnt(0)
	v_and_b32_e32 v8, 0xff, v3
	v_and_b32_e32 v12, 0xff00, v3
	;; [unrolled: 1-line block ×4, first 2 shown]
	v_or3_b32 v2, v2, 0, 0
	s_delay_alu instid0(VALU_DEP_4) | instskip(SKIP_1) | instid1(VALU_DEP_2)
	v_or_b32_e32 v12, v8, v12
	v_add_nc_u32_e32 v8, -8, v28
	v_or3_b32 v3, v12, v13, v3
.LBB5_11:                               ;   in Loop: Header=BB5_3 Depth=1
	s_or_b32 exec_lo, exec_lo, s0
                                        ; implicit-def: $vgpr12_vgpr13
                                        ; implicit-def: $sgpr1
	s_delay_alu instid0(SALU_CYCLE_1) | instskip(NEXT) | instid1(VALU_DEP_2)
	s_mov_b32 s0, exec_lo
	v_cmpx_gt_u32_e32 8, v8
	s_xor_b32 s6, exec_lo, s0
	s_cbranch_execz .LBB5_17
; %bb.12:                               ;   in Loop: Header=BB5_3 Depth=1
	v_mov_b32_e32 v12, 0
	v_mov_b32_e32 v13, 0
	s_mov_b32 s7, exec_lo
	v_cmpx_ne_u32_e32 0, v8
	s_cbranch_execz .LBB5_16
; %bb.13:                               ;   in Loop: Header=BB5_3 Depth=1
	v_mov_b32_e32 v12, 0
	v_mov_b32_e32 v13, 0
	s_mov_b64 s[0:1], 0
	s_mov_b32 s13, 0
	s_mov_b64 s[4:5], 0
	.p2align	6
.LBB5_14:                               ;   Parent Loop BB5_3 Depth=1
                                        ; =>  This Inner Loop Header: Depth=2
	s_delay_alu instid0(SALU_CYCLE_1)
	v_add_co_u32 v14, vcc_lo, v24, s4
	v_add_co_ci_u32_e32 v15, vcc_lo, s5, v25, vcc_lo
	s_add_u32 s4, s4, 1
	s_addc_u32 s5, s5, 0
	v_cmp_eq_u32_e32 vcc_lo, s4, v8
	flat_load_u8 v14, v[14:15]
	s_waitcnt vmcnt(0) lgkmcnt(0)
	v_dual_mov_b32 v15, s12 :: v_dual_and_b32 v14, 0xffff, v14
	s_delay_alu instid0(VALU_DEP_1) | instskip(SKIP_3) | instid1(VALU_DEP_1)
	v_lshlrev_b64 v[14:15], s0, v[14:15]
	s_add_u32 s0, s0, 8
	s_addc_u32 s1, s1, 0
	s_or_b32 s13, vcc_lo, s13
	v_or_b32_e32 v13, v15, v13
	s_delay_alu instid0(VALU_DEP_2)
	v_or_b32_e32 v12, v14, v12
	s_and_not1_b32 exec_lo, exec_lo, s13
	s_cbranch_execnz .LBB5_14
; %bb.15:                               ;   in Loop: Header=BB5_3 Depth=1
	s_or_b32 exec_lo, exec_lo, s13
.LBB5_16:                               ;   in Loop: Header=BB5_3 Depth=1
	s_delay_alu instid0(SALU_CYCLE_1)
	s_or_b32 exec_lo, exec_lo, s7
	s_mov_b32 s1, 0
                                        ; implicit-def: $vgpr8
.LBB5_17:                               ;   in Loop: Header=BB5_3 Depth=1
	s_or_saveexec_b32 s0, s6
	v_mov_b32_e32 v16, s1
	s_xor_b32 exec_lo, exec_lo, s0
	s_cbranch_execz .LBB5_19
; %bb.18:                               ;   in Loop: Header=BB5_3 Depth=1
	flat_load_b64 v[12:13], v[24:25]
	v_add_co_u32 v24, vcc_lo, v24, 8
	v_add_nc_u32_e32 v16, -8, v8
	v_add_co_ci_u32_e32 v25, vcc_lo, 0, v25, vcc_lo
	s_waitcnt vmcnt(0) lgkmcnt(0)
	v_and_b32_e32 v14, 0xff, v13
	v_and_b32_e32 v15, 0xff00, v13
	;; [unrolled: 1-line block ×4, first 2 shown]
	v_or3_b32 v12, v12, 0, 0
	s_delay_alu instid0(VALU_DEP_4) | instskip(NEXT) | instid1(VALU_DEP_1)
	v_or_b32_e32 v14, v14, v15
	v_or3_b32 v13, v14, v17, v13
.LBB5_19:                               ;   in Loop: Header=BB5_3 Depth=1
	s_or_b32 exec_lo, exec_lo, s0
                                        ; implicit-def: $sgpr1
	s_delay_alu instid0(SALU_CYCLE_1)
	s_mov_b32 s0, exec_lo
	v_cmpx_gt_u32_e32 8, v16
	s_xor_b32 s6, exec_lo, s0
	s_cbranch_execz .LBB5_25
; %bb.20:                               ;   in Loop: Header=BB5_3 Depth=1
	v_mov_b32_e32 v14, 0
	v_mov_b32_e32 v15, 0
	s_mov_b32 s7, exec_lo
	v_cmpx_ne_u32_e32 0, v16
	s_cbranch_execz .LBB5_24
; %bb.21:                               ;   in Loop: Header=BB5_3 Depth=1
	v_mov_b32_e32 v14, 0
	v_mov_b32_e32 v15, 0
	s_mov_b64 s[0:1], 0
	s_mov_b32 s13, 0
	s_mov_b64 s[4:5], 0
	.p2align	6
.LBB5_22:                               ;   Parent Loop BB5_3 Depth=1
                                        ; =>  This Inner Loop Header: Depth=2
	s_delay_alu instid0(SALU_CYCLE_1)
	v_add_co_u32 v17, vcc_lo, v24, s4
	v_add_co_ci_u32_e32 v18, vcc_lo, s5, v25, vcc_lo
	s_add_u32 s4, s4, 1
	s_addc_u32 s5, s5, 0
	v_cmp_eq_u32_e32 vcc_lo, s4, v16
	flat_load_u8 v8, v[17:18]
	s_waitcnt vmcnt(0) lgkmcnt(0)
	v_dual_mov_b32 v18, s12 :: v_dual_and_b32 v17, 0xffff, v8
	s_delay_alu instid0(VALU_DEP_1) | instskip(SKIP_3) | instid1(VALU_DEP_1)
	v_lshlrev_b64 v[17:18], s0, v[17:18]
	s_add_u32 s0, s0, 8
	s_addc_u32 s1, s1, 0
	s_or_b32 s13, vcc_lo, s13
	v_or_b32_e32 v15, v18, v15
	s_delay_alu instid0(VALU_DEP_2)
	v_or_b32_e32 v14, v17, v14
	s_and_not1_b32 exec_lo, exec_lo, s13
	s_cbranch_execnz .LBB5_22
; %bb.23:                               ;   in Loop: Header=BB5_3 Depth=1
	s_or_b32 exec_lo, exec_lo, s13
.LBB5_24:                               ;   in Loop: Header=BB5_3 Depth=1
	s_delay_alu instid0(SALU_CYCLE_1)
	s_or_b32 exec_lo, exec_lo, s7
	s_mov_b32 s1, 0
                                        ; implicit-def: $vgpr16
.LBB5_25:                               ;   in Loop: Header=BB5_3 Depth=1
	s_or_saveexec_b32 s0, s6
	v_mov_b32_e32 v8, s1
	s_xor_b32 exec_lo, exec_lo, s0
	s_cbranch_execz .LBB5_27
; %bb.26:                               ;   in Loop: Header=BB5_3 Depth=1
	flat_load_b64 v[14:15], v[24:25]
	v_add_co_u32 v24, vcc_lo, v24, 8
	v_add_co_ci_u32_e32 v25, vcc_lo, 0, v25, vcc_lo
	s_waitcnt vmcnt(0) lgkmcnt(0)
	v_and_b32_e32 v8, 0xff, v15
	v_and_b32_e32 v17, 0xff00, v15
	v_and_b32_e32 v18, 0xff0000, v15
	v_and_b32_e32 v15, 0xff000000, v15
	v_or3_b32 v14, v14, 0, 0
	s_delay_alu instid0(VALU_DEP_4) | instskip(SKIP_1) | instid1(VALU_DEP_2)
	v_or_b32_e32 v17, v8, v17
	v_add_nc_u32_e32 v8, -8, v16
	v_or3_b32 v15, v17, v18, v15
.LBB5_27:                               ;   in Loop: Header=BB5_3 Depth=1
	s_or_b32 exec_lo, exec_lo, s0
                                        ; implicit-def: $vgpr16_vgpr17
                                        ; implicit-def: $sgpr1
	s_delay_alu instid0(SALU_CYCLE_1) | instskip(NEXT) | instid1(VALU_DEP_1)
	s_mov_b32 s0, exec_lo
	v_cmpx_gt_u32_e32 8, v8
	s_xor_b32 s6, exec_lo, s0
	s_cbranch_execz .LBB5_33
; %bb.28:                               ;   in Loop: Header=BB5_3 Depth=1
	v_mov_b32_e32 v16, 0
	v_mov_b32_e32 v17, 0
	s_mov_b32 s7, exec_lo
	v_cmpx_ne_u32_e32 0, v8
	s_cbranch_execz .LBB5_32
; %bb.29:                               ;   in Loop: Header=BB5_3 Depth=1
	v_mov_b32_e32 v16, 0
	v_mov_b32_e32 v17, 0
	s_mov_b64 s[0:1], 0
	s_mov_b32 s13, 0
	s_mov_b64 s[4:5], 0
	.p2align	6
.LBB5_30:                               ;   Parent Loop BB5_3 Depth=1
                                        ; =>  This Inner Loop Header: Depth=2
	s_delay_alu instid0(SALU_CYCLE_1)
	v_add_co_u32 v18, vcc_lo, v24, s4
	v_add_co_ci_u32_e32 v19, vcc_lo, s5, v25, vcc_lo
	s_add_u32 s4, s4, 1
	s_addc_u32 s5, s5, 0
	v_cmp_eq_u32_e32 vcc_lo, s4, v8
	flat_load_u8 v18, v[18:19]
	s_waitcnt vmcnt(0) lgkmcnt(0)
	v_dual_mov_b32 v19, s12 :: v_dual_and_b32 v18, 0xffff, v18
	s_delay_alu instid0(VALU_DEP_1) | instskip(SKIP_3) | instid1(VALU_DEP_1)
	v_lshlrev_b64 v[18:19], s0, v[18:19]
	s_add_u32 s0, s0, 8
	s_addc_u32 s1, s1, 0
	s_or_b32 s13, vcc_lo, s13
	v_or_b32_e32 v17, v19, v17
	s_delay_alu instid0(VALU_DEP_2)
	v_or_b32_e32 v16, v18, v16
	s_and_not1_b32 exec_lo, exec_lo, s13
	s_cbranch_execnz .LBB5_30
; %bb.31:                               ;   in Loop: Header=BB5_3 Depth=1
	s_or_b32 exec_lo, exec_lo, s13
.LBB5_32:                               ;   in Loop: Header=BB5_3 Depth=1
	s_delay_alu instid0(SALU_CYCLE_1)
	s_or_b32 exec_lo, exec_lo, s7
	s_mov_b32 s1, 0
                                        ; implicit-def: $vgpr8
.LBB5_33:                               ;   in Loop: Header=BB5_3 Depth=1
	s_or_saveexec_b32 s0, s6
	v_mov_b32_e32 v20, s1
	s_xor_b32 exec_lo, exec_lo, s0
	s_cbranch_execz .LBB5_35
; %bb.34:                               ;   in Loop: Header=BB5_3 Depth=1
	flat_load_b64 v[16:17], v[24:25]
	v_add_co_u32 v24, vcc_lo, v24, 8
	v_add_nc_u32_e32 v20, -8, v8
	v_add_co_ci_u32_e32 v25, vcc_lo, 0, v25, vcc_lo
	s_waitcnt vmcnt(0) lgkmcnt(0)
	v_and_b32_e32 v18, 0xff, v17
	v_and_b32_e32 v19, 0xff00, v17
	;; [unrolled: 1-line block ×4, first 2 shown]
	v_or3_b32 v16, v16, 0, 0
	s_delay_alu instid0(VALU_DEP_4) | instskip(NEXT) | instid1(VALU_DEP_1)
	v_or_b32_e32 v18, v18, v19
	v_or3_b32 v17, v18, v21, v17
.LBB5_35:                               ;   in Loop: Header=BB5_3 Depth=1
	s_or_b32 exec_lo, exec_lo, s0
                                        ; implicit-def: $sgpr1
	s_delay_alu instid0(SALU_CYCLE_1)
	s_mov_b32 s0, exec_lo
	v_cmpx_gt_u32_e32 8, v20
	s_xor_b32 s6, exec_lo, s0
	s_cbranch_execz .LBB5_41
; %bb.36:                               ;   in Loop: Header=BB5_3 Depth=1
	v_mov_b32_e32 v18, 0
	v_mov_b32_e32 v19, 0
	s_mov_b32 s7, exec_lo
	v_cmpx_ne_u32_e32 0, v20
	s_cbranch_execz .LBB5_40
; %bb.37:                               ;   in Loop: Header=BB5_3 Depth=1
	v_mov_b32_e32 v18, 0
	v_mov_b32_e32 v19, 0
	s_mov_b64 s[0:1], 0
	s_mov_b32 s13, 0
	s_mov_b64 s[4:5], 0
	.p2align	6
.LBB5_38:                               ;   Parent Loop BB5_3 Depth=1
                                        ; =>  This Inner Loop Header: Depth=2
	s_delay_alu instid0(SALU_CYCLE_1)
	v_add_co_u32 v21, vcc_lo, v24, s4
	v_add_co_ci_u32_e32 v22, vcc_lo, s5, v25, vcc_lo
	s_add_u32 s4, s4, 1
	s_addc_u32 s5, s5, 0
	v_cmp_eq_u32_e32 vcc_lo, s4, v20
	flat_load_u8 v8, v[21:22]
	s_waitcnt vmcnt(0) lgkmcnt(0)
	v_dual_mov_b32 v22, s12 :: v_dual_and_b32 v21, 0xffff, v8
	s_delay_alu instid0(VALU_DEP_1) | instskip(SKIP_3) | instid1(VALU_DEP_1)
	v_lshlrev_b64 v[21:22], s0, v[21:22]
	s_add_u32 s0, s0, 8
	s_addc_u32 s1, s1, 0
	s_or_b32 s13, vcc_lo, s13
	v_or_b32_e32 v19, v22, v19
	s_delay_alu instid0(VALU_DEP_2)
	v_or_b32_e32 v18, v21, v18
	s_and_not1_b32 exec_lo, exec_lo, s13
	s_cbranch_execnz .LBB5_38
; %bb.39:                               ;   in Loop: Header=BB5_3 Depth=1
	s_or_b32 exec_lo, exec_lo, s13
.LBB5_40:                               ;   in Loop: Header=BB5_3 Depth=1
	s_delay_alu instid0(SALU_CYCLE_1)
	s_or_b32 exec_lo, exec_lo, s7
	s_mov_b32 s1, 0
                                        ; implicit-def: $vgpr20
.LBB5_41:                               ;   in Loop: Header=BB5_3 Depth=1
	s_or_saveexec_b32 s0, s6
	v_mov_b32_e32 v8, s1
	s_xor_b32 exec_lo, exec_lo, s0
	s_cbranch_execz .LBB5_43
; %bb.42:                               ;   in Loop: Header=BB5_3 Depth=1
	flat_load_b64 v[18:19], v[24:25]
	v_add_co_u32 v24, vcc_lo, v24, 8
	v_add_co_ci_u32_e32 v25, vcc_lo, 0, v25, vcc_lo
	s_waitcnt vmcnt(0) lgkmcnt(0)
	v_and_b32_e32 v8, 0xff, v19
	v_and_b32_e32 v21, 0xff00, v19
	;; [unrolled: 1-line block ×4, first 2 shown]
	v_or3_b32 v18, v18, 0, 0
	s_delay_alu instid0(VALU_DEP_4) | instskip(SKIP_1) | instid1(VALU_DEP_2)
	v_or_b32_e32 v21, v8, v21
	v_add_nc_u32_e32 v8, -8, v20
	v_or3_b32 v19, v21, v22, v19
.LBB5_43:                               ;   in Loop: Header=BB5_3 Depth=1
	s_or_b32 exec_lo, exec_lo, s0
                                        ; implicit-def: $vgpr20_vgpr21
                                        ; implicit-def: $sgpr1
	s_delay_alu instid0(SALU_CYCLE_1) | instskip(NEXT) | instid1(VALU_DEP_1)
	s_mov_b32 s0, exec_lo
	v_cmpx_gt_u32_e32 8, v8
	s_xor_b32 s6, exec_lo, s0
	s_cbranch_execz .LBB5_49
; %bb.44:                               ;   in Loop: Header=BB5_3 Depth=1
	v_mov_b32_e32 v20, 0
	v_mov_b32_e32 v21, 0
	s_mov_b32 s7, exec_lo
	v_cmpx_ne_u32_e32 0, v8
	s_cbranch_execz .LBB5_48
; %bb.45:                               ;   in Loop: Header=BB5_3 Depth=1
	v_mov_b32_e32 v20, 0
	v_mov_b32_e32 v21, 0
	s_mov_b64 s[0:1], 0
	s_mov_b32 s13, 0
	s_mov_b64 s[4:5], 0
	.p2align	6
.LBB5_46:                               ;   Parent Loop BB5_3 Depth=1
                                        ; =>  This Inner Loop Header: Depth=2
	s_delay_alu instid0(SALU_CYCLE_1)
	v_add_co_u32 v22, vcc_lo, v24, s4
	v_add_co_ci_u32_e32 v23, vcc_lo, s5, v25, vcc_lo
	s_add_u32 s4, s4, 1
	s_addc_u32 s5, s5, 0
	v_cmp_eq_u32_e32 vcc_lo, s4, v8
	flat_load_u8 v22, v[22:23]
	s_waitcnt vmcnt(0) lgkmcnt(0)
	v_dual_mov_b32 v23, s12 :: v_dual_and_b32 v22, 0xffff, v22
	s_delay_alu instid0(VALU_DEP_1) | instskip(SKIP_3) | instid1(VALU_DEP_1)
	v_lshlrev_b64 v[22:23], s0, v[22:23]
	s_add_u32 s0, s0, 8
	s_addc_u32 s1, s1, 0
	s_or_b32 s13, vcc_lo, s13
	v_or_b32_e32 v21, v23, v21
	s_delay_alu instid0(VALU_DEP_2)
	v_or_b32_e32 v20, v22, v20
	s_and_not1_b32 exec_lo, exec_lo, s13
	s_cbranch_execnz .LBB5_46
; %bb.47:                               ;   in Loop: Header=BB5_3 Depth=1
	s_or_b32 exec_lo, exec_lo, s13
.LBB5_48:                               ;   in Loop: Header=BB5_3 Depth=1
	s_delay_alu instid0(SALU_CYCLE_1)
	s_or_b32 exec_lo, exec_lo, s7
	s_mov_b32 s1, 0
                                        ; implicit-def: $vgpr8
.LBB5_49:                               ;   in Loop: Header=BB5_3 Depth=1
	s_or_saveexec_b32 s0, s6
	v_mov_b32_e32 v26, s1
	s_xor_b32 exec_lo, exec_lo, s0
	s_cbranch_execz .LBB5_51
; %bb.50:                               ;   in Loop: Header=BB5_3 Depth=1
	flat_load_b64 v[20:21], v[24:25]
	v_add_co_u32 v24, vcc_lo, v24, 8
	v_add_nc_u32_e32 v26, -8, v8
	v_add_co_ci_u32_e32 v25, vcc_lo, 0, v25, vcc_lo
	s_waitcnt vmcnt(0) lgkmcnt(0)
	v_and_b32_e32 v22, 0xff, v21
	v_and_b32_e32 v23, 0xff00, v21
	;; [unrolled: 1-line block ×4, first 2 shown]
	v_or3_b32 v20, v20, 0, 0
	s_delay_alu instid0(VALU_DEP_4) | instskip(NEXT) | instid1(VALU_DEP_1)
	v_or_b32_e32 v22, v22, v23
	v_or3_b32 v21, v22, v27, v21
.LBB5_51:                               ;   in Loop: Header=BB5_3 Depth=1
	s_or_b32 exec_lo, exec_lo, s0
	s_delay_alu instid0(SALU_CYCLE_1)
	s_mov_b32 s0, exec_lo
	v_cmpx_gt_u32_e32 8, v26
	s_xor_b32 s4, exec_lo, s0
	s_cbranch_execz .LBB5_57
; %bb.52:                               ;   in Loop: Header=BB5_3 Depth=1
	v_mov_b32_e32 v22, 0
	v_mov_b32_e32 v23, 0
	s_mov_b32 s5, exec_lo
	v_cmpx_ne_u32_e32 0, v26
	s_cbranch_execz .LBB5_56
; %bb.53:                               ;   in Loop: Header=BB5_3 Depth=1
	v_mov_b32_e32 v22, 0
	v_mov_b32_e32 v23, 0
	s_mov_b64 s[0:1], 0
	s_mov_b32 s6, 0
	.p2align	6
.LBB5_54:                               ;   Parent Loop BB5_3 Depth=1
                                        ; =>  This Inner Loop Header: Depth=2
	flat_load_u8 v8, v[24:25]
	v_dual_mov_b32 v31, s12 :: v_dual_add_nc_u32 v26, -1, v26
	v_add_co_u32 v24, vcc_lo, v24, 1
	v_add_co_ci_u32_e32 v25, vcc_lo, 0, v25, vcc_lo
	s_delay_alu instid0(VALU_DEP_3) | instskip(SKIP_2) | instid1(VALU_DEP_1)
	v_cmp_eq_u32_e32 vcc_lo, 0, v26
	s_waitcnt vmcnt(0) lgkmcnt(0)
	v_and_b32_e32 v30, 0xffff, v8
	v_lshlrev_b64 v[30:31], s0, v[30:31]
	s_add_u32 s0, s0, 8
	s_addc_u32 s1, s1, 0
	s_or_b32 s6, vcc_lo, s6
	s_delay_alu instid0(VALU_DEP_1) | instskip(NEXT) | instid1(VALU_DEP_2)
	v_or_b32_e32 v23, v31, v23
	v_or_b32_e32 v22, v30, v22
	s_and_not1_b32 exec_lo, exec_lo, s6
	s_cbranch_execnz .LBB5_54
; %bb.55:                               ;   in Loop: Header=BB5_3 Depth=1
	s_or_b32 exec_lo, exec_lo, s6
.LBB5_56:                               ;   in Loop: Header=BB5_3 Depth=1
	s_delay_alu instid0(SALU_CYCLE_1)
	s_or_b32 exec_lo, exec_lo, s5
                                        ; implicit-def: $vgpr24_vgpr25
.LBB5_57:                               ;   in Loop: Header=BB5_3 Depth=1
	s_and_not1_saveexec_b32 s0, s4
	s_cbranch_execz .LBB5_59
; %bb.58:                               ;   in Loop: Header=BB5_3 Depth=1
	flat_load_b64 v[22:23], v[24:25]
	s_waitcnt vmcnt(0) lgkmcnt(0)
	v_and_b32_e32 v8, 0xff, v23
	v_and_b32_e32 v24, 0xff00, v23
	;; [unrolled: 1-line block ×4, first 2 shown]
	v_or3_b32 v22, v22, 0, 0
	s_delay_alu instid0(VALU_DEP_4) | instskip(NEXT) | instid1(VALU_DEP_1)
	v_or_b32_e32 v8, v8, v24
	v_or3_b32 v23, v8, v25, v23
.LBB5_59:                               ;   in Loop: Header=BB5_3 Depth=1
	s_or_b32 exec_lo, exec_lo, s0
	v_readfirstlane_b32 s0, v32
	v_mov_b32_e32 v30, 0
	v_mov_b32_e32 v31, 0
	s_delay_alu instid0(VALU_DEP_3) | instskip(NEXT) | instid1(VALU_DEP_1)
	v_cmp_eq_u32_e64 s0, s0, v32
	s_and_saveexec_b32 s1, s0
	s_cbranch_execz .LBB5_65
; %bb.60:                               ;   in Loop: Header=BB5_3 Depth=1
	s_waitcnt lgkmcnt(0)
	global_load_b64 v[26:27], v9, s[2:3] offset:24 glc
	s_waitcnt vmcnt(0)
	buffer_gl1_inv
	buffer_gl0_inv
	s_clause 0x1
	global_load_b64 v[24:25], v9, s[2:3] offset:40
	global_load_b64 v[30:31], v9, s[2:3]
	s_mov_b32 s4, exec_lo
	s_waitcnt vmcnt(1)
	v_and_b32_e32 v8, v25, v27
	v_and_b32_e32 v24, v24, v26
	s_delay_alu instid0(VALU_DEP_2) | instskip(NEXT) | instid1(VALU_DEP_2)
	v_mul_lo_u32 v8, v8, 24
	v_mul_hi_u32 v25, v24, 24
	v_mul_lo_u32 v24, v24, 24
	s_delay_alu instid0(VALU_DEP_2) | instskip(SKIP_1) | instid1(VALU_DEP_2)
	v_add_nc_u32_e32 v8, v25, v8
	s_waitcnt vmcnt(0)
	v_add_co_u32 v24, vcc_lo, v30, v24
	s_delay_alu instid0(VALU_DEP_2)
	v_add_co_ci_u32_e32 v25, vcc_lo, v31, v8, vcc_lo
	global_load_b64 v[24:25], v[24:25], off glc
	s_waitcnt vmcnt(0)
	global_atomic_cmpswap_b64 v[30:31], v9, v[24:27], s[2:3] offset:24 glc
	s_waitcnt vmcnt(0)
	buffer_gl1_inv
	buffer_gl0_inv
	v_cmpx_ne_u64_e64 v[30:31], v[26:27]
	s_cbranch_execz .LBB5_64
; %bb.61:                               ;   in Loop: Header=BB5_3 Depth=1
	s_mov_b32 s5, 0
	.p2align	6
.LBB5_62:                               ;   Parent Loop BB5_3 Depth=1
                                        ; =>  This Inner Loop Header: Depth=2
	s_sleep 1
	s_clause 0x1
	global_load_b64 v[24:25], v9, s[2:3] offset:40
	global_load_b64 v[34:35], v9, s[2:3]
	v_dual_mov_b32 v26, v30 :: v_dual_mov_b32 v27, v31
	s_waitcnt vmcnt(1)
	s_delay_alu instid0(VALU_DEP_1) | instskip(SKIP_1) | instid1(VALU_DEP_1)
	v_and_b32_e32 v8, v24, v26
	s_waitcnt vmcnt(0)
	v_mad_u64_u32 v[30:31], null, v8, 24, v[34:35]
	v_and_b32_e32 v34, v25, v27
	s_delay_alu instid0(VALU_DEP_2) | instskip(NEXT) | instid1(VALU_DEP_1)
	v_mov_b32_e32 v8, v31
	v_mad_u64_u32 v[24:25], null, v34, 24, v[8:9]
	s_delay_alu instid0(VALU_DEP_1)
	v_mov_b32_e32 v31, v24
	global_load_b64 v[24:25], v[30:31], off glc
	s_waitcnt vmcnt(0)
	global_atomic_cmpswap_b64 v[30:31], v9, v[24:27], s[2:3] offset:24 glc
	s_waitcnt vmcnt(0)
	buffer_gl1_inv
	buffer_gl0_inv
	v_cmp_eq_u64_e32 vcc_lo, v[30:31], v[26:27]
	s_or_b32 s5, vcc_lo, s5
	s_delay_alu instid0(SALU_CYCLE_1)
	s_and_not1_b32 exec_lo, exec_lo, s5
	s_cbranch_execnz .LBB5_62
; %bb.63:                               ;   in Loop: Header=BB5_3 Depth=1
	s_or_b32 exec_lo, exec_lo, s5
.LBB5_64:                               ;   in Loop: Header=BB5_3 Depth=1
	s_delay_alu instid0(SALU_CYCLE_1)
	s_or_b32 exec_lo, exec_lo, s4
.LBB5_65:                               ;   in Loop: Header=BB5_3 Depth=1
	s_delay_alu instid0(SALU_CYCLE_1)
	s_or_b32 exec_lo, exec_lo, s1
	s_waitcnt lgkmcnt(0)
	s_clause 0x1
	global_load_b64 v[34:35], v9, s[2:3] offset:40
	global_load_b128 v[24:27], v9, s[2:3]
	v_readfirstlane_b32 s4, v30
	v_readfirstlane_b32 s5, v31
	s_mov_b32 s1, exec_lo
	s_waitcnt vmcnt(1)
	v_readfirstlane_b32 s6, v34
	v_readfirstlane_b32 s7, v35
	s_delay_alu instid0(VALU_DEP_1) | instskip(NEXT) | instid1(SALU_CYCLE_1)
	s_and_b64 s[6:7], s[4:5], s[6:7]
	s_mul_i32 s13, s7, 24
	s_mul_hi_u32 s14, s6, 24
	s_mul_i32 s15, s6, 24
	s_add_i32 s14, s14, s13
	s_waitcnt vmcnt(0)
	v_add_co_u32 v30, vcc_lo, v24, s15
	v_add_co_ci_u32_e32 v31, vcc_lo, s14, v25, vcc_lo
	s_and_saveexec_b32 s13, s0
	s_cbranch_execz .LBB5_67
; %bb.66:                               ;   in Loop: Header=BB5_3 Depth=1
	v_mov_b32_e32 v8, s1
	global_store_b128 v[30:31], v[8:11], off offset:8
.LBB5_67:                               ;   in Loop: Header=BB5_3 Depth=1
	s_or_b32 exec_lo, exec_lo, s13
	v_cmp_lt_u64_e32 vcc_lo, 56, v[4:5]
	v_or_b32_e32 v8, 0, v1
	v_or_b32_e32 v34, v0, v33
	v_lshl_add_u32 v35, v28, 2, 28
	s_lshl_b64 s[6:7], s[6:7], 12
	s_delay_alu instid0(SALU_CYCLE_1) | instskip(NEXT) | instid1(VALU_DEP_1)
	v_add_co_u32 v26, s1, v26, s6
	v_add_co_ci_u32_e64 v27, s1, s7, v27, s1
	v_dual_cndmask_b32 v1, v8, v1 :: v_dual_cndmask_b32 v0, v34, v0
	v_and_b32_e32 v8, 0x1e0, v35
	v_lshlrev_b32_e32 v34, 6, v32
	v_readfirstlane_b32 s6, v26
	v_readfirstlane_b32 s7, v27
	s_delay_alu instid0(VALU_DEP_4)
	v_and_or_b32 v0, 0xffffff1f, v0, v8
	s_clause 0x3
	global_store_b128 v34, v[0:3], s[6:7]
	global_store_b128 v34, v[12:15], s[6:7] offset:16
	global_store_b128 v34, v[16:19], s[6:7] offset:32
	;; [unrolled: 1-line block ×3, first 2 shown]
	s_and_saveexec_b32 s1, s0
	s_cbranch_execz .LBB5_75
; %bb.68:                               ;   in Loop: Header=BB5_3 Depth=1
	s_clause 0x1
	global_load_b64 v[16:17], v9, s[2:3] offset:32 glc
	global_load_b64 v[0:1], v9, s[2:3] offset:40
	v_dual_mov_b32 v14, s4 :: v_dual_mov_b32 v15, s5
	s_waitcnt vmcnt(0)
	v_readfirstlane_b32 s6, v0
	v_readfirstlane_b32 s7, v1
	s_delay_alu instid0(VALU_DEP_1) | instskip(NEXT) | instid1(SALU_CYCLE_1)
	s_and_b64 s[6:7], s[6:7], s[4:5]
	s_mul_i32 s7, s7, 24
	s_mul_hi_u32 s13, s6, 24
	s_mul_i32 s6, s6, 24
	s_add_i32 s13, s13, s7
	v_add_co_u32 v12, vcc_lo, v24, s6
	v_add_co_ci_u32_e32 v13, vcc_lo, s13, v25, vcc_lo
	s_mov_b32 s6, exec_lo
	global_store_b64 v[12:13], v[16:17], off
	s_waitcnt_vscnt null, 0x0
	global_atomic_cmpswap_b64 v[2:3], v9, v[14:17], s[2:3] offset:32 glc
	s_waitcnt vmcnt(0)
	v_cmpx_ne_u64_e64 v[2:3], v[16:17]
	s_cbranch_execz .LBB5_71
; %bb.69:                               ;   in Loop: Header=BB5_3 Depth=1
	s_mov_b32 s7, 0
.LBB5_70:                               ;   Parent Loop BB5_3 Depth=1
                                        ; =>  This Inner Loop Header: Depth=2
	v_dual_mov_b32 v0, s4 :: v_dual_mov_b32 v1, s5
	s_sleep 1
	global_store_b64 v[12:13], v[2:3], off
	s_waitcnt_vscnt null, 0x0
	global_atomic_cmpswap_b64 v[0:1], v9, v[0:3], s[2:3] offset:32 glc
	s_waitcnt vmcnt(0)
	v_cmp_eq_u64_e32 vcc_lo, v[0:1], v[2:3]
	v_dual_mov_b32 v3, v1 :: v_dual_mov_b32 v2, v0
	s_or_b32 s7, vcc_lo, s7
	s_delay_alu instid0(SALU_CYCLE_1)
	s_and_not1_b32 exec_lo, exec_lo, s7
	s_cbranch_execnz .LBB5_70
.LBB5_71:                               ;   in Loop: Header=BB5_3 Depth=1
	s_or_b32 exec_lo, exec_lo, s6
	global_load_b64 v[0:1], v9, s[2:3] offset:16
	s_mov_b32 s7, exec_lo
	s_mov_b32 s6, exec_lo
	v_mbcnt_lo_u32_b32 v2, s7, 0
	s_delay_alu instid0(VALU_DEP_1)
	v_cmpx_eq_u32_e32 0, v2
	s_cbranch_execz .LBB5_73
; %bb.72:                               ;   in Loop: Header=BB5_3 Depth=1
	s_bcnt1_i32_b32 s7, s7
	s_delay_alu instid0(SALU_CYCLE_1)
	v_mov_b32_e32 v8, s7
	s_waitcnt vmcnt(0)
	global_atomic_add_u64 v[0:1], v[8:9], off offset:8
.LBB5_73:                               ;   in Loop: Header=BB5_3 Depth=1
	s_or_b32 exec_lo, exec_lo, s6
	s_waitcnt vmcnt(0)
	global_load_b64 v[2:3], v[0:1], off offset:16
	s_waitcnt vmcnt(0)
	v_cmp_eq_u64_e32 vcc_lo, 0, v[2:3]
	s_cbranch_vccnz .LBB5_75
; %bb.74:                               ;   in Loop: Header=BB5_3 Depth=1
	global_load_b32 v8, v[0:1], off offset:24
	s_waitcnt vmcnt(0)
	v_and_b32_e32 v0, 0xffffff, v8
	s_waitcnt_vscnt null, 0x0
	global_store_b64 v[2:3], v[8:9], off
	v_readfirstlane_b32 m0, v0
	s_sendmsg sendmsg(MSG_INTERRUPT)
.LBB5_75:                               ;   in Loop: Header=BB5_3 Depth=1
	s_or_b32 exec_lo, exec_lo, s1
	v_add_co_u32 v0, vcc_lo, v26, v34
	v_add_co_ci_u32_e32 v1, vcc_lo, 0, v27, vcc_lo
	s_branch .LBB5_79
	.p2align	6
.LBB5_76:                               ;   in Loop: Header=BB5_79 Depth=2
	s_or_b32 exec_lo, exec_lo, s1
	s_delay_alu instid0(VALU_DEP_1) | instskip(NEXT) | instid1(VALU_DEP_1)
	v_readfirstlane_b32 s1, v2
	s_cmp_eq_u32 s1, 0
	s_cbranch_scc1 .LBB5_78
; %bb.77:                               ;   in Loop: Header=BB5_79 Depth=2
	s_sleep 1
	s_cbranch_execnz .LBB5_79
	s_branch .LBB5_81
	.p2align	6
.LBB5_78:                               ;   in Loop: Header=BB5_3 Depth=1
	s_branch .LBB5_81
.LBB5_79:                               ;   Parent Loop BB5_3 Depth=1
                                        ; =>  This Inner Loop Header: Depth=2
	v_mov_b32_e32 v2, 1
	s_and_saveexec_b32 s1, s0
	s_cbranch_execz .LBB5_76
; %bb.80:                               ;   in Loop: Header=BB5_79 Depth=2
	global_load_b32 v2, v[30:31], off offset:20 glc
	s_waitcnt vmcnt(0)
	buffer_gl1_inv
	buffer_gl0_inv
	v_and_b32_e32 v2, 1, v2
	s_branch .LBB5_76
.LBB5_81:                               ;   in Loop: Header=BB5_3 Depth=1
	global_load_b128 v[0:3], v[0:1], off
	s_and_saveexec_b32 s1, s0
	s_cbranch_execz .LBB5_2
; %bb.82:                               ;   in Loop: Header=BB5_3 Depth=1
	s_clause 0x2
	global_load_b64 v[2:3], v9, s[2:3] offset:40
	global_load_b64 v[16:17], v9, s[2:3] offset:24 glc
	global_load_b64 v[14:15], v9, s[2:3]
	s_waitcnt vmcnt(2)
	v_add_co_u32 v8, vcc_lo, v2, 1
	v_add_co_ci_u32_e32 v18, vcc_lo, 0, v3, vcc_lo
	s_delay_alu instid0(VALU_DEP_2) | instskip(NEXT) | instid1(VALU_DEP_2)
	v_add_co_u32 v12, vcc_lo, v8, s4
	v_add_co_ci_u32_e32 v13, vcc_lo, s5, v18, vcc_lo
	s_delay_alu instid0(VALU_DEP_1) | instskip(SKIP_1) | instid1(VALU_DEP_1)
	v_cmp_eq_u64_e32 vcc_lo, 0, v[12:13]
	v_dual_cndmask_b32 v13, v13, v18 :: v_dual_cndmask_b32 v12, v12, v8
	v_and_b32_e32 v3, v13, v3
	s_delay_alu instid0(VALU_DEP_2) | instskip(NEXT) | instid1(VALU_DEP_1)
	v_and_b32_e32 v2, v12, v2
	v_mul_hi_u32 v8, v2, 24
	v_mul_lo_u32 v2, v2, 24
	s_waitcnt vmcnt(0)
	s_delay_alu instid0(VALU_DEP_1) | instskip(SKIP_2) | instid1(VALU_DEP_1)
	v_add_co_u32 v2, vcc_lo, v14, v2
	v_mov_b32_e32 v14, v16
	v_mul_lo_u32 v3, v3, 24
	v_add_nc_u32_e32 v3, v8, v3
	s_delay_alu instid0(VALU_DEP_1)
	v_add_co_ci_u32_e32 v3, vcc_lo, v15, v3, vcc_lo
	v_mov_b32_e32 v15, v17
	global_store_b64 v[2:3], v[16:17], off
	s_waitcnt_vscnt null, 0x0
	global_atomic_cmpswap_b64 v[14:15], v9, v[12:15], s[2:3] offset:24 glc
	s_waitcnt vmcnt(0)
	v_cmp_ne_u64_e32 vcc_lo, v[14:15], v[16:17]
	s_and_b32 exec_lo, exec_lo, vcc_lo
	s_cbranch_execz .LBB5_2
; %bb.83:                               ;   in Loop: Header=BB5_3 Depth=1
	s_mov_b32 s0, 0
.LBB5_84:                               ;   Parent Loop BB5_3 Depth=1
                                        ; =>  This Inner Loop Header: Depth=2
	s_sleep 1
	global_store_b64 v[2:3], v[14:15], off
	s_waitcnt_vscnt null, 0x0
	global_atomic_cmpswap_b64 v[16:17], v9, v[12:15], s[2:3] offset:24 glc
	s_waitcnt vmcnt(0)
	v_cmp_eq_u64_e32 vcc_lo, v[16:17], v[14:15]
	v_dual_mov_b32 v14, v16 :: v_dual_mov_b32 v15, v17
	s_or_b32 s0, vcc_lo, s0
	s_delay_alu instid0(SALU_CYCLE_1)
	s_and_not1_b32 exec_lo, exec_lo, s0
	s_cbranch_execnz .LBB5_84
	s_branch .LBB5_2
.LBB5_85:
	s_or_b32 exec_lo, exec_lo, s11
                                        ; implicit-def: $vgpr3
                                        ; implicit-def: $vgpr32
.LBB5_86:
	s_and_not1_saveexec_b32 s1, s10
	s_cbranch_execz .LBB5_108
; %bb.87:
	s_load_b64 s[2:3], s[8:9], 0x50
	v_readfirstlane_b32 s0, v32
	v_mov_b32_e32 v8, 0
	v_mov_b32_e32 v9, 0
	s_delay_alu instid0(VALU_DEP_3) | instskip(NEXT) | instid1(VALU_DEP_1)
	v_cmp_eq_u32_e64 s0, s0, v32
	s_and_saveexec_b32 s4, s0
	s_cbranch_execz .LBB5_93
; %bb.88:
	s_waitcnt vmcnt(0)
	v_mov_b32_e32 v0, 0
	s_mov_b32 s5, exec_lo
	s_waitcnt lgkmcnt(0)
	global_load_b64 v[6:7], v0, s[2:3] offset:24 glc
	s_waitcnt vmcnt(0)
	buffer_gl1_inv
	buffer_gl0_inv
	s_clause 0x1
	global_load_b64 v[4:5], v0, s[2:3] offset:40
	global_load_b64 v[8:9], v0, s[2:3]
	s_waitcnt vmcnt(1)
	v_and_b32_e32 v2, v5, v7
	v_and_b32_e32 v4, v4, v6
	s_delay_alu instid0(VALU_DEP_2) | instskip(NEXT) | instid1(VALU_DEP_2)
	v_mul_lo_u32 v2, v2, 24
	v_mul_hi_u32 v5, v4, 24
	v_mul_lo_u32 v4, v4, 24
	s_delay_alu instid0(VALU_DEP_2) | instskip(SKIP_1) | instid1(VALU_DEP_2)
	v_add_nc_u32_e32 v2, v5, v2
	s_waitcnt vmcnt(0)
	v_add_co_u32 v4, vcc_lo, v8, v4
	s_delay_alu instid0(VALU_DEP_2)
	v_add_co_ci_u32_e32 v5, vcc_lo, v9, v2, vcc_lo
	global_load_b64 v[4:5], v[4:5], off glc
	s_waitcnt vmcnt(0)
	global_atomic_cmpswap_b64 v[8:9], v0, v[4:7], s[2:3] offset:24 glc
	s_waitcnt vmcnt(0)
	buffer_gl1_inv
	buffer_gl0_inv
	v_cmpx_ne_u64_e64 v[8:9], v[6:7]
	s_cbranch_execz .LBB5_92
; %bb.89:
	s_mov_b32 s6, 0
	.p2align	6
.LBB5_90:                               ; =>This Inner Loop Header: Depth=1
	s_sleep 1
	s_clause 0x1
	global_load_b64 v[4:5], v0, s[2:3] offset:40
	global_load_b64 v[10:11], v0, s[2:3]
	v_dual_mov_b32 v6, v8 :: v_dual_mov_b32 v7, v9
	s_waitcnt vmcnt(1)
	s_delay_alu instid0(VALU_DEP_1) | instskip(SKIP_1) | instid1(VALU_DEP_1)
	v_and_b32_e32 v2, v4, v6
	s_waitcnt vmcnt(0)
	v_mad_u64_u32 v[8:9], null, v2, 24, v[10:11]
	v_and_b32_e32 v10, v5, v7
	s_delay_alu instid0(VALU_DEP_2) | instskip(NEXT) | instid1(VALU_DEP_1)
	v_mov_b32_e32 v2, v9
	v_mad_u64_u32 v[4:5], null, v10, 24, v[2:3]
	s_delay_alu instid0(VALU_DEP_1)
	v_mov_b32_e32 v9, v4
	global_load_b64 v[4:5], v[8:9], off glc
	s_waitcnt vmcnt(0)
	global_atomic_cmpswap_b64 v[8:9], v0, v[4:7], s[2:3] offset:24 glc
	s_waitcnt vmcnt(0)
	buffer_gl1_inv
	buffer_gl0_inv
	v_cmp_eq_u64_e32 vcc_lo, v[8:9], v[6:7]
	s_or_b32 s6, vcc_lo, s6
	s_delay_alu instid0(SALU_CYCLE_1)
	s_and_not1_b32 exec_lo, exec_lo, s6
	s_cbranch_execnz .LBB5_90
; %bb.91:
	s_or_b32 exec_lo, exec_lo, s6
.LBB5_92:
	s_delay_alu instid0(SALU_CYCLE_1)
	s_or_b32 exec_lo, exec_lo, s5
.LBB5_93:
	s_delay_alu instid0(SALU_CYCLE_1)
	s_or_b32 exec_lo, exec_lo, s4
	s_waitcnt vmcnt(0)
	v_mov_b32_e32 v2, 0
	v_readfirstlane_b32 s4, v8
	v_readfirstlane_b32 s5, v9
	s_mov_b32 s8, exec_lo
	s_waitcnt lgkmcnt(0)
	s_clause 0x1
	global_load_b64 v[10:11], v2, s[2:3] offset:40
	global_load_b128 v[4:7], v2, s[2:3]
	s_waitcnt vmcnt(1)
	v_readfirstlane_b32 s6, v10
	v_readfirstlane_b32 s7, v11
	s_delay_alu instid0(VALU_DEP_1) | instskip(NEXT) | instid1(SALU_CYCLE_1)
	s_and_b64 s[6:7], s[4:5], s[6:7]
	s_mul_i32 s9, s7, 24
	s_mul_hi_u32 s10, s6, 24
	s_mul_i32 s11, s6, 24
	s_add_i32 s10, s10, s9
	s_waitcnt vmcnt(0)
	v_add_co_u32 v8, vcc_lo, v4, s11
	v_add_co_ci_u32_e32 v9, vcc_lo, s10, v5, vcc_lo
	s_and_saveexec_b32 s9, s0
	s_cbranch_execz .LBB5_95
; %bb.94:
	v_dual_mov_b32 v10, s8 :: v_dual_mov_b32 v11, v2
	v_dual_mov_b32 v12, 2 :: v_dual_mov_b32 v13, 1
	global_store_b128 v[8:9], v[10:13], off offset:8
.LBB5_95:
	s_or_b32 exec_lo, exec_lo, s9
	s_lshl_b64 s[6:7], s[6:7], 12
	v_lshlrev_b32_e32 v14, 6, v32
	v_add_co_u32 v6, vcc_lo, v6, s6
	v_add_co_ci_u32_e32 v7, vcc_lo, s7, v7, vcc_lo
	s_mov_b32 s8, 0
	v_and_or_b32 v0, 0xffffff1f, v3, 32
	v_mov_b32_e32 v3, v2
	v_readfirstlane_b32 s6, v6
	s_mov_b32 s11, s8
	v_add_co_u32 v6, vcc_lo, v6, v14
	s_mov_b32 s9, s8
	s_mov_b32 s10, s8
	v_readfirstlane_b32 s7, v7
	v_dual_mov_b32 v13, s11 :: v_dual_mov_b32 v12, s10
	v_add_co_ci_u32_e32 v7, vcc_lo, 0, v7, vcc_lo
	v_dual_mov_b32 v11, s9 :: v_dual_mov_b32 v10, s8
	s_clause 0x3
	global_store_b128 v14, v[0:3], s[6:7]
	global_store_b128 v14, v[10:13], s[6:7] offset:16
	global_store_b128 v14, v[10:13], s[6:7] offset:32
	;; [unrolled: 1-line block ×3, first 2 shown]
	s_and_saveexec_b32 s6, s0
	s_cbranch_execz .LBB5_102
; %bb.96:
	v_mov_b32_e32 v10, 0
	s_mov_b32 s7, exec_lo
	s_clause 0x1
	global_load_b64 v[13:14], v10, s[2:3] offset:32 glc
	global_load_b64 v[0:1], v10, s[2:3] offset:40
	v_dual_mov_b32 v11, s4 :: v_dual_mov_b32 v12, s5
	s_waitcnt vmcnt(0)
	v_and_b32_e32 v1, s5, v1
	v_and_b32_e32 v0, s4, v0
	s_delay_alu instid0(VALU_DEP_2) | instskip(NEXT) | instid1(VALU_DEP_2)
	v_mul_lo_u32 v1, v1, 24
	v_mul_hi_u32 v2, v0, 24
	v_mul_lo_u32 v0, v0, 24
	s_delay_alu instid0(VALU_DEP_2) | instskip(NEXT) | instid1(VALU_DEP_2)
	v_add_nc_u32_e32 v1, v2, v1
	v_add_co_u32 v4, vcc_lo, v4, v0
	s_delay_alu instid0(VALU_DEP_2)
	v_add_co_ci_u32_e32 v5, vcc_lo, v5, v1, vcc_lo
	global_store_b64 v[4:5], v[13:14], off
	s_waitcnt_vscnt null, 0x0
	global_atomic_cmpswap_b64 v[2:3], v10, v[11:14], s[2:3] offset:32 glc
	s_waitcnt vmcnt(0)
	v_cmpx_ne_u64_e64 v[2:3], v[13:14]
	s_cbranch_execz .LBB5_98
.LBB5_97:                               ; =>This Inner Loop Header: Depth=1
	v_dual_mov_b32 v0, s4 :: v_dual_mov_b32 v1, s5
	s_sleep 1
	global_store_b64 v[4:5], v[2:3], off
	s_waitcnt_vscnt null, 0x0
	global_atomic_cmpswap_b64 v[0:1], v10, v[0:3], s[2:3] offset:32 glc
	s_waitcnt vmcnt(0)
	v_cmp_eq_u64_e32 vcc_lo, v[0:1], v[2:3]
	v_dual_mov_b32 v3, v1 :: v_dual_mov_b32 v2, v0
	s_or_b32 s8, vcc_lo, s8
	s_delay_alu instid0(SALU_CYCLE_1)
	s_and_not1_b32 exec_lo, exec_lo, s8
	s_cbranch_execnz .LBB5_97
.LBB5_98:
	s_or_b32 exec_lo, exec_lo, s7
	v_mov_b32_e32 v3, 0
	s_mov_b32 s8, exec_lo
	s_mov_b32 s7, exec_lo
	v_mbcnt_lo_u32_b32 v2, s8, 0
	global_load_b64 v[0:1], v3, s[2:3] offset:16
	v_cmpx_eq_u32_e32 0, v2
	s_cbranch_execz .LBB5_100
; %bb.99:
	s_bcnt1_i32_b32 s8, s8
	s_delay_alu instid0(SALU_CYCLE_1)
	v_mov_b32_e32 v2, s8
	s_waitcnt vmcnt(0)
	global_atomic_add_u64 v[0:1], v[2:3], off offset:8
.LBB5_100:
	s_or_b32 exec_lo, exec_lo, s7
	s_waitcnt vmcnt(0)
	global_load_b64 v[2:3], v[0:1], off offset:16
	s_waitcnt vmcnt(0)
	v_cmp_eq_u64_e32 vcc_lo, 0, v[2:3]
	s_cbranch_vccnz .LBB5_102
; %bb.101:
	global_load_b32 v0, v[0:1], off offset:24
	s_waitcnt vmcnt(0)
	v_dual_mov_b32 v1, 0 :: v_dual_and_b32 v4, 0xffffff, v0
	s_waitcnt_vscnt null, 0x0
	global_store_b64 v[2:3], v[0:1], off
	v_readfirstlane_b32 m0, v4
	s_sendmsg sendmsg(MSG_INTERRUPT)
.LBB5_102:
	s_or_b32 exec_lo, exec_lo, s6
	s_branch .LBB5_106
	.p2align	6
.LBB5_103:                              ;   in Loop: Header=BB5_106 Depth=1
	s_or_b32 exec_lo, exec_lo, s6
	s_delay_alu instid0(VALU_DEP_1) | instskip(NEXT) | instid1(VALU_DEP_1)
	v_readfirstlane_b32 s6, v0
	s_cmp_eq_u32 s6, 0
	s_cbranch_scc1 .LBB5_105
; %bb.104:                              ;   in Loop: Header=BB5_106 Depth=1
	s_sleep 1
	s_cbranch_execnz .LBB5_106
	s_branch .LBB5_109
	.p2align	6
.LBB5_105:
	s_branch .LBB5_109
.LBB5_106:                              ; =>This Inner Loop Header: Depth=1
	v_mov_b32_e32 v0, 1
	s_and_saveexec_b32 s6, s0
	s_cbranch_execz .LBB5_103
; %bb.107:                              ;   in Loop: Header=BB5_106 Depth=1
	global_load_b32 v0, v[8:9], off offset:20 glc
	s_waitcnt vmcnt(0)
	buffer_gl1_inv
	buffer_gl0_inv
	v_and_b32_e32 v0, 1, v0
	s_branch .LBB5_103
.LBB5_108:
	s_or_b32 exec_lo, exec_lo, s1
	s_waitcnt vmcnt(0) lgkmcnt(0)
	s_setpc_b64 s[30:31]
.LBB5_109:
	global_load_b64 v[0:1], v[6:7], off
	s_and_saveexec_b32 s6, s0
	s_cbranch_execz .LBB5_113
; %bb.110:
	v_mov_b32_e32 v8, 0
	s_clause 0x2
	global_load_b64 v[4:5], v8, s[2:3] offset:40
	global_load_b64 v[9:10], v8, s[2:3] offset:24 glc
	global_load_b64 v[6:7], v8, s[2:3]
	s_waitcnt vmcnt(2)
	v_add_co_u32 v11, vcc_lo, v4, 1
	v_add_co_ci_u32_e32 v12, vcc_lo, 0, v5, vcc_lo
	s_delay_alu instid0(VALU_DEP_2) | instskip(NEXT) | instid1(VALU_DEP_2)
	v_add_co_u32 v2, vcc_lo, v11, s4
	v_add_co_ci_u32_e32 v3, vcc_lo, s5, v12, vcc_lo
	s_delay_alu instid0(VALU_DEP_1) | instskip(SKIP_1) | instid1(VALU_DEP_1)
	v_cmp_eq_u64_e32 vcc_lo, 0, v[2:3]
	v_dual_cndmask_b32 v3, v3, v12 :: v_dual_cndmask_b32 v2, v2, v11
	v_and_b32_e32 v5, v3, v5
	s_delay_alu instid0(VALU_DEP_2) | instskip(NEXT) | instid1(VALU_DEP_2)
	v_and_b32_e32 v4, v2, v4
	v_mul_lo_u32 v5, v5, 24
	s_delay_alu instid0(VALU_DEP_2) | instskip(SKIP_1) | instid1(VALU_DEP_2)
	v_mul_hi_u32 v11, v4, 24
	v_mul_lo_u32 v4, v4, 24
	v_add_nc_u32_e32 v5, v11, v5
	s_waitcnt vmcnt(0)
	s_delay_alu instid0(VALU_DEP_2) | instskip(SKIP_1) | instid1(VALU_DEP_3)
	v_add_co_u32 v6, vcc_lo, v6, v4
	v_mov_b32_e32 v4, v9
	v_add_co_ci_u32_e32 v7, vcc_lo, v7, v5, vcc_lo
	v_mov_b32_e32 v5, v10
	global_store_b64 v[6:7], v[9:10], off
	s_waitcnt_vscnt null, 0x0
	global_atomic_cmpswap_b64 v[4:5], v8, v[2:5], s[2:3] offset:24 glc
	s_waitcnt vmcnt(0)
	v_cmp_ne_u64_e32 vcc_lo, v[4:5], v[9:10]
	s_and_b32 exec_lo, exec_lo, vcc_lo
	s_cbranch_execz .LBB5_113
; %bb.111:
	s_mov_b32 s0, 0
.LBB5_112:                              ; =>This Inner Loop Header: Depth=1
	s_sleep 1
	global_store_b64 v[6:7], v[4:5], off
	s_waitcnt_vscnt null, 0x0
	global_atomic_cmpswap_b64 v[9:10], v8, v[2:5], s[2:3] offset:24 glc
	s_waitcnt vmcnt(0)
	v_cmp_eq_u64_e32 vcc_lo, v[9:10], v[4:5]
	v_dual_mov_b32 v4, v9 :: v_dual_mov_b32 v5, v10
	s_or_b32 s0, vcc_lo, s0
	s_delay_alu instid0(SALU_CYCLE_1)
	s_and_not1_b32 exec_lo, exec_lo, s0
	s_cbranch_execnz .LBB5_112
.LBB5_113:
	s_or_b32 exec_lo, exec_lo, s6
	s_delay_alu instid0(SALU_CYCLE_1)
	s_or_b32 exec_lo, exec_lo, s1
	s_waitcnt vmcnt(0) lgkmcnt(0)
	s_setpc_b64 s[30:31]
.Lfunc_end5:
	.size	__ockl_printf_append_string_n, .Lfunc_end5-__ockl_printf_append_string_n
                                        ; -- End function
	.section	.AMDGPU.csdata,"",@progbits
; Function info:
; codeLenInByte = 4760
; NumSgprs: 34
; NumVgprs: 36
; ScratchSize: 0
; MemoryBound: 0
	.text
	.p2align	2                               ; -- Begin function __ockl_printf_append_args
	.type	__ockl_printf_append_args,@function
__ockl_printf_append_args:              ; @__ockl_printf_append_args
; %bb.0:
	s_waitcnt vmcnt(0) expcnt(0) lgkmcnt(0)
	s_load_b64 s[2:3], s[8:9], 0x50
	v_mbcnt_lo_u32_b32 v15, -1, 0
	v_mov_b32_e32 v11, 0
	v_mov_b32_e32 v12, 0
	s_delay_alu instid0(VALU_DEP_3) | instskip(NEXT) | instid1(VALU_DEP_1)
	v_readfirstlane_b32 s0, v15
	v_cmp_eq_u32_e64 s0, s0, v15
	s_delay_alu instid0(VALU_DEP_1)
	s_and_saveexec_b32 s1, s0
	s_cbranch_execz .LBB6_6
; %bb.1:
	v_mov_b32_e32 v5, 0
	s_mov_b32 s4, exec_lo
	s_waitcnt lgkmcnt(0)
	global_load_b64 v[8:9], v5, s[2:3] offset:24 glc
	s_waitcnt vmcnt(0)
	buffer_gl1_inv
	buffer_gl0_inv
	s_clause 0x1
	global_load_b64 v[6:7], v5, s[2:3] offset:40
	global_load_b64 v[10:11], v5, s[2:3]
	s_waitcnt vmcnt(1)
	v_and_b32_e32 v6, v6, v8
	v_and_b32_e32 v7, v7, v9
	s_delay_alu instid0(VALU_DEP_2) | instskip(NEXT) | instid1(VALU_DEP_2)
	v_mul_hi_u32 v12, v6, 24
	v_mul_lo_u32 v7, v7, 24
	v_mul_lo_u32 v6, v6, 24
	s_delay_alu instid0(VALU_DEP_2) | instskip(SKIP_1) | instid1(VALU_DEP_2)
	v_add_nc_u32_e32 v7, v12, v7
	s_waitcnt vmcnt(0)
	v_add_co_u32 v6, vcc_lo, v10, v6
	s_delay_alu instid0(VALU_DEP_2)
	v_add_co_ci_u32_e32 v7, vcc_lo, v11, v7, vcc_lo
	global_load_b64 v[6:7], v[6:7], off glc
	s_waitcnt vmcnt(0)
	global_atomic_cmpswap_b64 v[11:12], v5, v[6:9], s[2:3] offset:24 glc
	s_waitcnt vmcnt(0)
	buffer_gl1_inv
	buffer_gl0_inv
	v_cmpx_ne_u64_e64 v[11:12], v[8:9]
	s_cbranch_execz .LBB6_5
; %bb.2:
	s_mov_b32 s5, 0
	.p2align	6
.LBB6_3:                                ; =>This Inner Loop Header: Depth=1
	s_sleep 1
	s_clause 0x1
	global_load_b64 v[6:7], v5, s[2:3] offset:40
	global_load_b64 v[13:14], v5, s[2:3]
	v_dual_mov_b32 v8, v11 :: v_dual_mov_b32 v9, v12
	s_waitcnt vmcnt(1)
	s_delay_alu instid0(VALU_DEP_1) | instskip(NEXT) | instid1(VALU_DEP_2)
	v_and_b32_e32 v6, v6, v8
	v_and_b32_e32 v7, v7, v9
	s_waitcnt vmcnt(0)
	s_delay_alu instid0(VALU_DEP_2) | instskip(NEXT) | instid1(VALU_DEP_1)
	v_mad_u64_u32 v[10:11], null, v6, 24, v[13:14]
	v_mov_b32_e32 v6, v11
	s_delay_alu instid0(VALU_DEP_1)
	v_mad_u64_u32 v[11:12], null, v7, 24, v[6:7]
	global_load_b64 v[6:7], v[10:11], off glc
	s_waitcnt vmcnt(0)
	global_atomic_cmpswap_b64 v[11:12], v5, v[6:9], s[2:3] offset:24 glc
	s_waitcnt vmcnt(0)
	buffer_gl1_inv
	buffer_gl0_inv
	v_cmp_eq_u64_e32 vcc_lo, v[11:12], v[8:9]
	s_or_b32 s5, vcc_lo, s5
	s_delay_alu instid0(SALU_CYCLE_1)
	s_and_not1_b32 exec_lo, exec_lo, s5
	s_cbranch_execnz .LBB6_3
; %bb.4:
	s_or_b32 exec_lo, exec_lo, s5
.LBB6_5:
	s_delay_alu instid0(SALU_CYCLE_1)
	s_or_b32 exec_lo, exec_lo, s4
.LBB6_6:
	s_delay_alu instid0(SALU_CYCLE_1)
	s_or_b32 exec_lo, exec_lo, s1
	v_mov_b32_e32 v10, 0
	v_readfirstlane_b32 s4, v11
	v_readfirstlane_b32 s5, v12
	s_mov_b32 s1, exec_lo
	s_waitcnt lgkmcnt(0)
	s_clause 0x1
	global_load_b64 v[13:14], v10, s[2:3] offset:40
	global_load_b128 v[5:8], v10, s[2:3]
	s_waitcnt vmcnt(1)
	v_readfirstlane_b32 s6, v13
	v_readfirstlane_b32 s7, v14
	s_delay_alu instid0(VALU_DEP_1) | instskip(NEXT) | instid1(SALU_CYCLE_1)
	s_and_b64 s[6:7], s[4:5], s[6:7]
	s_mul_i32 s8, s7, 24
	s_mul_hi_u32 s9, s6, 24
	s_mul_i32 s10, s6, 24
	s_add_i32 s9, s9, s8
	s_waitcnt vmcnt(0)
	v_add_co_u32 v13, vcc_lo, v5, s10
	v_add_co_ci_u32_e32 v14, vcc_lo, s9, v6, vcc_lo
	s_and_saveexec_b32 s8, s0
	s_cbranch_execz .LBB6_8
; %bb.7:
	v_dual_mov_b32 v9, s1 :: v_dual_mov_b32 v12, 1
	v_mov_b32_e32 v11, 2
	global_store_b128 v[13:14], v[9:12], off offset:8
.LBB6_8:
	s_or_b32 exec_lo, exec_lo, s8
	v_or_b32_e32 v9, 2, v0
	v_cmp_eq_u32_e32 vcc_lo, 0, v4
	s_lshl_b64 s[6:7], s[6:7], 12
	s_mov_b32 s8, 0
	v_lshlrev_b32_e32 v11, 6, v15
	s_mov_b32 s9, s8
	v_cndmask_b32_e32 v0, v9, v0, vcc_lo
	v_add_co_u32 v4, vcc_lo, v7, s6
	v_add_co_ci_u32_e32 v7, vcc_lo, s7, v8, vcc_lo
	s_mov_b32 s10, s8
	s_mov_b32 s11, s8
	v_and_or_b32 v0, 0xffffff1f, v0, 32
	v_readfirstlane_b32 s6, v4
	v_readfirstlane_b32 s7, v7
	v_dual_mov_b32 v7, s8 :: v_dual_mov_b32 v8, s9
	v_dual_mov_b32 v9, s10 :: v_dual_mov_b32 v10, s11
	s_clause 0x3
	global_store_b128 v11, v[0:3], s[6:7]
	global_store_b128 v11, v[7:10], s[6:7] offset:16
	global_store_b128 v11, v[7:10], s[6:7] offset:32
	;; [unrolled: 1-line block ×3, first 2 shown]
	s_and_saveexec_b32 s1, s0
	s_cbranch_execz .LBB6_16
; %bb.9:
	v_mov_b32_e32 v7, 0
	v_mov_b32_e32 v9, s5
	s_mov_b32 s6, exec_lo
	s_clause 0x1
	global_load_b64 v[10:11], v7, s[2:3] offset:32 glc
	global_load_b64 v[0:1], v7, s[2:3] offset:40
	v_mov_b32_e32 v8, s4
	s_waitcnt vmcnt(0)
	v_and_b32_e32 v0, s4, v0
	v_and_b32_e32 v1, s5, v1
	s_delay_alu instid0(VALU_DEP_2) | instskip(NEXT) | instid1(VALU_DEP_2)
	v_mul_hi_u32 v2, v0, 24
	v_mul_lo_u32 v1, v1, 24
	v_mul_lo_u32 v0, v0, 24
	s_delay_alu instid0(VALU_DEP_2) | instskip(NEXT) | instid1(VALU_DEP_2)
	v_add_nc_u32_e32 v1, v2, v1
	v_add_co_u32 v4, vcc_lo, v5, v0
	s_delay_alu instid0(VALU_DEP_2)
	v_add_co_ci_u32_e32 v5, vcc_lo, v6, v1, vcc_lo
	global_store_b64 v[4:5], v[10:11], off
	s_waitcnt_vscnt null, 0x0
	global_atomic_cmpswap_b64 v[2:3], v7, v[8:11], s[2:3] offset:32 glc
	s_waitcnt vmcnt(0)
	v_cmpx_ne_u64_e64 v[2:3], v[10:11]
	s_cbranch_execz .LBB6_12
; %bb.10:
	s_mov_b32 s7, 0
.LBB6_11:                               ; =>This Inner Loop Header: Depth=1
	v_dual_mov_b32 v0, s4 :: v_dual_mov_b32 v1, s5
	s_sleep 1
	global_store_b64 v[4:5], v[2:3], off
	s_waitcnt_vscnt null, 0x0
	global_atomic_cmpswap_b64 v[0:1], v7, v[0:3], s[2:3] offset:32 glc
	s_waitcnt vmcnt(0)
	v_cmp_eq_u64_e32 vcc_lo, v[0:1], v[2:3]
	v_dual_mov_b32 v3, v1 :: v_dual_mov_b32 v2, v0
	s_or_b32 s7, vcc_lo, s7
	s_delay_alu instid0(SALU_CYCLE_1)
	s_and_not1_b32 exec_lo, exec_lo, s7
	s_cbranch_execnz .LBB6_11
.LBB6_12:
	s_or_b32 exec_lo, exec_lo, s6
	v_mov_b32_e32 v3, 0
	s_mov_b32 s7, exec_lo
	s_mov_b32 s6, exec_lo
	v_mbcnt_lo_u32_b32 v2, s7, 0
	global_load_b64 v[0:1], v3, s[2:3] offset:16
	v_cmpx_eq_u32_e32 0, v2
	s_cbranch_execz .LBB6_14
; %bb.13:
	s_bcnt1_i32_b32 s7, s7
	s_delay_alu instid0(SALU_CYCLE_1)
	v_mov_b32_e32 v2, s7
	s_waitcnt vmcnt(0)
	global_atomic_add_u64 v[0:1], v[2:3], off offset:8
.LBB6_14:
	s_or_b32 exec_lo, exec_lo, s6
	s_waitcnt vmcnt(0)
	global_load_b64 v[2:3], v[0:1], off offset:16
	s_waitcnt vmcnt(0)
	v_cmp_eq_u64_e32 vcc_lo, 0, v[2:3]
	s_cbranch_vccnz .LBB6_16
; %bb.15:
	global_load_b32 v0, v[0:1], off offset:24
	s_waitcnt vmcnt(0)
	v_dual_mov_b32 v1, 0 :: v_dual_and_b32 v4, 0xffffff, v0
	s_waitcnt_vscnt null, 0x0
	global_store_b64 v[2:3], v[0:1], off
	v_readfirstlane_b32 m0, v4
	s_sendmsg sendmsg(MSG_INTERRUPT)
.LBB6_16:
	s_or_b32 exec_lo, exec_lo, s1
	s_branch .LBB6_20
	.p2align	6
.LBB6_17:                               ;   in Loop: Header=BB6_20 Depth=1
	s_or_b32 exec_lo, exec_lo, s1
	s_delay_alu instid0(VALU_DEP_1) | instskip(NEXT) | instid1(VALU_DEP_1)
	v_readfirstlane_b32 s1, v0
	s_cmp_eq_u32 s1, 0
	s_cbranch_scc1 .LBB6_19
; %bb.18:                               ;   in Loop: Header=BB6_20 Depth=1
	s_sleep 1
	s_cbranch_execnz .LBB6_20
	s_branch .LBB6_22
	.p2align	6
.LBB6_19:
	s_branch .LBB6_22
.LBB6_20:                               ; =>This Inner Loop Header: Depth=1
	v_mov_b32_e32 v0, 1
	s_and_saveexec_b32 s1, s0
	s_cbranch_execz .LBB6_17
; %bb.21:                               ;   in Loop: Header=BB6_20 Depth=1
	global_load_b32 v0, v[13:14], off offset:20 glc
	s_waitcnt vmcnt(0)
	buffer_gl1_inv
	buffer_gl0_inv
	v_and_b32_e32 v0, 1, v0
	s_branch .LBB6_17
.LBB6_22:
	s_and_saveexec_b32 s1, s0
	s_cbranch_execz .LBB6_26
; %bb.23:
	v_mov_b32_e32 v6, 0
	s_clause 0x2
	global_load_b64 v[2:3], v6, s[2:3] offset:40
	global_load_b64 v[7:8], v6, s[2:3] offset:24 glc
	global_load_b64 v[4:5], v6, s[2:3]
	s_waitcnt vmcnt(2)
	v_add_co_u32 v9, vcc_lo, v2, 1
	v_add_co_ci_u32_e32 v10, vcc_lo, 0, v3, vcc_lo
	s_delay_alu instid0(VALU_DEP_2) | instskip(NEXT) | instid1(VALU_DEP_2)
	v_add_co_u32 v0, vcc_lo, v9, s4
	v_add_co_ci_u32_e32 v1, vcc_lo, s5, v10, vcc_lo
	s_delay_alu instid0(VALU_DEP_1) | instskip(SKIP_1) | instid1(VALU_DEP_1)
	v_cmp_eq_u64_e32 vcc_lo, 0, v[0:1]
	v_dual_cndmask_b32 v1, v1, v10 :: v_dual_cndmask_b32 v0, v0, v9
	v_and_b32_e32 v3, v1, v3
	s_delay_alu instid0(VALU_DEP_2) | instskip(NEXT) | instid1(VALU_DEP_2)
	v_and_b32_e32 v2, v0, v2
	v_mul_lo_u32 v3, v3, 24
	s_delay_alu instid0(VALU_DEP_2) | instskip(SKIP_1) | instid1(VALU_DEP_2)
	v_mul_hi_u32 v9, v2, 24
	v_mul_lo_u32 v2, v2, 24
	v_add_nc_u32_e32 v3, v9, v3
	s_waitcnt vmcnt(0)
	s_delay_alu instid0(VALU_DEP_2) | instskip(SKIP_1) | instid1(VALU_DEP_3)
	v_add_co_u32 v4, vcc_lo, v4, v2
	v_mov_b32_e32 v2, v7
	v_add_co_ci_u32_e32 v5, vcc_lo, v5, v3, vcc_lo
	v_mov_b32_e32 v3, v8
	global_store_b64 v[4:5], v[7:8], off
	s_waitcnt_vscnt null, 0x0
	global_atomic_cmpswap_b64 v[2:3], v6, v[0:3], s[2:3] offset:24 glc
	s_waitcnt vmcnt(0)
	v_cmp_ne_u64_e32 vcc_lo, v[2:3], v[7:8]
	s_and_b32 exec_lo, exec_lo, vcc_lo
	s_cbranch_execz .LBB6_26
; %bb.24:
	s_mov_b32 s0, 0
.LBB6_25:                               ; =>This Inner Loop Header: Depth=1
	s_sleep 1
	global_store_b64 v[4:5], v[2:3], off
	s_waitcnt_vscnt null, 0x0
	global_atomic_cmpswap_b64 v[7:8], v6, v[0:3], s[2:3] offset:24 glc
	s_waitcnt vmcnt(0)
	v_cmp_eq_u64_e32 vcc_lo, v[7:8], v[2:3]
	v_dual_mov_b32 v2, v7 :: v_dual_mov_b32 v3, v8
	s_or_b32 s0, vcc_lo, s0
	s_delay_alu instid0(SALU_CYCLE_1)
	s_and_not1_b32 exec_lo, exec_lo, s0
	s_cbranch_execnz .LBB6_25
.LBB6_26:
	s_or_b32 exec_lo, exec_lo, s1
	s_waitcnt lgkmcnt(0)
	s_setpc_b64 s[30:31]
.Lfunc_end6:
	.size	__ockl_printf_append_args, .Lfunc_end6-__ockl_printf_append_args
                                        ; -- End function
	.section	.AMDGPU.csdata,"",@progbits
; Function info:
; codeLenInByte = 1352
; NumSgprs: 34
; NumVgprs: 16
; ScratchSize: 0
; MemoryBound: 0
	.text
	.p2align	2                               ; -- Begin function _ZL14no_device_codePKciS0_iS0_
	.type	_ZL14no_device_codePKciS0_iS0_,@function
_ZL14no_device_codePKciS0_iS0_:         ; @_ZL14no_device_codePKciS0_iS0_
; %bb.0:
	s_waitcnt vmcnt(0) expcnt(0) lgkmcnt(0)
	s_mov_b32 s20, s33
	s_mov_b32 s33, s32
	s_xor_saveexec_b32 s0, -1
	scratch_store_b32 off, v36, s33         ; 4-byte Folded Spill
	s_mov_b32 exec_lo, s0
	v_writelane_b32 v36, s30, 0
	s_add_i32 s32, s32, 16
	v_writelane_b32 v36, s31, 1
	s_load_b64 s[2:3], s[8:9], 0x50
	v_mbcnt_lo_u32_b32 v32, -1, 0
	v_mov_b32_e32 v6, 0
	v_mov_b32_e32 v7, 0
	s_delay_alu instid0(VALU_DEP_3) | instskip(NEXT) | instid1(VALU_DEP_1)
	v_readfirstlane_b32 s0, v32
	v_cmp_eq_u32_e64 s0, s0, v32
	s_delay_alu instid0(VALU_DEP_1)
	s_and_saveexec_b32 s1, s0
	s_cbranch_execz .LBB7_6
; %bb.1:
	v_mov_b32_e32 v0, 0
	s_mov_b32 s4, exec_lo
	s_waitcnt lgkmcnt(0)
	global_load_b64 v[3:4], v0, s[2:3] offset:24 glc
	s_waitcnt vmcnt(0)
	buffer_gl1_inv
	buffer_gl0_inv
	s_clause 0x1
	global_load_b64 v[1:2], v0, s[2:3] offset:40
	global_load_b64 v[5:6], v0, s[2:3]
	s_waitcnt vmcnt(1)
	v_and_b32_e32 v1, v1, v3
	v_and_b32_e32 v2, v2, v4
	s_delay_alu instid0(VALU_DEP_2) | instskip(NEXT) | instid1(VALU_DEP_2)
	v_mul_hi_u32 v7, v1, 24
	v_mul_lo_u32 v2, v2, 24
	v_mul_lo_u32 v1, v1, 24
	s_delay_alu instid0(VALU_DEP_2) | instskip(SKIP_1) | instid1(VALU_DEP_2)
	v_add_nc_u32_e32 v2, v7, v2
	s_waitcnt vmcnt(0)
	v_add_co_u32 v1, vcc_lo, v5, v1
	s_delay_alu instid0(VALU_DEP_2)
	v_add_co_ci_u32_e32 v2, vcc_lo, v6, v2, vcc_lo
	global_load_b64 v[1:2], v[1:2], off glc
	s_waitcnt vmcnt(0)
	global_atomic_cmpswap_b64 v[6:7], v0, v[1:4], s[2:3] offset:24 glc
	s_waitcnt vmcnt(0)
	buffer_gl1_inv
	buffer_gl0_inv
	v_cmpx_ne_u64_e64 v[6:7], v[3:4]
	s_cbranch_execz .LBB7_5
; %bb.2:
	s_mov_b32 s5, 0
	.p2align	6
.LBB7_3:                                ; =>This Inner Loop Header: Depth=1
	s_sleep 1
	s_clause 0x1
	global_load_b64 v[1:2], v0, s[2:3] offset:40
	global_load_b64 v[8:9], v0, s[2:3]
	v_dual_mov_b32 v3, v6 :: v_dual_mov_b32 v4, v7
	s_waitcnt vmcnt(1)
	s_delay_alu instid0(VALU_DEP_1) | instskip(NEXT) | instid1(VALU_DEP_2)
	v_and_b32_e32 v1, v1, v3
	v_and_b32_e32 v2, v2, v4
	s_waitcnt vmcnt(0)
	s_delay_alu instid0(VALU_DEP_2) | instskip(NEXT) | instid1(VALU_DEP_1)
	v_mad_u64_u32 v[5:6], null, v1, 24, v[8:9]
	v_mov_b32_e32 v1, v6
	s_delay_alu instid0(VALU_DEP_1)
	v_mad_u64_u32 v[6:7], null, v2, 24, v[1:2]
	global_load_b64 v[1:2], v[5:6], off glc
	s_waitcnt vmcnt(0)
	global_atomic_cmpswap_b64 v[6:7], v0, v[1:4], s[2:3] offset:24 glc
	s_waitcnt vmcnt(0)
	buffer_gl1_inv
	buffer_gl0_inv
	v_cmp_eq_u64_e32 vcc_lo, v[6:7], v[3:4]
	s_or_b32 s5, vcc_lo, s5
	s_delay_alu instid0(SALU_CYCLE_1)
	s_and_not1_b32 exec_lo, exec_lo, s5
	s_cbranch_execnz .LBB7_3
; %bb.4:
	s_or_b32 exec_lo, exec_lo, s5
.LBB7_5:
	s_delay_alu instid0(SALU_CYCLE_1)
	s_or_b32 exec_lo, exec_lo, s4
.LBB7_6:
	s_delay_alu instid0(SALU_CYCLE_1)
	s_or_b32 exec_lo, exec_lo, s1
	v_mov_b32_e32 v5, 0
	v_readfirstlane_b32 s4, v6
	v_readfirstlane_b32 s5, v7
	s_mov_b32 s1, exec_lo
	s_waitcnt lgkmcnt(0)
	s_clause 0x1
	global_load_b64 v[8:9], v5, s[2:3] offset:40
	global_load_b128 v[0:3], v5, s[2:3]
	s_waitcnt vmcnt(1)
	v_readfirstlane_b32 s6, v8
	v_readfirstlane_b32 s7, v9
	s_delay_alu instid0(VALU_DEP_1) | instskip(NEXT) | instid1(SALU_CYCLE_1)
	s_and_b64 s[6:7], s[4:5], s[6:7]
	s_mul_i32 s10, s7, 24
	s_mul_hi_u32 s11, s6, 24
	s_mul_i32 s12, s6, 24
	s_add_i32 s11, s11, s10
	s_waitcnt vmcnt(0)
	v_add_co_u32 v8, vcc_lo, v0, s12
	v_add_co_ci_u32_e32 v9, vcc_lo, s11, v1, vcc_lo
	s_and_saveexec_b32 s10, s0
	s_cbranch_execz .LBB7_8
; %bb.7:
	v_dual_mov_b32 v4, s1 :: v_dual_mov_b32 v7, 1
	v_mov_b32_e32 v6, 2
	global_store_b128 v[8:9], v[4:7], off offset:8
.LBB7_8:
	s_or_b32 exec_lo, exec_lo, s10
	s_lshl_b64 s[6:7], s[6:7], 12
	v_dual_mov_b32 v4, 33 :: v_dual_lshlrev_b32 v31, 6, v32
	v_add_co_u32 v2, vcc_lo, v2, s6
	v_add_co_ci_u32_e32 v3, vcc_lo, s7, v3, vcc_lo
	s_mov_b32 s12, 0
	s_delay_alu instid0(VALU_DEP_2)
	v_add_co_u32 v10, vcc_lo, v2, v31
	s_mov_b32 s13, s12
	s_mov_b32 s14, s12
	;; [unrolled: 1-line block ×3, first 2 shown]
	v_mov_b32_e32 v6, v5
	v_dual_mov_b32 v7, v5 :: v_dual_mov_b32 v12, s12
	v_readfirstlane_b32 s6, v2
	v_readfirstlane_b32 s7, v3
	v_add_co_ci_u32_e32 v11, vcc_lo, 0, v3, vcc_lo
	v_dual_mov_b32 v13, s13 :: v_dual_mov_b32 v14, s14
	v_mov_b32_e32 v15, s15
	s_clause 0x3
	global_store_b128 v31, v[4:7], s[6:7]
	global_store_b128 v31, v[12:15], s[6:7] offset:16
	global_store_b128 v31, v[12:15], s[6:7] offset:32
	;; [unrolled: 1-line block ×3, first 2 shown]
	s_and_saveexec_b32 s1, s0
	s_cbranch_execz .LBB7_16
; %bb.9:
	v_mov_b32_e32 v6, 0
	s_mov_b32 s6, exec_lo
	s_clause 0x1
	global_load_b64 v[14:15], v6, s[2:3] offset:32 glc
	global_load_b64 v[2:3], v6, s[2:3] offset:40
	v_dual_mov_b32 v13, s5 :: v_dual_mov_b32 v12, s4
	s_waitcnt vmcnt(0)
	v_and_b32_e32 v3, s5, v3
	v_and_b32_e32 v2, s4, v2
	s_delay_alu instid0(VALU_DEP_2) | instskip(NEXT) | instid1(VALU_DEP_2)
	v_mul_lo_u32 v3, v3, 24
	v_mul_hi_u32 v4, v2, 24
	v_mul_lo_u32 v2, v2, 24
	s_delay_alu instid0(VALU_DEP_2) | instskip(NEXT) | instid1(VALU_DEP_2)
	v_add_nc_u32_e32 v3, v4, v3
	v_add_co_u32 v4, vcc_lo, v0, v2
	s_delay_alu instid0(VALU_DEP_2)
	v_add_co_ci_u32_e32 v5, vcc_lo, v1, v3, vcc_lo
	global_store_b64 v[4:5], v[14:15], off
	s_waitcnt_vscnt null, 0x0
	global_atomic_cmpswap_b64 v[2:3], v6, v[12:15], s[2:3] offset:32 glc
	s_waitcnt vmcnt(0)
	v_cmpx_ne_u64_e64 v[2:3], v[14:15]
	s_cbranch_execz .LBB7_12
; %bb.10:
	s_mov_b32 s7, 0
.LBB7_11:                               ; =>This Inner Loop Header: Depth=1
	v_dual_mov_b32 v0, s4 :: v_dual_mov_b32 v1, s5
	s_sleep 1
	global_store_b64 v[4:5], v[2:3], off
	s_waitcnt_vscnt null, 0x0
	global_atomic_cmpswap_b64 v[0:1], v6, v[0:3], s[2:3] offset:32 glc
	s_waitcnt vmcnt(0)
	v_cmp_eq_u64_e32 vcc_lo, v[0:1], v[2:3]
	v_dual_mov_b32 v3, v1 :: v_dual_mov_b32 v2, v0
	s_or_b32 s7, vcc_lo, s7
	s_delay_alu instid0(SALU_CYCLE_1)
	s_and_not1_b32 exec_lo, exec_lo, s7
	s_cbranch_execnz .LBB7_11
.LBB7_12:
	s_or_b32 exec_lo, exec_lo, s6
	v_mov_b32_e32 v3, 0
	s_mov_b32 s7, exec_lo
	s_mov_b32 s6, exec_lo
	v_mbcnt_lo_u32_b32 v2, s7, 0
	global_load_b64 v[0:1], v3, s[2:3] offset:16
	v_cmpx_eq_u32_e32 0, v2
	s_cbranch_execz .LBB7_14
; %bb.13:
	s_bcnt1_i32_b32 s7, s7
	s_delay_alu instid0(SALU_CYCLE_1)
	v_mov_b32_e32 v2, s7
	s_waitcnt vmcnt(0)
	global_atomic_add_u64 v[0:1], v[2:3], off offset:8
.LBB7_14:
	s_or_b32 exec_lo, exec_lo, s6
	s_waitcnt vmcnt(0)
	global_load_b64 v[2:3], v[0:1], off offset:16
	s_waitcnt vmcnt(0)
	v_cmp_eq_u64_e32 vcc_lo, 0, v[2:3]
	s_cbranch_vccnz .LBB7_16
; %bb.15:
	global_load_b32 v0, v[0:1], off offset:24
	s_waitcnt vmcnt(0)
	v_dual_mov_b32 v1, 0 :: v_dual_and_b32 v4, 0xffffff, v0
	s_waitcnt_vscnt null, 0x0
	global_store_b64 v[2:3], v[0:1], off
	v_readfirstlane_b32 m0, v4
	s_sendmsg sendmsg(MSG_INTERRUPT)
.LBB7_16:
	s_or_b32 exec_lo, exec_lo, s1
	s_branch .LBB7_20
	.p2align	6
.LBB7_17:                               ;   in Loop: Header=BB7_20 Depth=1
	s_or_b32 exec_lo, exec_lo, s1
	s_delay_alu instid0(VALU_DEP_1) | instskip(NEXT) | instid1(VALU_DEP_1)
	v_readfirstlane_b32 s1, v0
	s_cmp_eq_u32 s1, 0
	s_cbranch_scc1 .LBB7_19
; %bb.18:                               ;   in Loop: Header=BB7_20 Depth=1
	s_sleep 1
	s_cbranch_execnz .LBB7_20
	s_branch .LBB7_22
	.p2align	6
.LBB7_19:
	s_branch .LBB7_22
.LBB7_20:                               ; =>This Inner Loop Header: Depth=1
	v_mov_b32_e32 v0, 1
	s_and_saveexec_b32 s1, s0
	s_cbranch_execz .LBB7_17
; %bb.21:                               ;   in Loop: Header=BB7_20 Depth=1
	global_load_b32 v0, v[8:9], off offset:20 glc
	s_waitcnt vmcnt(0)
	buffer_gl1_inv
	buffer_gl0_inv
	v_and_b32_e32 v0, 1, v0
	s_branch .LBB7_17
.LBB7_22:
	global_load_b64 v[4:5], v[10:11], off
	s_and_saveexec_b32 s1, s0
	s_cbranch_execz .LBB7_26
; %bb.23:
	v_mov_b32_e32 v8, 0
	s_clause 0x2
	global_load_b64 v[2:3], v8, s[2:3] offset:40
	global_load_b64 v[9:10], v8, s[2:3] offset:24 glc
	global_load_b64 v[6:7], v8, s[2:3]
	s_waitcnt vmcnt(2)
	v_add_co_u32 v11, vcc_lo, v2, 1
	v_add_co_ci_u32_e32 v12, vcc_lo, 0, v3, vcc_lo
	s_delay_alu instid0(VALU_DEP_2) | instskip(NEXT) | instid1(VALU_DEP_2)
	v_add_co_u32 v0, vcc_lo, v11, s4
	v_add_co_ci_u32_e32 v1, vcc_lo, s5, v12, vcc_lo
	s_delay_alu instid0(VALU_DEP_1) | instskip(SKIP_1) | instid1(VALU_DEP_1)
	v_cmp_eq_u64_e32 vcc_lo, 0, v[0:1]
	v_dual_cndmask_b32 v1, v1, v12 :: v_dual_cndmask_b32 v0, v0, v11
	v_and_b32_e32 v3, v1, v3
	s_delay_alu instid0(VALU_DEP_2) | instskip(NEXT) | instid1(VALU_DEP_2)
	v_and_b32_e32 v2, v0, v2
	v_mul_lo_u32 v3, v3, 24
	s_delay_alu instid0(VALU_DEP_2) | instskip(SKIP_1) | instid1(VALU_DEP_2)
	v_mul_hi_u32 v11, v2, 24
	v_mul_lo_u32 v2, v2, 24
	v_add_nc_u32_e32 v3, v11, v3
	s_waitcnt vmcnt(0)
	s_delay_alu instid0(VALU_DEP_2) | instskip(SKIP_1) | instid1(VALU_DEP_3)
	v_add_co_u32 v6, vcc_lo, v6, v2
	v_mov_b32_e32 v2, v9
	v_add_co_ci_u32_e32 v7, vcc_lo, v7, v3, vcc_lo
	v_mov_b32_e32 v3, v10
	global_store_b64 v[6:7], v[9:10], off
	s_waitcnt_vscnt null, 0x0
	global_atomic_cmpswap_b64 v[2:3], v8, v[0:3], s[2:3] offset:24 glc
	s_waitcnt vmcnt(0)
	v_cmp_ne_u64_e32 vcc_lo, v[2:3], v[9:10]
	s_and_b32 exec_lo, exec_lo, vcc_lo
	s_cbranch_execz .LBB7_26
; %bb.24:
	s_mov_b32 s0, 0
.LBB7_25:                               ; =>This Inner Loop Header: Depth=1
	s_sleep 1
	global_store_b64 v[6:7], v[2:3], off
	s_waitcnt_vscnt null, 0x0
	global_atomic_cmpswap_b64 v[9:10], v8, v[0:3], s[2:3] offset:24 glc
	s_waitcnt vmcnt(0)
	v_cmp_eq_u64_e32 vcc_lo, v[9:10], v[2:3]
	v_dual_mov_b32 v2, v9 :: v_dual_mov_b32 v3, v10
	s_or_b32 s0, vcc_lo, s0
	s_delay_alu instid0(SALU_CYCLE_1)
	s_and_not1_b32 exec_lo, exec_lo, s0
	s_cbranch_execnz .LBB7_25
.LBB7_26:
	s_or_b32 exec_lo, exec_lo, s1
	s_getpc_b64 s[4:5]
	s_add_u32 s4, s4, .str.3@rel32@lo+4
	s_addc_u32 s5, s5, .str.3@rel32@hi+12
	s_delay_alu instid0(SALU_CYCLE_1)
	s_cmp_lg_u64 s[4:5], 0
	s_cbranch_scc0 .LBB7_104
; %bb.27:
	s_waitcnt vmcnt(0)
	v_dual_mov_b32 v7, 0 :: v_dual_and_b32 v28, 2, v4
	v_dual_mov_b32 v1, v5 :: v_dual_and_b32 v0, -3, v4
	v_dual_mov_b32 v8, 2 :: v_dual_mov_b32 v9, 1
	s_mov_b64 s[6:7], 0x4d
	s_branch .LBB7_29
.LBB7_28:                               ;   in Loop: Header=BB7_29 Depth=1
	s_or_b32 exec_lo, exec_lo, s1
	s_sub_u32 s6, s6, s10
	s_subb_u32 s7, s7, s11
	s_add_u32 s4, s4, s10
	s_addc_u32 s5, s5, s11
	s_cmp_lg_u64 s[6:7], 0
	s_cbranch_scc0 .LBB7_105
.LBB7_29:                               ; =>This Loop Header: Depth=1
                                        ;     Child Loop BB7_38 Depth 2
                                        ;     Child Loop BB7_34 Depth 2
	;; [unrolled: 1-line block ×11, first 2 shown]
	v_cmp_lt_u64_e64 s0, s[6:7], 56
	v_cmp_gt_u64_e64 s1, s[6:7], 7
                                        ; implicit-def: $vgpr2_vgpr3
                                        ; implicit-def: $sgpr16
	s_delay_alu instid0(VALU_DEP_2) | instskip(SKIP_2) | instid1(VALU_DEP_1)
	s_and_b32 s0, s0, exec_lo
	s_cselect_b32 s11, s7, 0
	s_cselect_b32 s10, s6, 56
	s_and_b32 vcc_lo, exec_lo, s1
	s_mov_b32 s0, -1
	s_cbranch_vccz .LBB7_36
; %bb.30:                               ;   in Loop: Header=BB7_29 Depth=1
	s_and_not1_b32 vcc_lo, exec_lo, s0
	s_mov_b64 s[0:1], s[4:5]
	s_cbranch_vccz .LBB7_40
.LBB7_31:                               ;   in Loop: Header=BB7_29 Depth=1
	s_cmp_gt_u32 s16, 7
	s_cbranch_scc1 .LBB7_41
.LBB7_32:                               ;   in Loop: Header=BB7_29 Depth=1
	v_mov_b32_e32 v10, 0
	v_mov_b32_e32 v11, 0
	s_cmp_eq_u32 s16, 0
	s_cbranch_scc1 .LBB7_35
; %bb.33:                               ;   in Loop: Header=BB7_29 Depth=1
	s_mov_b64 s[12:13], 0
	s_mov_b64 s[14:15], 0
.LBB7_34:                               ;   Parent Loop BB7_29 Depth=1
                                        ; =>  This Inner Loop Header: Depth=2
	s_delay_alu instid0(SALU_CYCLE_1)
	s_add_u32 s18, s0, s14
	s_addc_u32 s19, s1, s15
	s_add_u32 s14, s14, 1
	global_load_u8 v6, v7, s[18:19]
	s_addc_u32 s15, s15, 0
	s_waitcnt vmcnt(0)
	v_and_b32_e32 v6, 0xffff, v6
	s_delay_alu instid0(VALU_DEP_1) | instskip(SKIP_3) | instid1(VALU_DEP_1)
	v_lshlrev_b64 v[12:13], s12, v[6:7]
	s_add_u32 s12, s12, 8
	s_addc_u32 s13, s13, 0
	s_cmp_lg_u32 s16, s14
	v_or_b32_e32 v10, v12, v10
	s_delay_alu instid0(VALU_DEP_2)
	v_or_b32_e32 v11, v13, v11
	s_cbranch_scc1 .LBB7_34
.LBB7_35:                               ;   in Loop: Header=BB7_29 Depth=1
	s_mov_b32 s17, 0
	s_cbranch_execz .LBB7_42
	s_branch .LBB7_43
.LBB7_36:                               ;   in Loop: Header=BB7_29 Depth=1
	s_waitcnt vmcnt(0)
	v_mov_b32_e32 v2, 0
	v_mov_b32_e32 v3, 0
	s_cmp_eq_u64 s[6:7], 0
	s_mov_b64 s[0:1], 0
	s_cbranch_scc1 .LBB7_39
; %bb.37:                               ;   in Loop: Header=BB7_29 Depth=1
	v_mov_b32_e32 v2, 0
	v_mov_b32_e32 v3, 0
	s_lshl_b64 s[12:13], s[10:11], 3
	s_mov_b64 s[14:15], s[4:5]
.LBB7_38:                               ;   Parent Loop BB7_29 Depth=1
                                        ; =>  This Inner Loop Header: Depth=2
	global_load_u8 v6, v7, s[14:15]
	s_waitcnt vmcnt(0)
	v_and_b32_e32 v6, 0xffff, v6
	s_delay_alu instid0(VALU_DEP_1)
	v_lshlrev_b64 v[10:11], s0, v[6:7]
	s_add_u32 s0, s0, 8
	s_addc_u32 s1, s1, 0
	s_add_u32 s14, s14, 1
	s_addc_u32 s15, s15, 0
	s_cmp_lg_u32 s12, s0
	v_or_b32_e32 v2, v10, v2
	v_or_b32_e32 v3, v11, v3
	s_cbranch_scc1 .LBB7_38
.LBB7_39:                               ;   in Loop: Header=BB7_29 Depth=1
	s_mov_b32 s16, 0
	s_mov_b64 s[0:1], s[4:5]
	s_cbranch_execnz .LBB7_31
.LBB7_40:                               ;   in Loop: Header=BB7_29 Depth=1
	global_load_b64 v[2:3], v7, s[4:5]
	s_add_i32 s16, s10, -8
	s_add_u32 s0, s4, 8
	s_addc_u32 s1, s5, 0
	s_cmp_gt_u32 s16, 7
	s_cbranch_scc0 .LBB7_32
.LBB7_41:                               ;   in Loop: Header=BB7_29 Depth=1
                                        ; implicit-def: $vgpr10_vgpr11
                                        ; implicit-def: $sgpr17
.LBB7_42:                               ;   in Loop: Header=BB7_29 Depth=1
	global_load_b64 v[10:11], v7, s[0:1]
	s_add_i32 s17, s16, -8
	s_add_u32 s0, s0, 8
	s_addc_u32 s1, s1, 0
.LBB7_43:                               ;   in Loop: Header=BB7_29 Depth=1
	s_cmp_gt_u32 s17, 7
	s_cbranch_scc1 .LBB7_48
; %bb.44:                               ;   in Loop: Header=BB7_29 Depth=1
	v_mov_b32_e32 v12, 0
	v_mov_b32_e32 v13, 0
	s_cmp_eq_u32 s17, 0
	s_cbranch_scc1 .LBB7_47
; %bb.45:                               ;   in Loop: Header=BB7_29 Depth=1
	s_mov_b64 s[12:13], 0
	s_mov_b64 s[14:15], 0
.LBB7_46:                               ;   Parent Loop BB7_29 Depth=1
                                        ; =>  This Inner Loop Header: Depth=2
	s_delay_alu instid0(SALU_CYCLE_1)
	s_add_u32 s18, s0, s14
	s_addc_u32 s19, s1, s15
	s_add_u32 s14, s14, 1
	global_load_u8 v6, v7, s[18:19]
	s_addc_u32 s15, s15, 0
	s_waitcnt vmcnt(0)
	v_and_b32_e32 v6, 0xffff, v6
	s_delay_alu instid0(VALU_DEP_1) | instskip(SKIP_3) | instid1(VALU_DEP_1)
	v_lshlrev_b64 v[14:15], s12, v[6:7]
	s_add_u32 s12, s12, 8
	s_addc_u32 s13, s13, 0
	s_cmp_lg_u32 s17, s14
	v_or_b32_e32 v12, v14, v12
	s_delay_alu instid0(VALU_DEP_2)
	v_or_b32_e32 v13, v15, v13
	s_cbranch_scc1 .LBB7_46
.LBB7_47:                               ;   in Loop: Header=BB7_29 Depth=1
	s_mov_b32 s16, 0
	s_cbranch_execz .LBB7_49
	s_branch .LBB7_50
.LBB7_48:                               ;   in Loop: Header=BB7_29 Depth=1
                                        ; implicit-def: $sgpr16
.LBB7_49:                               ;   in Loop: Header=BB7_29 Depth=1
	global_load_b64 v[12:13], v7, s[0:1]
	s_add_i32 s16, s17, -8
	s_add_u32 s0, s0, 8
	s_addc_u32 s1, s1, 0
.LBB7_50:                               ;   in Loop: Header=BB7_29 Depth=1
	s_cmp_gt_u32 s16, 7
	s_cbranch_scc1 .LBB7_55
; %bb.51:                               ;   in Loop: Header=BB7_29 Depth=1
	v_mov_b32_e32 v14, 0
	v_mov_b32_e32 v15, 0
	s_cmp_eq_u32 s16, 0
	s_cbranch_scc1 .LBB7_54
; %bb.52:                               ;   in Loop: Header=BB7_29 Depth=1
	s_mov_b64 s[12:13], 0
	s_mov_b64 s[14:15], 0
.LBB7_53:                               ;   Parent Loop BB7_29 Depth=1
                                        ; =>  This Inner Loop Header: Depth=2
	s_delay_alu instid0(SALU_CYCLE_1)
	s_add_u32 s18, s0, s14
	s_addc_u32 s19, s1, s15
	s_add_u32 s14, s14, 1
	global_load_u8 v6, v7, s[18:19]
	s_addc_u32 s15, s15, 0
	s_waitcnt vmcnt(0)
	v_and_b32_e32 v6, 0xffff, v6
	s_delay_alu instid0(VALU_DEP_1) | instskip(SKIP_3) | instid1(VALU_DEP_1)
	v_lshlrev_b64 v[16:17], s12, v[6:7]
	s_add_u32 s12, s12, 8
	s_addc_u32 s13, s13, 0
	s_cmp_lg_u32 s16, s14
	v_or_b32_e32 v14, v16, v14
	s_delay_alu instid0(VALU_DEP_2)
	v_or_b32_e32 v15, v17, v15
	s_cbranch_scc1 .LBB7_53
.LBB7_54:                               ;   in Loop: Header=BB7_29 Depth=1
	s_mov_b32 s17, 0
	s_cbranch_execz .LBB7_56
	s_branch .LBB7_57
.LBB7_55:                               ;   in Loop: Header=BB7_29 Depth=1
                                        ; implicit-def: $vgpr14_vgpr15
                                        ; implicit-def: $sgpr17
.LBB7_56:                               ;   in Loop: Header=BB7_29 Depth=1
	global_load_b64 v[14:15], v7, s[0:1]
	s_add_i32 s17, s16, -8
	s_add_u32 s0, s0, 8
	s_addc_u32 s1, s1, 0
.LBB7_57:                               ;   in Loop: Header=BB7_29 Depth=1
	s_cmp_gt_u32 s17, 7
	s_cbranch_scc1 .LBB7_62
; %bb.58:                               ;   in Loop: Header=BB7_29 Depth=1
	v_mov_b32_e32 v16, 0
	v_mov_b32_e32 v17, 0
	s_cmp_eq_u32 s17, 0
	s_cbranch_scc1 .LBB7_61
; %bb.59:                               ;   in Loop: Header=BB7_29 Depth=1
	s_mov_b64 s[12:13], 0
	s_mov_b64 s[14:15], 0
.LBB7_60:                               ;   Parent Loop BB7_29 Depth=1
                                        ; =>  This Inner Loop Header: Depth=2
	s_delay_alu instid0(SALU_CYCLE_1)
	s_add_u32 s18, s0, s14
	s_addc_u32 s19, s1, s15
	s_add_u32 s14, s14, 1
	global_load_u8 v6, v7, s[18:19]
	s_addc_u32 s15, s15, 0
	s_waitcnt vmcnt(0)
	v_and_b32_e32 v6, 0xffff, v6
	s_delay_alu instid0(VALU_DEP_1) | instskip(SKIP_3) | instid1(VALU_DEP_1)
	v_lshlrev_b64 v[18:19], s12, v[6:7]
	s_add_u32 s12, s12, 8
	s_addc_u32 s13, s13, 0
	s_cmp_lg_u32 s17, s14
	v_or_b32_e32 v16, v18, v16
	s_delay_alu instid0(VALU_DEP_2)
	v_or_b32_e32 v17, v19, v17
	s_cbranch_scc1 .LBB7_60
.LBB7_61:                               ;   in Loop: Header=BB7_29 Depth=1
	s_mov_b32 s16, 0
	s_cbranch_execz .LBB7_63
	s_branch .LBB7_64
.LBB7_62:                               ;   in Loop: Header=BB7_29 Depth=1
                                        ; implicit-def: $sgpr16
.LBB7_63:                               ;   in Loop: Header=BB7_29 Depth=1
	global_load_b64 v[16:17], v7, s[0:1]
	s_add_i32 s16, s17, -8
	s_add_u32 s0, s0, 8
	s_addc_u32 s1, s1, 0
.LBB7_64:                               ;   in Loop: Header=BB7_29 Depth=1
	s_cmp_gt_u32 s16, 7
	s_cbranch_scc1 .LBB7_69
; %bb.65:                               ;   in Loop: Header=BB7_29 Depth=1
	v_mov_b32_e32 v18, 0
	v_mov_b32_e32 v19, 0
	s_cmp_eq_u32 s16, 0
	s_cbranch_scc1 .LBB7_68
; %bb.66:                               ;   in Loop: Header=BB7_29 Depth=1
	s_mov_b64 s[12:13], 0
	s_mov_b64 s[14:15], 0
.LBB7_67:                               ;   Parent Loop BB7_29 Depth=1
                                        ; =>  This Inner Loop Header: Depth=2
	s_delay_alu instid0(SALU_CYCLE_1)
	s_add_u32 s18, s0, s14
	s_addc_u32 s19, s1, s15
	s_add_u32 s14, s14, 1
	global_load_u8 v6, v7, s[18:19]
	s_addc_u32 s15, s15, 0
	s_waitcnt vmcnt(0)
	v_and_b32_e32 v6, 0xffff, v6
	s_delay_alu instid0(VALU_DEP_1) | instskip(SKIP_3) | instid1(VALU_DEP_1)
	v_lshlrev_b64 v[20:21], s12, v[6:7]
	s_add_u32 s12, s12, 8
	s_addc_u32 s13, s13, 0
	s_cmp_lg_u32 s16, s14
	v_or_b32_e32 v18, v20, v18
	s_delay_alu instid0(VALU_DEP_2)
	v_or_b32_e32 v19, v21, v19
	s_cbranch_scc1 .LBB7_67
.LBB7_68:                               ;   in Loop: Header=BB7_29 Depth=1
	s_mov_b32 s17, 0
	s_cbranch_execz .LBB7_70
	s_branch .LBB7_71
.LBB7_69:                               ;   in Loop: Header=BB7_29 Depth=1
                                        ; implicit-def: $vgpr18_vgpr19
                                        ; implicit-def: $sgpr17
.LBB7_70:                               ;   in Loop: Header=BB7_29 Depth=1
	global_load_b64 v[18:19], v7, s[0:1]
	s_add_i32 s17, s16, -8
	s_add_u32 s0, s0, 8
	s_addc_u32 s1, s1, 0
.LBB7_71:                               ;   in Loop: Header=BB7_29 Depth=1
	s_cmp_gt_u32 s17, 7
	s_cbranch_scc1 .LBB7_76
; %bb.72:                               ;   in Loop: Header=BB7_29 Depth=1
	v_mov_b32_e32 v20, 0
	v_mov_b32_e32 v21, 0
	s_cmp_eq_u32 s17, 0
	s_cbranch_scc1 .LBB7_75
; %bb.73:                               ;   in Loop: Header=BB7_29 Depth=1
	s_mov_b64 s[12:13], 0
	s_mov_b64 s[14:15], s[0:1]
.LBB7_74:                               ;   Parent Loop BB7_29 Depth=1
                                        ; =>  This Inner Loop Header: Depth=2
	global_load_u8 v6, v7, s[14:15]
	s_add_i32 s17, s17, -1
	s_waitcnt vmcnt(0)
	v_and_b32_e32 v6, 0xffff, v6
	s_delay_alu instid0(VALU_DEP_1)
	v_lshlrev_b64 v[22:23], s12, v[6:7]
	s_add_u32 s12, s12, 8
	s_addc_u32 s13, s13, 0
	s_add_u32 s14, s14, 1
	s_addc_u32 s15, s15, 0
	s_cmp_lg_u32 s17, 0
	v_or_b32_e32 v20, v22, v20
	v_or_b32_e32 v21, v23, v21
	s_cbranch_scc1 .LBB7_74
.LBB7_75:                               ;   in Loop: Header=BB7_29 Depth=1
	s_cbranch_execz .LBB7_77
	s_branch .LBB7_78
.LBB7_76:                               ;   in Loop: Header=BB7_29 Depth=1
.LBB7_77:                               ;   in Loop: Header=BB7_29 Depth=1
	global_load_b64 v[20:21], v7, s[0:1]
.LBB7_78:                               ;   in Loop: Header=BB7_29 Depth=1
	v_readfirstlane_b32 s0, v32
	v_mov_b32_e32 v26, 0
	v_mov_b32_e32 v27, 0
	s_delay_alu instid0(VALU_DEP_3) | instskip(NEXT) | instid1(VALU_DEP_1)
	v_cmp_eq_u32_e64 s0, s0, v32
	s_and_saveexec_b32 s1, s0
	s_cbranch_execz .LBB7_84
; %bb.79:                               ;   in Loop: Header=BB7_29 Depth=1
	global_load_b64 v[24:25], v7, s[2:3] offset:24 glc
	s_waitcnt vmcnt(0)
	buffer_gl1_inv
	buffer_gl0_inv
	s_clause 0x1
	global_load_b64 v[22:23], v7, s[2:3] offset:40
	global_load_b64 v[26:27], v7, s[2:3]
	s_mov_b32 s12, exec_lo
	s_waitcnt vmcnt(1)
	v_and_b32_e32 v6, v23, v25
	v_and_b32_e32 v22, v22, v24
	s_delay_alu instid0(VALU_DEP_2) | instskip(NEXT) | instid1(VALU_DEP_2)
	v_mul_lo_u32 v6, v6, 24
	v_mul_hi_u32 v23, v22, 24
	v_mul_lo_u32 v22, v22, 24
	s_delay_alu instid0(VALU_DEP_2) | instskip(SKIP_1) | instid1(VALU_DEP_2)
	v_add_nc_u32_e32 v6, v23, v6
	s_waitcnt vmcnt(0)
	v_add_co_u32 v22, vcc_lo, v26, v22
	s_delay_alu instid0(VALU_DEP_2)
	v_add_co_ci_u32_e32 v23, vcc_lo, v27, v6, vcc_lo
	global_load_b64 v[22:23], v[22:23], off glc
	s_waitcnt vmcnt(0)
	global_atomic_cmpswap_b64 v[26:27], v7, v[22:25], s[2:3] offset:24 glc
	s_waitcnt vmcnt(0)
	buffer_gl1_inv
	buffer_gl0_inv
	v_cmpx_ne_u64_e64 v[26:27], v[24:25]
	s_cbranch_execz .LBB7_83
; %bb.80:                               ;   in Loop: Header=BB7_29 Depth=1
	s_mov_b32 s13, 0
	.p2align	6
.LBB7_81:                               ;   Parent Loop BB7_29 Depth=1
                                        ; =>  This Inner Loop Header: Depth=2
	s_sleep 1
	s_clause 0x1
	global_load_b64 v[22:23], v7, s[2:3] offset:40
	global_load_b64 v[29:30], v7, s[2:3]
	v_dual_mov_b32 v24, v26 :: v_dual_mov_b32 v25, v27
	s_waitcnt vmcnt(1)
	s_delay_alu instid0(VALU_DEP_1) | instskip(SKIP_1) | instid1(VALU_DEP_1)
	v_and_b32_e32 v6, v22, v24
	s_waitcnt vmcnt(0)
	v_mad_u64_u32 v[26:27], null, v6, 24, v[29:30]
	v_and_b32_e32 v29, v23, v25
	s_delay_alu instid0(VALU_DEP_2) | instskip(NEXT) | instid1(VALU_DEP_1)
	v_mov_b32_e32 v6, v27
	v_mad_u64_u32 v[22:23], null, v29, 24, v[6:7]
	s_delay_alu instid0(VALU_DEP_1)
	v_mov_b32_e32 v27, v22
	global_load_b64 v[22:23], v[26:27], off glc
	s_waitcnt vmcnt(0)
	global_atomic_cmpswap_b64 v[26:27], v7, v[22:25], s[2:3] offset:24 glc
	s_waitcnt vmcnt(0)
	buffer_gl1_inv
	buffer_gl0_inv
	v_cmp_eq_u64_e32 vcc_lo, v[26:27], v[24:25]
	s_or_b32 s13, vcc_lo, s13
	s_delay_alu instid0(SALU_CYCLE_1)
	s_and_not1_b32 exec_lo, exec_lo, s13
	s_cbranch_execnz .LBB7_81
; %bb.82:                               ;   in Loop: Header=BB7_29 Depth=1
	s_or_b32 exec_lo, exec_lo, s13
.LBB7_83:                               ;   in Loop: Header=BB7_29 Depth=1
	s_delay_alu instid0(SALU_CYCLE_1)
	s_or_b32 exec_lo, exec_lo, s12
.LBB7_84:                               ;   in Loop: Header=BB7_29 Depth=1
	s_delay_alu instid0(SALU_CYCLE_1)
	s_or_b32 exec_lo, exec_lo, s1
	s_clause 0x1
	global_load_b64 v[29:30], v7, s[2:3] offset:40
	global_load_b128 v[22:25], v7, s[2:3]
	v_readfirstlane_b32 s12, v26
	v_readfirstlane_b32 s13, v27
	s_mov_b32 s1, exec_lo
	s_waitcnt vmcnt(1)
	v_readfirstlane_b32 s14, v29
	v_readfirstlane_b32 s15, v30
	s_delay_alu instid0(VALU_DEP_1) | instskip(NEXT) | instid1(SALU_CYCLE_1)
	s_and_b64 s[14:15], s[12:13], s[14:15]
	s_mul_i32 s16, s15, 24
	s_mul_hi_u32 s17, s14, 24
	s_mul_i32 s18, s14, 24
	s_add_i32 s17, s17, s16
	s_waitcnt vmcnt(0)
	v_add_co_u32 v26, vcc_lo, v22, s18
	v_add_co_ci_u32_e32 v27, vcc_lo, s17, v23, vcc_lo
	s_and_saveexec_b32 s16, s0
	s_cbranch_execz .LBB7_86
; %bb.85:                               ;   in Loop: Header=BB7_29 Depth=1
	v_mov_b32_e32 v6, s1
	global_store_b128 v[26:27], v[6:9], off offset:8
.LBB7_86:                               ;   in Loop: Header=BB7_29 Depth=1
	s_or_b32 exec_lo, exec_lo, s16
	s_lshl_b64 s[14:15], s[14:15], 12
	v_cmp_gt_u64_e64 vcc_lo, s[6:7], 56
	v_or_b32_e32 v6, 0, v1
	v_or_b32_e32 v29, v0, v28
	v_add_co_u32 v24, s1, v24, s14
	s_delay_alu instid0(VALU_DEP_1) | instskip(SKIP_1) | instid1(VALU_DEP_3)
	v_add_co_ci_u32_e64 v25, s1, s15, v25, s1
	s_lshl_b32 s1, s10, 2
	v_dual_cndmask_b32 v1, v6, v1 :: v_dual_cndmask_b32 v0, v29, v0
	s_add_i32 s1, s1, 28
	v_readfirstlane_b32 s14, v24
	s_and_b32 s1, s1, 0x1e0
	v_readfirstlane_b32 s15, v25
	v_and_or_b32 v0, 0xffffff1f, v0, s1
	s_clause 0x3
	global_store_b128 v31, v[0:3], s[14:15]
	global_store_b128 v31, v[10:13], s[14:15] offset:16
	global_store_b128 v31, v[14:17], s[14:15] offset:32
	;; [unrolled: 1-line block ×3, first 2 shown]
	s_and_saveexec_b32 s1, s0
	s_cbranch_execz .LBB7_94
; %bb.87:                               ;   in Loop: Header=BB7_29 Depth=1
	s_clause 0x1
	global_load_b64 v[14:15], v7, s[2:3] offset:32 glc
	global_load_b64 v[0:1], v7, s[2:3] offset:40
	v_dual_mov_b32 v12, s12 :: v_dual_mov_b32 v13, s13
	s_waitcnt vmcnt(0)
	v_readfirstlane_b32 s14, v0
	v_readfirstlane_b32 s15, v1
	s_delay_alu instid0(VALU_DEP_1) | instskip(NEXT) | instid1(SALU_CYCLE_1)
	s_and_b64 s[14:15], s[14:15], s[12:13]
	s_mul_i32 s15, s15, 24
	s_mul_hi_u32 s16, s14, 24
	s_mul_i32 s14, s14, 24
	s_add_i32 s16, s16, s15
	v_add_co_u32 v10, vcc_lo, v22, s14
	v_add_co_ci_u32_e32 v11, vcc_lo, s16, v23, vcc_lo
	s_mov_b32 s14, exec_lo
	global_store_b64 v[10:11], v[14:15], off
	s_waitcnt_vscnt null, 0x0
	global_atomic_cmpswap_b64 v[2:3], v7, v[12:15], s[2:3] offset:32 glc
	s_waitcnt vmcnt(0)
	v_cmpx_ne_u64_e64 v[2:3], v[14:15]
	s_cbranch_execz .LBB7_90
; %bb.88:                               ;   in Loop: Header=BB7_29 Depth=1
	s_mov_b32 s15, 0
.LBB7_89:                               ;   Parent Loop BB7_29 Depth=1
                                        ; =>  This Inner Loop Header: Depth=2
	v_dual_mov_b32 v0, s12 :: v_dual_mov_b32 v1, s13
	s_sleep 1
	global_store_b64 v[10:11], v[2:3], off
	s_waitcnt_vscnt null, 0x0
	global_atomic_cmpswap_b64 v[0:1], v7, v[0:3], s[2:3] offset:32 glc
	s_waitcnt vmcnt(0)
	v_cmp_eq_u64_e32 vcc_lo, v[0:1], v[2:3]
	v_dual_mov_b32 v3, v1 :: v_dual_mov_b32 v2, v0
	s_or_b32 s15, vcc_lo, s15
	s_delay_alu instid0(SALU_CYCLE_1)
	s_and_not1_b32 exec_lo, exec_lo, s15
	s_cbranch_execnz .LBB7_89
.LBB7_90:                               ;   in Loop: Header=BB7_29 Depth=1
	s_or_b32 exec_lo, exec_lo, s14
	global_load_b64 v[0:1], v7, s[2:3] offset:16
	s_mov_b32 s15, exec_lo
	s_mov_b32 s14, exec_lo
	v_mbcnt_lo_u32_b32 v2, s15, 0
	s_delay_alu instid0(VALU_DEP_1)
	v_cmpx_eq_u32_e32 0, v2
	s_cbranch_execz .LBB7_92
; %bb.91:                               ;   in Loop: Header=BB7_29 Depth=1
	s_bcnt1_i32_b32 s15, s15
	s_delay_alu instid0(SALU_CYCLE_1)
	v_mov_b32_e32 v6, s15
	s_waitcnt vmcnt(0)
	global_atomic_add_u64 v[0:1], v[6:7], off offset:8
.LBB7_92:                               ;   in Loop: Header=BB7_29 Depth=1
	s_or_b32 exec_lo, exec_lo, s14
	s_waitcnt vmcnt(0)
	global_load_b64 v[2:3], v[0:1], off offset:16
	s_waitcnt vmcnt(0)
	v_cmp_eq_u64_e32 vcc_lo, 0, v[2:3]
	s_cbranch_vccnz .LBB7_94
; %bb.93:                               ;   in Loop: Header=BB7_29 Depth=1
	global_load_b32 v6, v[0:1], off offset:24
	s_waitcnt vmcnt(0)
	v_and_b32_e32 v0, 0xffffff, v6
	s_waitcnt_vscnt null, 0x0
	global_store_b64 v[2:3], v[6:7], off
	v_readfirstlane_b32 m0, v0
	s_sendmsg sendmsg(MSG_INTERRUPT)
.LBB7_94:                               ;   in Loop: Header=BB7_29 Depth=1
	s_or_b32 exec_lo, exec_lo, s1
	v_add_co_u32 v0, vcc_lo, v24, v31
	v_add_co_ci_u32_e32 v1, vcc_lo, 0, v25, vcc_lo
	s_branch .LBB7_98
	.p2align	6
.LBB7_95:                               ;   in Loop: Header=BB7_98 Depth=2
	s_or_b32 exec_lo, exec_lo, s1
	s_delay_alu instid0(VALU_DEP_1) | instskip(NEXT) | instid1(VALU_DEP_1)
	v_readfirstlane_b32 s1, v2
	s_cmp_eq_u32 s1, 0
	s_cbranch_scc1 .LBB7_97
; %bb.96:                               ;   in Loop: Header=BB7_98 Depth=2
	s_sleep 1
	s_cbranch_execnz .LBB7_98
	s_branch .LBB7_100
	.p2align	6
.LBB7_97:                               ;   in Loop: Header=BB7_29 Depth=1
	s_branch .LBB7_100
.LBB7_98:                               ;   Parent Loop BB7_29 Depth=1
                                        ; =>  This Inner Loop Header: Depth=2
	v_mov_b32_e32 v2, 1
	s_and_saveexec_b32 s1, s0
	s_cbranch_execz .LBB7_95
; %bb.99:                               ;   in Loop: Header=BB7_98 Depth=2
	global_load_b32 v2, v[26:27], off offset:20 glc
	s_waitcnt vmcnt(0)
	buffer_gl1_inv
	buffer_gl0_inv
	v_and_b32_e32 v2, 1, v2
	s_branch .LBB7_95
.LBB7_100:                              ;   in Loop: Header=BB7_29 Depth=1
	global_load_b128 v[0:3], v[0:1], off
	s_and_saveexec_b32 s1, s0
	s_cbranch_execz .LBB7_28
; %bb.101:                              ;   in Loop: Header=BB7_29 Depth=1
	s_clause 0x2
	global_load_b64 v[2:3], v7, s[2:3] offset:40
	global_load_b64 v[14:15], v7, s[2:3] offset:24 glc
	global_load_b64 v[12:13], v7, s[2:3]
	s_waitcnt vmcnt(2)
	v_add_co_u32 v6, vcc_lo, v2, 1
	v_add_co_ci_u32_e32 v16, vcc_lo, 0, v3, vcc_lo
	s_delay_alu instid0(VALU_DEP_2) | instskip(NEXT) | instid1(VALU_DEP_2)
	v_add_co_u32 v10, vcc_lo, v6, s12
	v_add_co_ci_u32_e32 v11, vcc_lo, s13, v16, vcc_lo
	s_delay_alu instid0(VALU_DEP_1) | instskip(SKIP_1) | instid1(VALU_DEP_1)
	v_cmp_eq_u64_e32 vcc_lo, 0, v[10:11]
	v_dual_cndmask_b32 v11, v11, v16 :: v_dual_cndmask_b32 v10, v10, v6
	v_and_b32_e32 v3, v11, v3
	s_delay_alu instid0(VALU_DEP_2) | instskip(NEXT) | instid1(VALU_DEP_1)
	v_and_b32_e32 v2, v10, v2
	v_mul_hi_u32 v6, v2, 24
	v_mul_lo_u32 v2, v2, 24
	s_waitcnt vmcnt(0)
	s_delay_alu instid0(VALU_DEP_1) | instskip(SKIP_2) | instid1(VALU_DEP_1)
	v_add_co_u32 v2, vcc_lo, v12, v2
	v_mov_b32_e32 v12, v14
	v_mul_lo_u32 v3, v3, 24
	v_add_nc_u32_e32 v3, v6, v3
	s_delay_alu instid0(VALU_DEP_1)
	v_add_co_ci_u32_e32 v3, vcc_lo, v13, v3, vcc_lo
	v_mov_b32_e32 v13, v15
	global_store_b64 v[2:3], v[14:15], off
	s_waitcnt_vscnt null, 0x0
	global_atomic_cmpswap_b64 v[12:13], v7, v[10:13], s[2:3] offset:24 glc
	s_waitcnt vmcnt(0)
	v_cmp_ne_u64_e32 vcc_lo, v[12:13], v[14:15]
	s_and_b32 exec_lo, exec_lo, vcc_lo
	s_cbranch_execz .LBB7_28
; %bb.102:                              ;   in Loop: Header=BB7_29 Depth=1
	s_mov_b32 s0, 0
.LBB7_103:                              ;   Parent Loop BB7_29 Depth=1
                                        ; =>  This Inner Loop Header: Depth=2
	s_sleep 1
	global_store_b64 v[2:3], v[12:13], off
	s_waitcnt_vscnt null, 0x0
	global_atomic_cmpswap_b64 v[14:15], v7, v[10:13], s[2:3] offset:24 glc
	s_waitcnt vmcnt(0)
	v_cmp_eq_u64_e32 vcc_lo, v[14:15], v[12:13]
	v_dual_mov_b32 v12, v14 :: v_dual_mov_b32 v13, v15
	s_or_b32 s0, vcc_lo, s0
	s_delay_alu instid0(SALU_CYCLE_1)
	s_and_not1_b32 exec_lo, exec_lo, s0
	s_cbranch_execnz .LBB7_103
	s_branch .LBB7_28
.LBB7_104:
                                        ; implicit-def: $vgpr0_vgpr1
	s_cbranch_execnz .LBB7_106
	s_branch .LBB7_133
.LBB7_105:
	s_branch .LBB7_133
.LBB7_106:
	v_readfirstlane_b32 s0, v32
	v_mov_b32_e32 v7, 0
	v_mov_b32_e32 v8, 0
	s_delay_alu instid0(VALU_DEP_3) | instskip(NEXT) | instid1(VALU_DEP_1)
	v_cmp_eq_u32_e64 s0, s0, v32
	s_and_saveexec_b32 s1, s0
	s_cbranch_execz .LBB7_112
; %bb.107:
	s_waitcnt vmcnt(0)
	v_mov_b32_e32 v0, 0
	s_mov_b32 s4, exec_lo
	global_load_b64 v[9:10], v0, s[2:3] offset:24 glc
	s_waitcnt vmcnt(0)
	buffer_gl1_inv
	buffer_gl0_inv
	s_clause 0x1
	global_load_b64 v[1:2], v0, s[2:3] offset:40
	global_load_b64 v[6:7], v0, s[2:3]
	s_waitcnt vmcnt(1)
	v_and_b32_e32 v1, v1, v9
	v_and_b32_e32 v2, v2, v10
	s_delay_alu instid0(VALU_DEP_2) | instskip(NEXT) | instid1(VALU_DEP_2)
	v_mul_hi_u32 v3, v1, 24
	v_mul_lo_u32 v2, v2, 24
	v_mul_lo_u32 v1, v1, 24
	s_delay_alu instid0(VALU_DEP_2) | instskip(SKIP_1) | instid1(VALU_DEP_2)
	v_add_nc_u32_e32 v2, v3, v2
	s_waitcnt vmcnt(0)
	v_add_co_u32 v1, vcc_lo, v6, v1
	s_delay_alu instid0(VALU_DEP_2)
	v_add_co_ci_u32_e32 v2, vcc_lo, v7, v2, vcc_lo
	global_load_b64 v[7:8], v[1:2], off glc
	s_waitcnt vmcnt(0)
	global_atomic_cmpswap_b64 v[7:8], v0, v[7:10], s[2:3] offset:24 glc
	s_waitcnt vmcnt(0)
	buffer_gl1_inv
	buffer_gl0_inv
	v_cmpx_ne_u64_e64 v[7:8], v[9:10]
	s_cbranch_execz .LBB7_111
; %bb.108:
	s_mov_b32 s5, 0
	.p2align	6
.LBB7_109:                              ; =>This Inner Loop Header: Depth=1
	s_sleep 1
	s_clause 0x1
	global_load_b64 v[1:2], v0, s[2:3] offset:40
	global_load_b64 v[11:12], v0, s[2:3]
	v_dual_mov_b32 v10, v8 :: v_dual_mov_b32 v9, v7
	s_waitcnt vmcnt(1)
	s_delay_alu instid0(VALU_DEP_1) | instskip(SKIP_1) | instid1(VALU_DEP_1)
	v_and_b32_e32 v1, v1, v9
	s_waitcnt vmcnt(0)
	v_mad_u64_u32 v[6:7], null, v1, 24, v[11:12]
	s_delay_alu instid0(VALU_DEP_1) | instskip(NEXT) | instid1(VALU_DEP_1)
	v_dual_mov_b32 v1, v7 :: v_dual_and_b32 v8, v2, v10
	v_mad_u64_u32 v[2:3], null, v8, 24, v[1:2]
	s_delay_alu instid0(VALU_DEP_1)
	v_mov_b32_e32 v7, v2
	global_load_b64 v[7:8], v[6:7], off glc
	s_waitcnt vmcnt(0)
	global_atomic_cmpswap_b64 v[7:8], v0, v[7:10], s[2:3] offset:24 glc
	s_waitcnt vmcnt(0)
	buffer_gl1_inv
	buffer_gl0_inv
	v_cmp_eq_u64_e32 vcc_lo, v[7:8], v[9:10]
	s_or_b32 s5, vcc_lo, s5
	s_delay_alu instid0(SALU_CYCLE_1)
	s_and_not1_b32 exec_lo, exec_lo, s5
	s_cbranch_execnz .LBB7_109
; %bb.110:
	s_or_b32 exec_lo, exec_lo, s5
.LBB7_111:
	s_delay_alu instid0(SALU_CYCLE_1)
	s_or_b32 exec_lo, exec_lo, s4
.LBB7_112:
	s_delay_alu instid0(SALU_CYCLE_1)
	s_or_b32 exec_lo, exec_lo, s1
	v_mov_b32_e32 v6, 0
	v_readfirstlane_b32 s4, v7
	v_readfirstlane_b32 s5, v8
	s_mov_b32 s1, exec_lo
	s_clause 0x1
	global_load_b64 v[9:10], v6, s[2:3] offset:40
	global_load_b128 v[0:3], v6, s[2:3]
	s_waitcnt vmcnt(1)
	v_readfirstlane_b32 s6, v9
	v_readfirstlane_b32 s7, v10
	s_delay_alu instid0(VALU_DEP_1) | instskip(NEXT) | instid1(SALU_CYCLE_1)
	s_and_b64 s[6:7], s[4:5], s[6:7]
	s_mul_i32 s10, s7, 24
	s_mul_hi_u32 s11, s6, 24
	s_mul_i32 s12, s6, 24
	s_add_i32 s11, s11, s10
	s_waitcnt vmcnt(0)
	v_add_co_u32 v8, vcc_lo, v0, s12
	v_add_co_ci_u32_e32 v9, vcc_lo, s11, v1, vcc_lo
	s_and_saveexec_b32 s10, s0
	s_cbranch_execz .LBB7_114
; %bb.113:
	v_dual_mov_b32 v10, s1 :: v_dual_mov_b32 v11, v6
	v_dual_mov_b32 v12, 2 :: v_dual_mov_b32 v13, 1
	global_store_b128 v[8:9], v[10:13], off offset:8
.LBB7_114:
	s_or_b32 exec_lo, exec_lo, s10
	s_lshl_b64 s[6:7], s[6:7], 12
	s_mov_b32 s12, 0
	v_add_co_u32 v2, vcc_lo, v2, s6
	v_add_co_ci_u32_e32 v3, vcc_lo, s7, v3, vcc_lo
	s_mov_b32 s13, s12
	s_delay_alu instid0(VALU_DEP_2)
	v_add_co_u32 v10, vcc_lo, v2, v31
	s_mov_b32 s14, s12
	s_mov_b32 s15, s12
	v_and_or_b32 v4, 0xffffff1f, v4, 32
	v_dual_mov_b32 v7, v6 :: v_dual_mov_b32 v12, s12
	v_readfirstlane_b32 s6, v2
	v_readfirstlane_b32 s7, v3
	v_add_co_ci_u32_e32 v11, vcc_lo, 0, v3, vcc_lo
	v_dual_mov_b32 v13, s13 :: v_dual_mov_b32 v14, s14
	v_mov_b32_e32 v15, s15
	s_clause 0x3
	global_store_b128 v31, v[4:7], s[6:7]
	global_store_b128 v31, v[12:15], s[6:7] offset:16
	global_store_b128 v31, v[12:15], s[6:7] offset:32
	;; [unrolled: 1-line block ×3, first 2 shown]
	s_and_saveexec_b32 s1, s0
	s_cbranch_execz .LBB7_122
; %bb.115:
	v_dual_mov_b32 v6, 0 :: v_dual_mov_b32 v13, s5
	v_mov_b32_e32 v12, s4
	s_clause 0x1
	global_load_b64 v[14:15], v6, s[2:3] offset:32 glc
	global_load_b64 v[2:3], v6, s[2:3] offset:40
	s_waitcnt vmcnt(0)
	v_readfirstlane_b32 s6, v2
	v_readfirstlane_b32 s7, v3
	s_delay_alu instid0(VALU_DEP_1) | instskip(NEXT) | instid1(SALU_CYCLE_1)
	s_and_b64 s[6:7], s[6:7], s[4:5]
	s_mul_i32 s7, s7, 24
	s_mul_hi_u32 s10, s6, 24
	s_mul_i32 s6, s6, 24
	s_add_i32 s10, s10, s7
	v_add_co_u32 v4, vcc_lo, v0, s6
	v_add_co_ci_u32_e32 v5, vcc_lo, s10, v1, vcc_lo
	s_mov_b32 s6, exec_lo
	global_store_b64 v[4:5], v[14:15], off
	s_waitcnt_vscnt null, 0x0
	global_atomic_cmpswap_b64 v[2:3], v6, v[12:15], s[2:3] offset:32 glc
	s_waitcnt vmcnt(0)
	v_cmpx_ne_u64_e64 v[2:3], v[14:15]
	s_cbranch_execz .LBB7_118
; %bb.116:
	s_mov_b32 s7, 0
.LBB7_117:                              ; =>This Inner Loop Header: Depth=1
	v_dual_mov_b32 v0, s4 :: v_dual_mov_b32 v1, s5
	s_sleep 1
	global_store_b64 v[4:5], v[2:3], off
	s_waitcnt_vscnt null, 0x0
	global_atomic_cmpswap_b64 v[0:1], v6, v[0:3], s[2:3] offset:32 glc
	s_waitcnt vmcnt(0)
	v_cmp_eq_u64_e32 vcc_lo, v[0:1], v[2:3]
	v_dual_mov_b32 v3, v1 :: v_dual_mov_b32 v2, v0
	s_or_b32 s7, vcc_lo, s7
	s_delay_alu instid0(SALU_CYCLE_1)
	s_and_not1_b32 exec_lo, exec_lo, s7
	s_cbranch_execnz .LBB7_117
.LBB7_118:
	s_or_b32 exec_lo, exec_lo, s6
	v_mov_b32_e32 v3, 0
	s_mov_b32 s7, exec_lo
	s_mov_b32 s6, exec_lo
	v_mbcnt_lo_u32_b32 v2, s7, 0
	global_load_b64 v[0:1], v3, s[2:3] offset:16
	v_cmpx_eq_u32_e32 0, v2
	s_cbranch_execz .LBB7_120
; %bb.119:
	s_bcnt1_i32_b32 s7, s7
	s_delay_alu instid0(SALU_CYCLE_1)
	v_mov_b32_e32 v2, s7
	s_waitcnt vmcnt(0)
	global_atomic_add_u64 v[0:1], v[2:3], off offset:8
.LBB7_120:
	s_or_b32 exec_lo, exec_lo, s6
	s_waitcnt vmcnt(0)
	global_load_b64 v[2:3], v[0:1], off offset:16
	s_waitcnt vmcnt(0)
	v_cmp_eq_u64_e32 vcc_lo, 0, v[2:3]
	s_cbranch_vccnz .LBB7_122
; %bb.121:
	global_load_b32 v0, v[0:1], off offset:24
	s_waitcnt vmcnt(0)
	v_dual_mov_b32 v1, 0 :: v_dual_and_b32 v4, 0xffffff, v0
	s_waitcnt_vscnt null, 0x0
	global_store_b64 v[2:3], v[0:1], off
	v_readfirstlane_b32 m0, v4
	s_sendmsg sendmsg(MSG_INTERRUPT)
.LBB7_122:
	s_or_b32 exec_lo, exec_lo, s1
	s_branch .LBB7_126
	.p2align	6
.LBB7_123:                              ;   in Loop: Header=BB7_126 Depth=1
	s_or_b32 exec_lo, exec_lo, s1
	s_delay_alu instid0(VALU_DEP_1) | instskip(NEXT) | instid1(VALU_DEP_1)
	v_readfirstlane_b32 s1, v0
	s_cmp_eq_u32 s1, 0
	s_cbranch_scc1 .LBB7_125
; %bb.124:                              ;   in Loop: Header=BB7_126 Depth=1
	s_sleep 1
	s_cbranch_execnz .LBB7_126
	s_branch .LBB7_128
	.p2align	6
.LBB7_125:
	s_branch .LBB7_128
.LBB7_126:                              ; =>This Inner Loop Header: Depth=1
	v_mov_b32_e32 v0, 1
	s_and_saveexec_b32 s1, s0
	s_cbranch_execz .LBB7_123
; %bb.127:                              ;   in Loop: Header=BB7_126 Depth=1
	global_load_b32 v0, v[8:9], off offset:20 glc
	s_waitcnt vmcnt(0)
	buffer_gl1_inv
	buffer_gl0_inv
	v_and_b32_e32 v0, 1, v0
	s_branch .LBB7_123
.LBB7_128:
	global_load_b64 v[0:1], v[10:11], off
	s_and_saveexec_b32 s1, s0
	s_cbranch_execz .LBB7_132
; %bb.129:
	v_mov_b32_e32 v8, 0
	s_clause 0x2
	global_load_b64 v[4:5], v8, s[2:3] offset:40
	global_load_b64 v[9:10], v8, s[2:3] offset:24 glc
	global_load_b64 v[6:7], v8, s[2:3]
	s_waitcnt vmcnt(2)
	v_add_co_u32 v11, vcc_lo, v4, 1
	v_add_co_ci_u32_e32 v12, vcc_lo, 0, v5, vcc_lo
	s_delay_alu instid0(VALU_DEP_2) | instskip(NEXT) | instid1(VALU_DEP_2)
	v_add_co_u32 v2, vcc_lo, v11, s4
	v_add_co_ci_u32_e32 v3, vcc_lo, s5, v12, vcc_lo
	s_delay_alu instid0(VALU_DEP_1) | instskip(SKIP_1) | instid1(VALU_DEP_1)
	v_cmp_eq_u64_e32 vcc_lo, 0, v[2:3]
	v_dual_cndmask_b32 v3, v3, v12 :: v_dual_cndmask_b32 v2, v2, v11
	v_and_b32_e32 v5, v3, v5
	s_delay_alu instid0(VALU_DEP_2) | instskip(NEXT) | instid1(VALU_DEP_2)
	v_and_b32_e32 v4, v2, v4
	v_mul_lo_u32 v5, v5, 24
	s_delay_alu instid0(VALU_DEP_2) | instskip(SKIP_1) | instid1(VALU_DEP_2)
	v_mul_hi_u32 v11, v4, 24
	v_mul_lo_u32 v4, v4, 24
	v_add_nc_u32_e32 v5, v11, v5
	s_waitcnt vmcnt(0)
	s_delay_alu instid0(VALU_DEP_2) | instskip(SKIP_1) | instid1(VALU_DEP_3)
	v_add_co_u32 v6, vcc_lo, v6, v4
	v_mov_b32_e32 v4, v9
	v_add_co_ci_u32_e32 v7, vcc_lo, v7, v5, vcc_lo
	v_mov_b32_e32 v5, v10
	global_store_b64 v[6:7], v[9:10], off
	s_waitcnt_vscnt null, 0x0
	global_atomic_cmpswap_b64 v[4:5], v8, v[2:5], s[2:3] offset:24 glc
	s_waitcnt vmcnt(0)
	v_cmp_ne_u64_e32 vcc_lo, v[4:5], v[9:10]
	s_and_b32 exec_lo, exec_lo, vcc_lo
	s_cbranch_execz .LBB7_132
; %bb.130:
	s_mov_b32 s0, 0
.LBB7_131:                              ; =>This Inner Loop Header: Depth=1
	s_sleep 1
	global_store_b64 v[6:7], v[4:5], off
	s_waitcnt_vscnt null, 0x0
	global_atomic_cmpswap_b64 v[9:10], v8, v[2:5], s[2:3] offset:24 glc
	s_waitcnt vmcnt(0)
	v_cmp_eq_u64_e32 vcc_lo, v[9:10], v[4:5]
	v_dual_mov_b32 v4, v9 :: v_dual_mov_b32 v5, v10
	s_or_b32 s0, vcc_lo, s0
	s_delay_alu instid0(SALU_CYCLE_1)
	s_and_not1_b32 exec_lo, exec_lo, s0
	s_cbranch_execnz .LBB7_131
.LBB7_132:
	s_or_b32 exec_lo, exec_lo, s1
.LBB7_133:
	s_getpc_b64 s[0:1]
	s_add_u32 s0, s0, .str.1@rel32@lo+4
	s_addc_u32 s1, s1, .str.1@rel32@hi+12
	s_mov_b64 s[4:5], 0
	s_cmp_lg_u64 s[0:1], 0
	s_cselect_b32 s6, -1, 0
	s_cmp_eq_u64 s[0:1], 0
	s_cbranch_scc1 .LBB7_137
; %bb.134:
	s_waitcnt vmcnt(0)
	v_mov_b32_e32 v2, 0
	s_getpc_b64 s[0:1]
	s_add_u32 s0, s0, .str.1@rel32@lo+3
	s_addc_u32 s1, s1, .str.1@rel32@hi+11
.LBB7_135:                              ; =>This Inner Loop Header: Depth=1
	global_load_u8 v3, v2, s[0:1] offset:1
	s_add_u32 s4, s0, 1
	s_addc_u32 s5, s1, 0
	s_delay_alu instid0(SALU_CYCLE_1)
	s_mov_b64 s[0:1], s[4:5]
	s_waitcnt vmcnt(0)
	v_cmp_ne_u16_e32 vcc_lo, 0, v3
	s_cbranch_vccnz .LBB7_135
; %bb.136:
	s_getpc_b64 s[0:1]
	s_add_u32 s0, s0, .str.1@rel32@lo+4
	s_addc_u32 s1, s1, .str.1@rel32@hi+12
	s_sub_u32 s0, s4, s0
	s_subb_u32 s1, s5, s1
	s_add_u32 s4, s0, 1
	s_addc_u32 s5, s1, 0
.LBB7_137:
	s_and_b32 vcc_lo, exec_lo, s6
	s_cbranch_vccz .LBB7_215
; %bb.138:
	s_waitcnt vmcnt(0)
	v_dual_mov_b32 v6, 0 :: v_dual_and_b32 v33, 2, v0
	v_dual_mov_b32 v3, v1 :: v_dual_and_b32 v2, -3, v0
	v_dual_mov_b32 v7, 2 :: v_dual_mov_b32 v8, 1
	s_getpc_b64 s[6:7]
	s_add_u32 s6, s6, .str.1@rel32@lo+4
	s_addc_u32 s7, s7, .str.1@rel32@hi+12
	s_branch .LBB7_140
.LBB7_139:                              ;   in Loop: Header=BB7_140 Depth=1
	s_or_b32 exec_lo, exec_lo, s1
	s_sub_u32 s4, s4, s10
	s_subb_u32 s5, s5, s11
	s_add_u32 s6, s6, s10
	s_addc_u32 s7, s7, s11
	s_cmp_lg_u64 s[4:5], 0
	s_cbranch_scc0 .LBB7_216
.LBB7_140:                              ; =>This Loop Header: Depth=1
                                        ;     Child Loop BB7_149 Depth 2
                                        ;     Child Loop BB7_145 Depth 2
	;; [unrolled: 1-line block ×11, first 2 shown]
	v_cmp_lt_u64_e64 s0, s[4:5], 56
	v_cmp_gt_u64_e64 s1, s[4:5], 7
                                        ; implicit-def: $vgpr11_vgpr12
                                        ; implicit-def: $sgpr16
	s_delay_alu instid0(VALU_DEP_2) | instskip(SKIP_2) | instid1(VALU_DEP_1)
	s_and_b32 s0, s0, exec_lo
	s_cselect_b32 s11, s5, 0
	s_cselect_b32 s10, s4, 56
	s_and_b32 vcc_lo, exec_lo, s1
	s_mov_b32 s0, -1
	s_cbranch_vccz .LBB7_147
; %bb.141:                              ;   in Loop: Header=BB7_140 Depth=1
	s_and_not1_b32 vcc_lo, exec_lo, s0
	s_mov_b64 s[0:1], s[6:7]
	s_cbranch_vccz .LBB7_151
.LBB7_142:                              ;   in Loop: Header=BB7_140 Depth=1
	s_cmp_gt_u32 s16, 7
	s_cbranch_scc1 .LBB7_152
.LBB7_143:                              ;   in Loop: Header=BB7_140 Depth=1
	v_mov_b32_e32 v13, 0
	v_mov_b32_e32 v14, 0
	s_cmp_eq_u32 s16, 0
	s_cbranch_scc1 .LBB7_146
; %bb.144:                              ;   in Loop: Header=BB7_140 Depth=1
	s_mov_b64 s[12:13], 0
	s_mov_b64 s[14:15], 0
.LBB7_145:                              ;   Parent Loop BB7_140 Depth=1
                                        ; =>  This Inner Loop Header: Depth=2
	s_delay_alu instid0(SALU_CYCLE_1)
	s_add_u32 s18, s0, s14
	s_addc_u32 s19, s1, s15
	s_add_u32 s14, s14, 1
	global_load_u8 v4, v6, s[18:19]
	s_addc_u32 s15, s15, 0
	s_waitcnt vmcnt(0)
	v_and_b32_e32 v5, 0xffff, v4
	s_delay_alu instid0(VALU_DEP_1) | instskip(SKIP_3) | instid1(VALU_DEP_1)
	v_lshlrev_b64 v[4:5], s12, v[5:6]
	s_add_u32 s12, s12, 8
	s_addc_u32 s13, s13, 0
	s_cmp_lg_u32 s16, s14
	v_or_b32_e32 v13, v4, v13
	s_delay_alu instid0(VALU_DEP_2)
	v_or_b32_e32 v14, v5, v14
	s_cbranch_scc1 .LBB7_145
.LBB7_146:                              ;   in Loop: Header=BB7_140 Depth=1
	s_mov_b32 s17, 0
	s_cbranch_execz .LBB7_153
	s_branch .LBB7_154
.LBB7_147:                              ;   in Loop: Header=BB7_140 Depth=1
	v_mov_b32_e32 v11, 0
	v_mov_b32_e32 v12, 0
	s_cmp_eq_u64 s[4:5], 0
	s_mov_b64 s[0:1], 0
	s_cbranch_scc1 .LBB7_150
; %bb.148:                              ;   in Loop: Header=BB7_140 Depth=1
	v_mov_b32_e32 v11, 0
	v_mov_b32_e32 v12, 0
	s_lshl_b64 s[12:13], s[10:11], 3
	s_mov_b64 s[14:15], s[6:7]
.LBB7_149:                              ;   Parent Loop BB7_140 Depth=1
                                        ; =>  This Inner Loop Header: Depth=2
	global_load_u8 v4, v6, s[14:15]
	s_waitcnt vmcnt(0)
	v_and_b32_e32 v5, 0xffff, v4
	s_delay_alu instid0(VALU_DEP_1)
	v_lshlrev_b64 v[4:5], s0, v[5:6]
	s_add_u32 s0, s0, 8
	s_addc_u32 s1, s1, 0
	s_add_u32 s14, s14, 1
	s_addc_u32 s15, s15, 0
	s_cmp_lg_u32 s12, s0
	v_or_b32_e32 v11, v4, v11
	v_or_b32_e32 v12, v5, v12
	s_cbranch_scc1 .LBB7_149
.LBB7_150:                              ;   in Loop: Header=BB7_140 Depth=1
	s_mov_b32 s16, 0
	s_mov_b64 s[0:1], s[6:7]
	s_cbranch_execnz .LBB7_142
.LBB7_151:                              ;   in Loop: Header=BB7_140 Depth=1
	global_load_b64 v[11:12], v6, s[6:7]
	s_add_i32 s16, s10, -8
	s_add_u32 s0, s6, 8
	s_addc_u32 s1, s7, 0
	s_cmp_gt_u32 s16, 7
	s_cbranch_scc0 .LBB7_143
.LBB7_152:                              ;   in Loop: Header=BB7_140 Depth=1
                                        ; implicit-def: $vgpr13_vgpr14
                                        ; implicit-def: $sgpr17
.LBB7_153:                              ;   in Loop: Header=BB7_140 Depth=1
	global_load_b64 v[13:14], v6, s[0:1]
	s_add_i32 s17, s16, -8
	s_add_u32 s0, s0, 8
	s_addc_u32 s1, s1, 0
.LBB7_154:                              ;   in Loop: Header=BB7_140 Depth=1
	s_cmp_gt_u32 s17, 7
	s_cbranch_scc1 .LBB7_159
; %bb.155:                              ;   in Loop: Header=BB7_140 Depth=1
	v_mov_b32_e32 v15, 0
	v_mov_b32_e32 v16, 0
	s_cmp_eq_u32 s17, 0
	s_cbranch_scc1 .LBB7_158
; %bb.156:                              ;   in Loop: Header=BB7_140 Depth=1
	s_mov_b64 s[12:13], 0
	s_mov_b64 s[14:15], 0
.LBB7_157:                              ;   Parent Loop BB7_140 Depth=1
                                        ; =>  This Inner Loop Header: Depth=2
	s_delay_alu instid0(SALU_CYCLE_1)
	s_add_u32 s18, s0, s14
	s_addc_u32 s19, s1, s15
	s_add_u32 s14, s14, 1
	global_load_u8 v4, v6, s[18:19]
	s_addc_u32 s15, s15, 0
	s_waitcnt vmcnt(0)
	v_and_b32_e32 v5, 0xffff, v4
	s_delay_alu instid0(VALU_DEP_1) | instskip(SKIP_3) | instid1(VALU_DEP_1)
	v_lshlrev_b64 v[4:5], s12, v[5:6]
	s_add_u32 s12, s12, 8
	s_addc_u32 s13, s13, 0
	s_cmp_lg_u32 s17, s14
	v_or_b32_e32 v15, v4, v15
	s_delay_alu instid0(VALU_DEP_2)
	v_or_b32_e32 v16, v5, v16
	s_cbranch_scc1 .LBB7_157
.LBB7_158:                              ;   in Loop: Header=BB7_140 Depth=1
	s_mov_b32 s16, 0
	s_cbranch_execz .LBB7_160
	s_branch .LBB7_161
.LBB7_159:                              ;   in Loop: Header=BB7_140 Depth=1
                                        ; implicit-def: $sgpr16
.LBB7_160:                              ;   in Loop: Header=BB7_140 Depth=1
	global_load_b64 v[15:16], v6, s[0:1]
	s_add_i32 s16, s17, -8
	s_add_u32 s0, s0, 8
	s_addc_u32 s1, s1, 0
.LBB7_161:                              ;   in Loop: Header=BB7_140 Depth=1
	s_cmp_gt_u32 s16, 7
	s_cbranch_scc1 .LBB7_166
; %bb.162:                              ;   in Loop: Header=BB7_140 Depth=1
	v_mov_b32_e32 v17, 0
	v_mov_b32_e32 v18, 0
	s_cmp_eq_u32 s16, 0
	s_cbranch_scc1 .LBB7_165
; %bb.163:                              ;   in Loop: Header=BB7_140 Depth=1
	s_mov_b64 s[12:13], 0
	s_mov_b64 s[14:15], 0
.LBB7_164:                              ;   Parent Loop BB7_140 Depth=1
                                        ; =>  This Inner Loop Header: Depth=2
	s_delay_alu instid0(SALU_CYCLE_1)
	s_add_u32 s18, s0, s14
	s_addc_u32 s19, s1, s15
	s_add_u32 s14, s14, 1
	global_load_u8 v4, v6, s[18:19]
	s_addc_u32 s15, s15, 0
	s_waitcnt vmcnt(0)
	v_and_b32_e32 v5, 0xffff, v4
	s_delay_alu instid0(VALU_DEP_1) | instskip(SKIP_3) | instid1(VALU_DEP_1)
	v_lshlrev_b64 v[4:5], s12, v[5:6]
	s_add_u32 s12, s12, 8
	s_addc_u32 s13, s13, 0
	s_cmp_lg_u32 s16, s14
	v_or_b32_e32 v17, v4, v17
	s_delay_alu instid0(VALU_DEP_2)
	v_or_b32_e32 v18, v5, v18
	s_cbranch_scc1 .LBB7_164
.LBB7_165:                              ;   in Loop: Header=BB7_140 Depth=1
	s_mov_b32 s17, 0
	s_cbranch_execz .LBB7_167
	s_branch .LBB7_168
.LBB7_166:                              ;   in Loop: Header=BB7_140 Depth=1
                                        ; implicit-def: $vgpr17_vgpr18
                                        ; implicit-def: $sgpr17
.LBB7_167:                              ;   in Loop: Header=BB7_140 Depth=1
	global_load_b64 v[17:18], v6, s[0:1]
	s_add_i32 s17, s16, -8
	s_add_u32 s0, s0, 8
	s_addc_u32 s1, s1, 0
.LBB7_168:                              ;   in Loop: Header=BB7_140 Depth=1
	s_cmp_gt_u32 s17, 7
	s_cbranch_scc1 .LBB7_173
; %bb.169:                              ;   in Loop: Header=BB7_140 Depth=1
	v_mov_b32_e32 v19, 0
	v_mov_b32_e32 v20, 0
	s_cmp_eq_u32 s17, 0
	s_cbranch_scc1 .LBB7_172
; %bb.170:                              ;   in Loop: Header=BB7_140 Depth=1
	s_mov_b64 s[12:13], 0
	s_mov_b64 s[14:15], 0
.LBB7_171:                              ;   Parent Loop BB7_140 Depth=1
                                        ; =>  This Inner Loop Header: Depth=2
	s_delay_alu instid0(SALU_CYCLE_1)
	s_add_u32 s18, s0, s14
	s_addc_u32 s19, s1, s15
	s_add_u32 s14, s14, 1
	global_load_u8 v4, v6, s[18:19]
	s_addc_u32 s15, s15, 0
	s_waitcnt vmcnt(0)
	v_and_b32_e32 v5, 0xffff, v4
	s_delay_alu instid0(VALU_DEP_1) | instskip(SKIP_3) | instid1(VALU_DEP_1)
	v_lshlrev_b64 v[4:5], s12, v[5:6]
	s_add_u32 s12, s12, 8
	s_addc_u32 s13, s13, 0
	s_cmp_lg_u32 s17, s14
	v_or_b32_e32 v19, v4, v19
	s_delay_alu instid0(VALU_DEP_2)
	v_or_b32_e32 v20, v5, v20
	s_cbranch_scc1 .LBB7_171
.LBB7_172:                              ;   in Loop: Header=BB7_140 Depth=1
	s_mov_b32 s16, 0
	s_cbranch_execz .LBB7_174
	s_branch .LBB7_175
.LBB7_173:                              ;   in Loop: Header=BB7_140 Depth=1
                                        ; implicit-def: $sgpr16
.LBB7_174:                              ;   in Loop: Header=BB7_140 Depth=1
	global_load_b64 v[19:20], v6, s[0:1]
	s_add_i32 s16, s17, -8
	s_add_u32 s0, s0, 8
	s_addc_u32 s1, s1, 0
.LBB7_175:                              ;   in Loop: Header=BB7_140 Depth=1
	s_cmp_gt_u32 s16, 7
	s_cbranch_scc1 .LBB7_180
; %bb.176:                              ;   in Loop: Header=BB7_140 Depth=1
	v_mov_b32_e32 v21, 0
	v_mov_b32_e32 v22, 0
	s_cmp_eq_u32 s16, 0
	s_cbranch_scc1 .LBB7_179
; %bb.177:                              ;   in Loop: Header=BB7_140 Depth=1
	s_mov_b64 s[12:13], 0
	s_mov_b64 s[14:15], 0
.LBB7_178:                              ;   Parent Loop BB7_140 Depth=1
                                        ; =>  This Inner Loop Header: Depth=2
	s_delay_alu instid0(SALU_CYCLE_1)
	s_add_u32 s18, s0, s14
	s_addc_u32 s19, s1, s15
	s_add_u32 s14, s14, 1
	global_load_u8 v4, v6, s[18:19]
	s_addc_u32 s15, s15, 0
	s_waitcnt vmcnt(0)
	v_and_b32_e32 v5, 0xffff, v4
	s_delay_alu instid0(VALU_DEP_1) | instskip(SKIP_3) | instid1(VALU_DEP_1)
	v_lshlrev_b64 v[4:5], s12, v[5:6]
	s_add_u32 s12, s12, 8
	s_addc_u32 s13, s13, 0
	s_cmp_lg_u32 s16, s14
	v_or_b32_e32 v21, v4, v21
	s_delay_alu instid0(VALU_DEP_2)
	v_or_b32_e32 v22, v5, v22
	s_cbranch_scc1 .LBB7_178
.LBB7_179:                              ;   in Loop: Header=BB7_140 Depth=1
	s_mov_b32 s17, 0
	s_cbranch_execz .LBB7_181
	s_branch .LBB7_182
.LBB7_180:                              ;   in Loop: Header=BB7_140 Depth=1
                                        ; implicit-def: $vgpr21_vgpr22
                                        ; implicit-def: $sgpr17
.LBB7_181:                              ;   in Loop: Header=BB7_140 Depth=1
	global_load_b64 v[21:22], v6, s[0:1]
	s_add_i32 s17, s16, -8
	s_add_u32 s0, s0, 8
	s_addc_u32 s1, s1, 0
.LBB7_182:                              ;   in Loop: Header=BB7_140 Depth=1
	s_cmp_gt_u32 s17, 7
	s_cbranch_scc1 .LBB7_187
; %bb.183:                              ;   in Loop: Header=BB7_140 Depth=1
	v_mov_b32_e32 v23, 0
	v_mov_b32_e32 v24, 0
	s_cmp_eq_u32 s17, 0
	s_cbranch_scc1 .LBB7_186
; %bb.184:                              ;   in Loop: Header=BB7_140 Depth=1
	s_mov_b64 s[12:13], 0
	s_mov_b64 s[14:15], s[0:1]
.LBB7_185:                              ;   Parent Loop BB7_140 Depth=1
                                        ; =>  This Inner Loop Header: Depth=2
	global_load_u8 v4, v6, s[14:15]
	s_add_i32 s17, s17, -1
	s_waitcnt vmcnt(0)
	v_and_b32_e32 v5, 0xffff, v4
	s_delay_alu instid0(VALU_DEP_1)
	v_lshlrev_b64 v[4:5], s12, v[5:6]
	s_add_u32 s12, s12, 8
	s_addc_u32 s13, s13, 0
	s_add_u32 s14, s14, 1
	s_addc_u32 s15, s15, 0
	s_cmp_lg_u32 s17, 0
	v_or_b32_e32 v23, v4, v23
	v_or_b32_e32 v24, v5, v24
	s_cbranch_scc1 .LBB7_185
.LBB7_186:                              ;   in Loop: Header=BB7_140 Depth=1
	s_cbranch_execz .LBB7_188
	s_branch .LBB7_189
.LBB7_187:                              ;   in Loop: Header=BB7_140 Depth=1
.LBB7_188:                              ;   in Loop: Header=BB7_140 Depth=1
	global_load_b64 v[23:24], v6, s[0:1]
.LBB7_189:                              ;   in Loop: Header=BB7_140 Depth=1
	v_readfirstlane_b32 s0, v32
	s_waitcnt vmcnt(0)
	v_mov_b32_e32 v4, 0
	v_mov_b32_e32 v5, 0
	s_delay_alu instid0(VALU_DEP_3) | instskip(NEXT) | instid1(VALU_DEP_1)
	v_cmp_eq_u32_e64 s0, s0, v32
	s_and_saveexec_b32 s1, s0
	s_cbranch_execz .LBB7_195
; %bb.190:                              ;   in Loop: Header=BB7_140 Depth=1
	global_load_b64 v[27:28], v6, s[2:3] offset:24 glc
	s_waitcnt vmcnt(0)
	buffer_gl1_inv
	buffer_gl0_inv
	s_clause 0x1
	global_load_b64 v[4:5], v6, s[2:3] offset:40
	global_load_b64 v[9:10], v6, s[2:3]
	s_mov_b32 s12, exec_lo
	s_waitcnt vmcnt(1)
	v_and_b32_e32 v5, v5, v28
	v_and_b32_e32 v4, v4, v27
	s_delay_alu instid0(VALU_DEP_2) | instskip(NEXT) | instid1(VALU_DEP_2)
	v_mul_lo_u32 v5, v5, 24
	v_mul_hi_u32 v25, v4, 24
	v_mul_lo_u32 v4, v4, 24
	s_delay_alu instid0(VALU_DEP_2) | instskip(SKIP_1) | instid1(VALU_DEP_2)
	v_add_nc_u32_e32 v5, v25, v5
	s_waitcnt vmcnt(0)
	v_add_co_u32 v4, vcc_lo, v9, v4
	s_delay_alu instid0(VALU_DEP_2)
	v_add_co_ci_u32_e32 v5, vcc_lo, v10, v5, vcc_lo
	global_load_b64 v[25:26], v[4:5], off glc
	s_waitcnt vmcnt(0)
	global_atomic_cmpswap_b64 v[4:5], v6, v[25:28], s[2:3] offset:24 glc
	s_waitcnt vmcnt(0)
	buffer_gl1_inv
	buffer_gl0_inv
	v_cmpx_ne_u64_e64 v[4:5], v[27:28]
	s_cbranch_execz .LBB7_194
; %bb.191:                              ;   in Loop: Header=BB7_140 Depth=1
	s_mov_b32 s13, 0
	.p2align	6
.LBB7_192:                              ;   Parent Loop BB7_140 Depth=1
                                        ; =>  This Inner Loop Header: Depth=2
	s_sleep 1
	s_clause 0x1
	global_load_b64 v[9:10], v6, s[2:3] offset:40
	global_load_b64 v[25:26], v6, s[2:3]
	v_dual_mov_b32 v28, v5 :: v_dual_mov_b32 v27, v4
	s_waitcnt vmcnt(1)
	s_delay_alu instid0(VALU_DEP_1) | instskip(SKIP_1) | instid1(VALU_DEP_1)
	v_and_b32_e32 v9, v9, v27
	s_waitcnt vmcnt(0)
	v_mad_u64_u32 v[4:5], null, v9, 24, v[25:26]
	v_and_b32_e32 v25, v10, v28
	s_delay_alu instid0(VALU_DEP_1) | instskip(NEXT) | instid1(VALU_DEP_1)
	v_mad_u64_u32 v[9:10], null, v25, 24, v[5:6]
	v_mov_b32_e32 v5, v9
	global_load_b64 v[25:26], v[4:5], off glc
	s_waitcnt vmcnt(0)
	global_atomic_cmpswap_b64 v[4:5], v6, v[25:28], s[2:3] offset:24 glc
	s_waitcnt vmcnt(0)
	buffer_gl1_inv
	buffer_gl0_inv
	v_cmp_eq_u64_e32 vcc_lo, v[4:5], v[27:28]
	s_or_b32 s13, vcc_lo, s13
	s_delay_alu instid0(SALU_CYCLE_1)
	s_and_not1_b32 exec_lo, exec_lo, s13
	s_cbranch_execnz .LBB7_192
; %bb.193:                              ;   in Loop: Header=BB7_140 Depth=1
	s_or_b32 exec_lo, exec_lo, s13
.LBB7_194:                              ;   in Loop: Header=BB7_140 Depth=1
	s_delay_alu instid0(SALU_CYCLE_1)
	s_or_b32 exec_lo, exec_lo, s12
.LBB7_195:                              ;   in Loop: Header=BB7_140 Depth=1
	s_delay_alu instid0(SALU_CYCLE_1)
	s_or_b32 exec_lo, exec_lo, s1
	s_clause 0x1
	global_load_b64 v[9:10], v6, s[2:3] offset:40
	global_load_b128 v[25:28], v6, s[2:3]
	v_readfirstlane_b32 s12, v4
	v_readfirstlane_b32 s13, v5
	s_mov_b32 s1, exec_lo
	s_waitcnt vmcnt(1)
	v_readfirstlane_b32 s14, v9
	v_readfirstlane_b32 s15, v10
	s_delay_alu instid0(VALU_DEP_1) | instskip(NEXT) | instid1(SALU_CYCLE_1)
	s_and_b64 s[14:15], s[12:13], s[14:15]
	s_mul_i32 s16, s15, 24
	s_mul_hi_u32 s17, s14, 24
	s_mul_i32 s18, s14, 24
	s_add_i32 s17, s17, s16
	s_waitcnt vmcnt(0)
	v_add_co_u32 v29, vcc_lo, v25, s18
	v_add_co_ci_u32_e32 v30, vcc_lo, s17, v26, vcc_lo
	s_and_saveexec_b32 s16, s0
	s_cbranch_execz .LBB7_197
; %bb.196:                              ;   in Loop: Header=BB7_140 Depth=1
	v_mov_b32_e32 v5, s1
	global_store_b128 v[29:30], v[5:8], off offset:8
.LBB7_197:                              ;   in Loop: Header=BB7_140 Depth=1
	s_or_b32 exec_lo, exec_lo, s16
	s_lshl_b64 s[14:15], s[14:15], 12
	v_cmp_gt_u64_e64 vcc_lo, s[4:5], 56
	v_or_b32_e32 v5, v2, v33
	v_add_co_u32 v27, s1, v27, s14
	s_delay_alu instid0(VALU_DEP_1)
	v_add_co_ci_u32_e64 v28, s1, s15, v28, s1
	s_lshl_b32 s1, s10, 2
	v_or_b32_e32 v4, 0, v3
	v_cndmask_b32_e32 v2, v5, v2, vcc_lo
	s_add_i32 s1, s1, 28
	v_readfirstlane_b32 s14, v27
	s_and_b32 s1, s1, 0x1e0
	v_cndmask_b32_e32 v10, v4, v3, vcc_lo
	v_readfirstlane_b32 s15, v28
	v_and_or_b32 v9, 0xffffff1f, v2, s1
	s_clause 0x3
	global_store_b128 v31, v[9:12], s[14:15]
	global_store_b128 v31, v[13:16], s[14:15] offset:16
	global_store_b128 v31, v[17:20], s[14:15] offset:32
	;; [unrolled: 1-line block ×3, first 2 shown]
	s_and_saveexec_b32 s1, s0
	s_cbranch_execz .LBB7_205
; %bb.198:                              ;   in Loop: Header=BB7_140 Depth=1
	s_clause 0x1
	global_load_b64 v[13:14], v6, s[2:3] offset:32 glc
	global_load_b64 v[2:3], v6, s[2:3] offset:40
	v_dual_mov_b32 v11, s12 :: v_dual_mov_b32 v12, s13
	s_waitcnt vmcnt(0)
	v_readfirstlane_b32 s14, v2
	v_readfirstlane_b32 s15, v3
	s_delay_alu instid0(VALU_DEP_1) | instskip(NEXT) | instid1(SALU_CYCLE_1)
	s_and_b64 s[14:15], s[14:15], s[12:13]
	s_mul_i32 s15, s15, 24
	s_mul_hi_u32 s16, s14, 24
	s_mul_i32 s14, s14, 24
	s_add_i32 s16, s16, s15
	v_add_co_u32 v9, vcc_lo, v25, s14
	v_add_co_ci_u32_e32 v10, vcc_lo, s16, v26, vcc_lo
	s_mov_b32 s14, exec_lo
	global_store_b64 v[9:10], v[13:14], off
	s_waitcnt_vscnt null, 0x0
	global_atomic_cmpswap_b64 v[4:5], v6, v[11:14], s[2:3] offset:32 glc
	s_waitcnt vmcnt(0)
	v_cmpx_ne_u64_e64 v[4:5], v[13:14]
	s_cbranch_execz .LBB7_201
; %bb.199:                              ;   in Loop: Header=BB7_140 Depth=1
	s_mov_b32 s15, 0
.LBB7_200:                              ;   Parent Loop BB7_140 Depth=1
                                        ; =>  This Inner Loop Header: Depth=2
	v_dual_mov_b32 v2, s12 :: v_dual_mov_b32 v3, s13
	s_sleep 1
	global_store_b64 v[9:10], v[4:5], off
	s_waitcnt_vscnt null, 0x0
	global_atomic_cmpswap_b64 v[2:3], v6, v[2:5], s[2:3] offset:32 glc
	s_waitcnt vmcnt(0)
	v_cmp_eq_u64_e32 vcc_lo, v[2:3], v[4:5]
	v_dual_mov_b32 v5, v3 :: v_dual_mov_b32 v4, v2
	s_or_b32 s15, vcc_lo, s15
	s_delay_alu instid0(SALU_CYCLE_1)
	s_and_not1_b32 exec_lo, exec_lo, s15
	s_cbranch_execnz .LBB7_200
.LBB7_201:                              ;   in Loop: Header=BB7_140 Depth=1
	s_or_b32 exec_lo, exec_lo, s14
	global_load_b64 v[2:3], v6, s[2:3] offset:16
	s_mov_b32 s15, exec_lo
	s_mov_b32 s14, exec_lo
	v_mbcnt_lo_u32_b32 v4, s15, 0
	s_delay_alu instid0(VALU_DEP_1)
	v_cmpx_eq_u32_e32 0, v4
	s_cbranch_execz .LBB7_203
; %bb.202:                              ;   in Loop: Header=BB7_140 Depth=1
	s_bcnt1_i32_b32 s15, s15
	s_delay_alu instid0(SALU_CYCLE_1)
	v_mov_b32_e32 v5, s15
	s_waitcnt vmcnt(0)
	global_atomic_add_u64 v[2:3], v[5:6], off offset:8
.LBB7_203:                              ;   in Loop: Header=BB7_140 Depth=1
	s_or_b32 exec_lo, exec_lo, s14
	s_waitcnt vmcnt(0)
	global_load_b64 v[9:10], v[2:3], off offset:16
	s_waitcnt vmcnt(0)
	v_cmp_eq_u64_e32 vcc_lo, 0, v[9:10]
	s_cbranch_vccnz .LBB7_205
; %bb.204:                              ;   in Loop: Header=BB7_140 Depth=1
	global_load_b32 v5, v[2:3], off offset:24
	s_waitcnt vmcnt(0)
	v_and_b32_e32 v2, 0xffffff, v5
	s_waitcnt_vscnt null, 0x0
	global_store_b64 v[9:10], v[5:6], off
	v_readfirstlane_b32 m0, v2
	s_sendmsg sendmsg(MSG_INTERRUPT)
.LBB7_205:                              ;   in Loop: Header=BB7_140 Depth=1
	s_or_b32 exec_lo, exec_lo, s1
	v_add_co_u32 v2, vcc_lo, v27, v31
	v_add_co_ci_u32_e32 v3, vcc_lo, 0, v28, vcc_lo
	s_branch .LBB7_209
	.p2align	6
.LBB7_206:                              ;   in Loop: Header=BB7_209 Depth=2
	s_or_b32 exec_lo, exec_lo, s1
	s_delay_alu instid0(VALU_DEP_1) | instskip(NEXT) | instid1(VALU_DEP_1)
	v_readfirstlane_b32 s1, v4
	s_cmp_eq_u32 s1, 0
	s_cbranch_scc1 .LBB7_208
; %bb.207:                              ;   in Loop: Header=BB7_209 Depth=2
	s_sleep 1
	s_cbranch_execnz .LBB7_209
	s_branch .LBB7_211
	.p2align	6
.LBB7_208:                              ;   in Loop: Header=BB7_140 Depth=1
	s_branch .LBB7_211
.LBB7_209:                              ;   Parent Loop BB7_140 Depth=1
                                        ; =>  This Inner Loop Header: Depth=2
	v_mov_b32_e32 v4, 1
	s_and_saveexec_b32 s1, s0
	s_cbranch_execz .LBB7_206
; %bb.210:                              ;   in Loop: Header=BB7_209 Depth=2
	global_load_b32 v4, v[29:30], off offset:20 glc
	s_waitcnt vmcnt(0)
	buffer_gl1_inv
	buffer_gl0_inv
	v_and_b32_e32 v4, 1, v4
	s_branch .LBB7_206
.LBB7_211:                              ;   in Loop: Header=BB7_140 Depth=1
	global_load_b128 v[2:5], v[2:3], off
	s_and_saveexec_b32 s1, s0
	s_cbranch_execz .LBB7_139
; %bb.212:                              ;   in Loop: Header=BB7_140 Depth=1
	s_clause 0x2
	global_load_b64 v[4:5], v6, s[2:3] offset:40
	global_load_b64 v[13:14], v6, s[2:3] offset:24 glc
	global_load_b64 v[11:12], v6, s[2:3]
	s_waitcnt vmcnt(2)
	v_add_co_u32 v15, vcc_lo, v4, 1
	v_add_co_ci_u32_e32 v16, vcc_lo, 0, v5, vcc_lo
	s_delay_alu instid0(VALU_DEP_2) | instskip(NEXT) | instid1(VALU_DEP_2)
	v_add_co_u32 v9, vcc_lo, v15, s12
	v_add_co_ci_u32_e32 v10, vcc_lo, s13, v16, vcc_lo
	s_delay_alu instid0(VALU_DEP_1) | instskip(SKIP_1) | instid1(VALU_DEP_1)
	v_cmp_eq_u64_e32 vcc_lo, 0, v[9:10]
	v_dual_cndmask_b32 v10, v10, v16 :: v_dual_cndmask_b32 v9, v9, v15
	v_and_b32_e32 v5, v10, v5
	s_delay_alu instid0(VALU_DEP_2) | instskip(NEXT) | instid1(VALU_DEP_2)
	v_and_b32_e32 v4, v9, v4
	v_mul_lo_u32 v5, v5, 24
	s_delay_alu instid0(VALU_DEP_2) | instskip(SKIP_1) | instid1(VALU_DEP_2)
	v_mul_hi_u32 v15, v4, 24
	v_mul_lo_u32 v4, v4, 24
	v_add_nc_u32_e32 v5, v15, v5
	s_waitcnt vmcnt(0)
	s_delay_alu instid0(VALU_DEP_2) | instskip(SKIP_1) | instid1(VALU_DEP_3)
	v_add_co_u32 v4, vcc_lo, v11, v4
	v_mov_b32_e32 v11, v13
	v_add_co_ci_u32_e32 v5, vcc_lo, v12, v5, vcc_lo
	v_mov_b32_e32 v12, v14
	global_store_b64 v[4:5], v[13:14], off
	s_waitcnt_vscnt null, 0x0
	global_atomic_cmpswap_b64 v[11:12], v6, v[9:12], s[2:3] offset:24 glc
	s_waitcnt vmcnt(0)
	v_cmp_ne_u64_e32 vcc_lo, v[11:12], v[13:14]
	s_and_b32 exec_lo, exec_lo, vcc_lo
	s_cbranch_execz .LBB7_139
; %bb.213:                              ;   in Loop: Header=BB7_140 Depth=1
	s_mov_b32 s0, 0
.LBB7_214:                              ;   Parent Loop BB7_140 Depth=1
                                        ; =>  This Inner Loop Header: Depth=2
	s_sleep 1
	global_store_b64 v[4:5], v[11:12], off
	s_waitcnt_vscnt null, 0x0
	global_atomic_cmpswap_b64 v[13:14], v6, v[9:12], s[2:3] offset:24 glc
	s_waitcnt vmcnt(0)
	v_cmp_eq_u64_e32 vcc_lo, v[13:14], v[11:12]
	v_dual_mov_b32 v11, v13 :: v_dual_mov_b32 v12, v14
	s_or_b32 s0, vcc_lo, s0
	s_delay_alu instid0(SALU_CYCLE_1)
	s_and_not1_b32 exec_lo, exec_lo, s0
	s_cbranch_execnz .LBB7_214
	s_branch .LBB7_139
.LBB7_215:
                                        ; implicit-def: $vgpr2_vgpr3
	s_cbranch_execnz .LBB7_217
	s_branch .LBB7_244
.LBB7_216:
	s_branch .LBB7_244
.LBB7_217:
	v_readfirstlane_b32 s0, v32
	v_mov_b32_e32 v8, 0
	v_mov_b32_e32 v9, 0
	s_delay_alu instid0(VALU_DEP_3) | instskip(NEXT) | instid1(VALU_DEP_1)
	v_cmp_eq_u32_e64 s0, s0, v32
	s_and_saveexec_b32 s1, s0
	s_cbranch_execz .LBB7_223
; %bb.218:
	s_waitcnt vmcnt(0)
	v_mov_b32_e32 v2, 0
	s_mov_b32 s4, exec_lo
	global_load_b64 v[5:6], v2, s[2:3] offset:24 glc
	s_waitcnt vmcnt(0)
	buffer_gl1_inv
	buffer_gl0_inv
	s_clause 0x1
	global_load_b64 v[3:4], v2, s[2:3] offset:40
	global_load_b64 v[7:8], v2, s[2:3]
	s_waitcnt vmcnt(1)
	v_and_b32_e32 v3, v3, v5
	v_and_b32_e32 v4, v4, v6
	s_delay_alu instid0(VALU_DEP_2) | instskip(NEXT) | instid1(VALU_DEP_2)
	v_mul_hi_u32 v9, v3, 24
	v_mul_lo_u32 v4, v4, 24
	v_mul_lo_u32 v3, v3, 24
	s_delay_alu instid0(VALU_DEP_2) | instskip(SKIP_1) | instid1(VALU_DEP_2)
	v_add_nc_u32_e32 v4, v9, v4
	s_waitcnt vmcnt(0)
	v_add_co_u32 v3, vcc_lo, v7, v3
	s_delay_alu instid0(VALU_DEP_2)
	v_add_co_ci_u32_e32 v4, vcc_lo, v8, v4, vcc_lo
	global_load_b64 v[3:4], v[3:4], off glc
	s_waitcnt vmcnt(0)
	global_atomic_cmpswap_b64 v[8:9], v2, v[3:6], s[2:3] offset:24 glc
	s_waitcnt vmcnt(0)
	buffer_gl1_inv
	buffer_gl0_inv
	v_cmpx_ne_u64_e64 v[8:9], v[5:6]
	s_cbranch_execz .LBB7_222
; %bb.219:
	s_mov_b32 s5, 0
	.p2align	6
.LBB7_220:                              ; =>This Inner Loop Header: Depth=1
	s_sleep 1
	s_clause 0x1
	global_load_b64 v[3:4], v2, s[2:3] offset:40
	global_load_b64 v[10:11], v2, s[2:3]
	v_dual_mov_b32 v5, v8 :: v_dual_mov_b32 v6, v9
	s_waitcnt vmcnt(1)
	s_delay_alu instid0(VALU_DEP_1) | instskip(NEXT) | instid1(VALU_DEP_2)
	v_and_b32_e32 v3, v3, v5
	v_and_b32_e32 v4, v4, v6
	s_waitcnt vmcnt(0)
	s_delay_alu instid0(VALU_DEP_2) | instskip(NEXT) | instid1(VALU_DEP_1)
	v_mad_u64_u32 v[7:8], null, v3, 24, v[10:11]
	v_mov_b32_e32 v3, v8
	s_delay_alu instid0(VALU_DEP_1)
	v_mad_u64_u32 v[8:9], null, v4, 24, v[3:4]
	global_load_b64 v[3:4], v[7:8], off glc
	s_waitcnt vmcnt(0)
	global_atomic_cmpswap_b64 v[8:9], v2, v[3:6], s[2:3] offset:24 glc
	s_waitcnt vmcnt(0)
	buffer_gl1_inv
	buffer_gl0_inv
	v_cmp_eq_u64_e32 vcc_lo, v[8:9], v[5:6]
	s_or_b32 s5, vcc_lo, s5
	s_delay_alu instid0(SALU_CYCLE_1)
	s_and_not1_b32 exec_lo, exec_lo, s5
	s_cbranch_execnz .LBB7_220
; %bb.221:
	s_or_b32 exec_lo, exec_lo, s5
.LBB7_222:
	s_delay_alu instid0(SALU_CYCLE_1)
	s_or_b32 exec_lo, exec_lo, s4
.LBB7_223:
	s_delay_alu instid0(SALU_CYCLE_1)
	s_or_b32 exec_lo, exec_lo, s1
	s_waitcnt vmcnt(0)
	v_mov_b32_e32 v2, 0
	v_readfirstlane_b32 s4, v8
	v_readfirstlane_b32 s5, v9
	s_mov_b32 s1, exec_lo
	s_clause 0x1
	global_load_b64 v[10:11], v2, s[2:3] offset:40
	global_load_b128 v[4:7], v2, s[2:3]
	s_waitcnt vmcnt(1)
	v_readfirstlane_b32 s6, v10
	v_readfirstlane_b32 s7, v11
	s_delay_alu instid0(VALU_DEP_1) | instskip(NEXT) | instid1(SALU_CYCLE_1)
	s_and_b64 s[6:7], s[4:5], s[6:7]
	s_mul_i32 s10, s7, 24
	s_mul_hi_u32 s11, s6, 24
	s_mul_i32 s12, s6, 24
	s_add_i32 s11, s11, s10
	s_waitcnt vmcnt(0)
	v_add_co_u32 v8, vcc_lo, v4, s12
	v_add_co_ci_u32_e32 v9, vcc_lo, s11, v5, vcc_lo
	s_and_saveexec_b32 s10, s0
	s_cbranch_execz .LBB7_225
; %bb.224:
	v_dual_mov_b32 v10, s1 :: v_dual_mov_b32 v11, v2
	v_dual_mov_b32 v12, 2 :: v_dual_mov_b32 v13, 1
	global_store_b128 v[8:9], v[10:13], off offset:8
.LBB7_225:
	s_or_b32 exec_lo, exec_lo, s10
	s_lshl_b64 s[6:7], s[6:7], 12
	s_mov_b32 s12, 0
	v_add_co_u32 v6, vcc_lo, v6, s6
	v_add_co_ci_u32_e32 v7, vcc_lo, s7, v7, vcc_lo
	s_mov_b32 s13, s12
	s_delay_alu instid0(VALU_DEP_2)
	v_readfirstlane_b32 s6, v6
	v_add_co_u32 v6, vcc_lo, v6, v31
	s_mov_b32 s14, s12
	s_mov_b32 s15, s12
	v_and_or_b32 v0, 0xffffff1f, v0, 32
	v_dual_mov_b32 v3, v2 :: v_dual_mov_b32 v10, s12
	v_readfirstlane_b32 s7, v7
	v_add_co_ci_u32_e32 v7, vcc_lo, 0, v7, vcc_lo
	v_dual_mov_b32 v11, s13 :: v_dual_mov_b32 v12, s14
	v_mov_b32_e32 v13, s15
	s_clause 0x3
	global_store_b128 v31, v[0:3], s[6:7]
	global_store_b128 v31, v[10:13], s[6:7] offset:16
	global_store_b128 v31, v[10:13], s[6:7] offset:32
	;; [unrolled: 1-line block ×3, first 2 shown]
	s_and_saveexec_b32 s1, s0
	s_cbranch_execz .LBB7_233
; %bb.226:
	v_dual_mov_b32 v10, 0 :: v_dual_mov_b32 v11, s4
	v_mov_b32_e32 v12, s5
	s_clause 0x1
	global_load_b64 v[13:14], v10, s[2:3] offset:32 glc
	global_load_b64 v[0:1], v10, s[2:3] offset:40
	s_waitcnt vmcnt(0)
	v_readfirstlane_b32 s6, v0
	v_readfirstlane_b32 s7, v1
	s_delay_alu instid0(VALU_DEP_1) | instskip(NEXT) | instid1(SALU_CYCLE_1)
	s_and_b64 s[6:7], s[6:7], s[4:5]
	s_mul_i32 s7, s7, 24
	s_mul_hi_u32 s10, s6, 24
	s_mul_i32 s6, s6, 24
	s_add_i32 s10, s10, s7
	v_add_co_u32 v4, vcc_lo, v4, s6
	v_add_co_ci_u32_e32 v5, vcc_lo, s10, v5, vcc_lo
	s_mov_b32 s6, exec_lo
	global_store_b64 v[4:5], v[13:14], off
	s_waitcnt_vscnt null, 0x0
	global_atomic_cmpswap_b64 v[2:3], v10, v[11:14], s[2:3] offset:32 glc
	s_waitcnt vmcnt(0)
	v_cmpx_ne_u64_e64 v[2:3], v[13:14]
	s_cbranch_execz .LBB7_229
; %bb.227:
	s_mov_b32 s7, 0
.LBB7_228:                              ; =>This Inner Loop Header: Depth=1
	v_dual_mov_b32 v0, s4 :: v_dual_mov_b32 v1, s5
	s_sleep 1
	global_store_b64 v[4:5], v[2:3], off
	s_waitcnt_vscnt null, 0x0
	global_atomic_cmpswap_b64 v[0:1], v10, v[0:3], s[2:3] offset:32 glc
	s_waitcnt vmcnt(0)
	v_cmp_eq_u64_e32 vcc_lo, v[0:1], v[2:3]
	v_dual_mov_b32 v3, v1 :: v_dual_mov_b32 v2, v0
	s_or_b32 s7, vcc_lo, s7
	s_delay_alu instid0(SALU_CYCLE_1)
	s_and_not1_b32 exec_lo, exec_lo, s7
	s_cbranch_execnz .LBB7_228
.LBB7_229:
	s_or_b32 exec_lo, exec_lo, s6
	v_mov_b32_e32 v3, 0
	s_mov_b32 s7, exec_lo
	s_mov_b32 s6, exec_lo
	v_mbcnt_lo_u32_b32 v2, s7, 0
	global_load_b64 v[0:1], v3, s[2:3] offset:16
	v_cmpx_eq_u32_e32 0, v2
	s_cbranch_execz .LBB7_231
; %bb.230:
	s_bcnt1_i32_b32 s7, s7
	s_delay_alu instid0(SALU_CYCLE_1)
	v_mov_b32_e32 v2, s7
	s_waitcnt vmcnt(0)
	global_atomic_add_u64 v[0:1], v[2:3], off offset:8
.LBB7_231:
	s_or_b32 exec_lo, exec_lo, s6
	s_waitcnt vmcnt(0)
	global_load_b64 v[2:3], v[0:1], off offset:16
	s_waitcnt vmcnt(0)
	v_cmp_eq_u64_e32 vcc_lo, 0, v[2:3]
	s_cbranch_vccnz .LBB7_233
; %bb.232:
	global_load_b32 v0, v[0:1], off offset:24
	s_waitcnt vmcnt(0)
	v_dual_mov_b32 v1, 0 :: v_dual_and_b32 v4, 0xffffff, v0
	s_waitcnt_vscnt null, 0x0
	global_store_b64 v[2:3], v[0:1], off
	v_readfirstlane_b32 m0, v4
	s_sendmsg sendmsg(MSG_INTERRUPT)
.LBB7_233:
	s_or_b32 exec_lo, exec_lo, s1
	s_branch .LBB7_237
	.p2align	6
.LBB7_234:                              ;   in Loop: Header=BB7_237 Depth=1
	s_or_b32 exec_lo, exec_lo, s1
	s_delay_alu instid0(VALU_DEP_1) | instskip(NEXT) | instid1(VALU_DEP_1)
	v_readfirstlane_b32 s1, v0
	s_cmp_eq_u32 s1, 0
	s_cbranch_scc1 .LBB7_236
; %bb.235:                              ;   in Loop: Header=BB7_237 Depth=1
	s_sleep 1
	s_cbranch_execnz .LBB7_237
	s_branch .LBB7_239
	.p2align	6
.LBB7_236:
	s_branch .LBB7_239
.LBB7_237:                              ; =>This Inner Loop Header: Depth=1
	v_mov_b32_e32 v0, 1
	s_and_saveexec_b32 s1, s0
	s_cbranch_execz .LBB7_234
; %bb.238:                              ;   in Loop: Header=BB7_237 Depth=1
	global_load_b32 v0, v[8:9], off offset:20 glc
	s_waitcnt vmcnt(0)
	buffer_gl1_inv
	buffer_gl0_inv
	v_and_b32_e32 v0, 1, v0
	s_branch .LBB7_234
.LBB7_239:
	global_load_b64 v[2:3], v[6:7], off
	s_and_saveexec_b32 s1, s0
	s_cbranch_execz .LBB7_243
; %bb.240:
	v_mov_b32_e32 v8, 0
	s_clause 0x2
	global_load_b64 v[0:1], v8, s[2:3] offset:40
	global_load_b64 v[9:10], v8, s[2:3] offset:24 glc
	global_load_b64 v[6:7], v8, s[2:3]
	s_waitcnt vmcnt(2)
	v_add_co_u32 v11, vcc_lo, v0, 1
	v_add_co_ci_u32_e32 v12, vcc_lo, 0, v1, vcc_lo
	s_delay_alu instid0(VALU_DEP_2) | instskip(NEXT) | instid1(VALU_DEP_2)
	v_add_co_u32 v4, vcc_lo, v11, s4
	v_add_co_ci_u32_e32 v5, vcc_lo, s5, v12, vcc_lo
	s_delay_alu instid0(VALU_DEP_1) | instskip(SKIP_1) | instid1(VALU_DEP_1)
	v_cmp_eq_u64_e32 vcc_lo, 0, v[4:5]
	v_dual_cndmask_b32 v5, v5, v12 :: v_dual_cndmask_b32 v4, v4, v11
	v_and_b32_e32 v1, v5, v1
	s_delay_alu instid0(VALU_DEP_2) | instskip(NEXT) | instid1(VALU_DEP_2)
	v_and_b32_e32 v0, v4, v0
	v_mul_lo_u32 v1, v1, 24
	s_delay_alu instid0(VALU_DEP_2) | instskip(SKIP_1) | instid1(VALU_DEP_2)
	v_mul_hi_u32 v11, v0, 24
	v_mul_lo_u32 v0, v0, 24
	v_add_nc_u32_e32 v1, v11, v1
	s_waitcnt vmcnt(0)
	s_delay_alu instid0(VALU_DEP_2) | instskip(SKIP_1) | instid1(VALU_DEP_3)
	v_add_co_u32 v0, vcc_lo, v6, v0
	v_mov_b32_e32 v6, v9
	v_add_co_ci_u32_e32 v1, vcc_lo, v7, v1, vcc_lo
	v_mov_b32_e32 v7, v10
	global_store_b64 v[0:1], v[9:10], off
	s_waitcnt_vscnt null, 0x0
	global_atomic_cmpswap_b64 v[6:7], v8, v[4:7], s[2:3] offset:24 glc
	s_waitcnt vmcnt(0)
	v_cmp_ne_u64_e32 vcc_lo, v[6:7], v[9:10]
	s_and_b32 exec_lo, exec_lo, vcc_lo
	s_cbranch_execz .LBB7_243
; %bb.241:
	s_mov_b32 s0, 0
.LBB7_242:                              ; =>This Inner Loop Header: Depth=1
	s_sleep 1
	global_store_b64 v[0:1], v[6:7], off
	s_waitcnt_vscnt null, 0x0
	global_atomic_cmpswap_b64 v[9:10], v8, v[4:7], s[2:3] offset:24 glc
	s_waitcnt vmcnt(0)
	v_cmp_eq_u64_e32 vcc_lo, v[9:10], v[6:7]
	v_dual_mov_b32 v6, v9 :: v_dual_mov_b32 v7, v10
	s_or_b32 s0, vcc_lo, s0
	s_delay_alu instid0(SALU_CYCLE_1)
	s_and_not1_b32 exec_lo, exec_lo, s0
	s_cbranch_execnz .LBB7_242
.LBB7_243:
	s_or_b32 exec_lo, exec_lo, s1
.LBB7_244:
	v_readfirstlane_b32 s0, v32
	s_waitcnt vmcnt(0)
	v_mov_b32_e32 v0, 0
	v_mov_b32_e32 v1, 0
	s_delay_alu instid0(VALU_DEP_3) | instskip(NEXT) | instid1(VALU_DEP_1)
	v_cmp_eq_u32_e64 s0, s0, v32
	s_and_saveexec_b32 s1, s0
	s_cbranch_execz .LBB7_250
; %bb.245:
	v_mov_b32_e32 v4, 0
	s_mov_b32 s4, exec_lo
	global_load_b64 v[7:8], v4, s[2:3] offset:24 glc
	s_waitcnt vmcnt(0)
	buffer_gl1_inv
	buffer_gl0_inv
	s_clause 0x1
	global_load_b64 v[0:1], v4, s[2:3] offset:40
	global_load_b64 v[5:6], v4, s[2:3]
	s_waitcnt vmcnt(1)
	v_and_b32_e32 v1, v1, v8
	v_and_b32_e32 v0, v0, v7
	s_delay_alu instid0(VALU_DEP_2) | instskip(NEXT) | instid1(VALU_DEP_2)
	v_mul_lo_u32 v1, v1, 24
	v_mul_hi_u32 v9, v0, 24
	v_mul_lo_u32 v0, v0, 24
	s_delay_alu instid0(VALU_DEP_2) | instskip(SKIP_1) | instid1(VALU_DEP_2)
	v_add_nc_u32_e32 v1, v9, v1
	s_waitcnt vmcnt(0)
	v_add_co_u32 v0, vcc_lo, v5, v0
	s_delay_alu instid0(VALU_DEP_2)
	v_add_co_ci_u32_e32 v1, vcc_lo, v6, v1, vcc_lo
	global_load_b64 v[5:6], v[0:1], off glc
	s_waitcnt vmcnt(0)
	global_atomic_cmpswap_b64 v[0:1], v4, v[5:8], s[2:3] offset:24 glc
	s_waitcnt vmcnt(0)
	buffer_gl1_inv
	buffer_gl0_inv
	v_cmpx_ne_u64_e64 v[0:1], v[7:8]
	s_cbranch_execz .LBB7_249
; %bb.246:
	s_mov_b32 s5, 0
	.p2align	6
.LBB7_247:                              ; =>This Inner Loop Header: Depth=1
	s_sleep 1
	s_clause 0x1
	global_load_b64 v[5:6], v4, s[2:3] offset:40
	global_load_b64 v[9:10], v4, s[2:3]
	v_dual_mov_b32 v8, v1 :: v_dual_mov_b32 v7, v0
	s_waitcnt vmcnt(1)
	s_delay_alu instid0(VALU_DEP_1) | instskip(SKIP_1) | instid1(VALU_DEP_1)
	v_and_b32_e32 v5, v5, v7
	s_waitcnt vmcnt(0)
	v_mad_u64_u32 v[0:1], null, v5, 24, v[9:10]
	v_and_b32_e32 v9, v6, v8
	s_delay_alu instid0(VALU_DEP_1) | instskip(NEXT) | instid1(VALU_DEP_1)
	v_mad_u64_u32 v[5:6], null, v9, 24, v[1:2]
	v_mov_b32_e32 v1, v5
	global_load_b64 v[5:6], v[0:1], off glc
	s_waitcnt vmcnt(0)
	global_atomic_cmpswap_b64 v[0:1], v4, v[5:8], s[2:3] offset:24 glc
	s_waitcnt vmcnt(0)
	buffer_gl1_inv
	buffer_gl0_inv
	v_cmp_eq_u64_e32 vcc_lo, v[0:1], v[7:8]
	s_or_b32 s5, vcc_lo, s5
	s_delay_alu instid0(SALU_CYCLE_1)
	s_and_not1_b32 exec_lo, exec_lo, s5
	s_cbranch_execnz .LBB7_247
; %bb.248:
	s_or_b32 exec_lo, exec_lo, s5
.LBB7_249:
	s_delay_alu instid0(SALU_CYCLE_1)
	s_or_b32 exec_lo, exec_lo, s4
.LBB7_250:
	s_delay_alu instid0(SALU_CYCLE_1)
	s_or_b32 exec_lo, exec_lo, s1
	v_mov_b32_e32 v5, 0
	v_readfirstlane_b32 s4, v0
	v_readfirstlane_b32 s5, v1
	s_mov_b32 s1, exec_lo
	s_clause 0x1
	global_load_b64 v[10:11], v5, s[2:3] offset:40
	global_load_b128 v[6:9], v5, s[2:3]
	s_waitcnt vmcnt(1)
	v_readfirstlane_b32 s6, v10
	v_readfirstlane_b32 s7, v11
	s_delay_alu instid0(VALU_DEP_1) | instskip(NEXT) | instid1(SALU_CYCLE_1)
	s_and_b64 s[6:7], s[4:5], s[6:7]
	s_mul_i32 s10, s7, 24
	s_mul_hi_u32 s11, s6, 24
	s_mul_i32 s12, s6, 24
	s_add_i32 s11, s11, s10
	s_waitcnt vmcnt(0)
	v_add_co_u32 v10, vcc_lo, v6, s12
	v_add_co_ci_u32_e32 v11, vcc_lo, s11, v7, vcc_lo
	s_and_saveexec_b32 s10, s0
	s_cbranch_execz .LBB7_252
; %bb.251:
	v_dual_mov_b32 v4, s1 :: v_dual_mov_b32 v15, 1
	v_dual_mov_b32 v14, 2 :: v_dual_mov_b32 v13, v5
	s_delay_alu instid0(VALU_DEP_2)
	v_mov_b32_e32 v12, v4
	global_store_b128 v[10:11], v[12:15], off offset:8
.LBB7_252:
	s_or_b32 exec_lo, exec_lo, s10
	s_lshl_b64 s[6:7], s[6:7], 12
	s_mov_b32 s12, 0
	v_add_co_u32 v0, vcc_lo, v8, s6
	v_add_co_ci_u32_e32 v1, vcc_lo, s7, v9, vcc_lo
	s_mov_b32 s13, s12
	s_delay_alu instid0(VALU_DEP_2)
	v_add_co_u32 v8, vcc_lo, v0, v31
	s_mov_b32 s14, s12
	s_mov_b32 s15, s12
	v_and_or_b32 v2, 0xffffff1f, v2, 32
	v_mov_b32_e32 v4, 0x41
	v_readfirstlane_b32 s6, v0
	v_readfirstlane_b32 s7, v1
	v_dual_mov_b32 v12, s12 :: v_dual_mov_b32 v15, s15
	v_add_co_ci_u32_e32 v9, vcc_lo, 0, v1, vcc_lo
	v_dual_mov_b32 v13, s13 :: v_dual_mov_b32 v14, s14
	s_clause 0x3
	global_store_b128 v31, v[2:5], s[6:7]
	global_store_b128 v31, v[12:15], s[6:7] offset:16
	global_store_b128 v31, v[12:15], s[6:7] offset:32
	;; [unrolled: 1-line block ×3, first 2 shown]
	s_and_saveexec_b32 s1, s0
	s_cbranch_execz .LBB7_260
; %bb.253:
	v_dual_mov_b32 v12, 0 :: v_dual_mov_b32 v13, s4
	v_mov_b32_e32 v14, s5
	s_clause 0x1
	global_load_b64 v[15:16], v12, s[2:3] offset:32 glc
	global_load_b64 v[0:1], v12, s[2:3] offset:40
	s_waitcnt vmcnt(0)
	v_readfirstlane_b32 s6, v0
	v_readfirstlane_b32 s7, v1
	s_delay_alu instid0(VALU_DEP_1) | instskip(NEXT) | instid1(SALU_CYCLE_1)
	s_and_b64 s[6:7], s[6:7], s[4:5]
	s_mul_i32 s7, s7, 24
	s_mul_hi_u32 s10, s6, 24
	s_mul_i32 s6, s6, 24
	s_add_i32 s10, s10, s7
	v_add_co_u32 v4, vcc_lo, v6, s6
	v_add_co_ci_u32_e32 v5, vcc_lo, s10, v7, vcc_lo
	s_mov_b32 s6, exec_lo
	global_store_b64 v[4:5], v[15:16], off
	s_waitcnt_vscnt null, 0x0
	global_atomic_cmpswap_b64 v[2:3], v12, v[13:16], s[2:3] offset:32 glc
	s_waitcnt vmcnt(0)
	v_cmpx_ne_u64_e64 v[2:3], v[15:16]
	s_cbranch_execz .LBB7_256
; %bb.254:
	s_mov_b32 s7, 0
.LBB7_255:                              ; =>This Inner Loop Header: Depth=1
	v_dual_mov_b32 v0, s4 :: v_dual_mov_b32 v1, s5
	s_sleep 1
	global_store_b64 v[4:5], v[2:3], off
	s_waitcnt_vscnt null, 0x0
	global_atomic_cmpswap_b64 v[0:1], v12, v[0:3], s[2:3] offset:32 glc
	s_waitcnt vmcnt(0)
	v_cmp_eq_u64_e32 vcc_lo, v[0:1], v[2:3]
	v_dual_mov_b32 v3, v1 :: v_dual_mov_b32 v2, v0
	s_or_b32 s7, vcc_lo, s7
	s_delay_alu instid0(SALU_CYCLE_1)
	s_and_not1_b32 exec_lo, exec_lo, s7
	s_cbranch_execnz .LBB7_255
.LBB7_256:
	s_or_b32 exec_lo, exec_lo, s6
	v_mov_b32_e32 v3, 0
	s_mov_b32 s7, exec_lo
	s_mov_b32 s6, exec_lo
	v_mbcnt_lo_u32_b32 v2, s7, 0
	global_load_b64 v[0:1], v3, s[2:3] offset:16
	v_cmpx_eq_u32_e32 0, v2
	s_cbranch_execz .LBB7_258
; %bb.257:
	s_bcnt1_i32_b32 s7, s7
	s_delay_alu instid0(SALU_CYCLE_1)
	v_mov_b32_e32 v2, s7
	s_waitcnt vmcnt(0)
	global_atomic_add_u64 v[0:1], v[2:3], off offset:8
.LBB7_258:
	s_or_b32 exec_lo, exec_lo, s6
	s_waitcnt vmcnt(0)
	global_load_b64 v[2:3], v[0:1], off offset:16
	s_waitcnt vmcnt(0)
	v_cmp_eq_u64_e32 vcc_lo, 0, v[2:3]
	s_cbranch_vccnz .LBB7_260
; %bb.259:
	global_load_b32 v0, v[0:1], off offset:24
	s_waitcnt vmcnt(0)
	v_dual_mov_b32 v1, 0 :: v_dual_and_b32 v4, 0xffffff, v0
	s_waitcnt_vscnt null, 0x0
	global_store_b64 v[2:3], v[0:1], off
	v_readfirstlane_b32 m0, v4
	s_sendmsg sendmsg(MSG_INTERRUPT)
.LBB7_260:
	s_or_b32 exec_lo, exec_lo, s1
	s_branch .LBB7_264
	.p2align	6
.LBB7_261:                              ;   in Loop: Header=BB7_264 Depth=1
	s_or_b32 exec_lo, exec_lo, s1
	s_delay_alu instid0(VALU_DEP_1) | instskip(NEXT) | instid1(VALU_DEP_1)
	v_readfirstlane_b32 s1, v0
	s_cmp_eq_u32 s1, 0
	s_cbranch_scc1 .LBB7_263
; %bb.262:                              ;   in Loop: Header=BB7_264 Depth=1
	s_sleep 1
	s_cbranch_execnz .LBB7_264
	s_branch .LBB7_266
	.p2align	6
.LBB7_263:
	s_branch .LBB7_266
.LBB7_264:                              ; =>This Inner Loop Header: Depth=1
	v_mov_b32_e32 v0, 1
	s_and_saveexec_b32 s1, s0
	s_cbranch_execz .LBB7_261
; %bb.265:                              ;   in Loop: Header=BB7_264 Depth=1
	global_load_b32 v0, v[10:11], off offset:20 glc
	s_waitcnt vmcnt(0)
	buffer_gl1_inv
	buffer_gl0_inv
	v_and_b32_e32 v0, 1, v0
	s_branch .LBB7_261
.LBB7_266:
	global_load_b64 v[0:1], v[8:9], off
	s_and_saveexec_b32 s1, s0
	s_cbranch_execz .LBB7_270
; %bb.267:
	v_mov_b32_e32 v8, 0
	s_clause 0x2
	global_load_b64 v[4:5], v8, s[2:3] offset:40
	global_load_b64 v[9:10], v8, s[2:3] offset:24 glc
	global_load_b64 v[6:7], v8, s[2:3]
	s_waitcnt vmcnt(2)
	v_add_co_u32 v11, vcc_lo, v4, 1
	v_add_co_ci_u32_e32 v12, vcc_lo, 0, v5, vcc_lo
	s_delay_alu instid0(VALU_DEP_2) | instskip(NEXT) | instid1(VALU_DEP_2)
	v_add_co_u32 v2, vcc_lo, v11, s4
	v_add_co_ci_u32_e32 v3, vcc_lo, s5, v12, vcc_lo
	s_delay_alu instid0(VALU_DEP_1) | instskip(SKIP_1) | instid1(VALU_DEP_1)
	v_cmp_eq_u64_e32 vcc_lo, 0, v[2:3]
	v_dual_cndmask_b32 v3, v3, v12 :: v_dual_cndmask_b32 v2, v2, v11
	v_and_b32_e32 v5, v3, v5
	s_delay_alu instid0(VALU_DEP_2) | instskip(NEXT) | instid1(VALU_DEP_2)
	v_and_b32_e32 v4, v2, v4
	v_mul_lo_u32 v5, v5, 24
	s_delay_alu instid0(VALU_DEP_2) | instskip(SKIP_1) | instid1(VALU_DEP_2)
	v_mul_hi_u32 v11, v4, 24
	v_mul_lo_u32 v4, v4, 24
	v_add_nc_u32_e32 v5, v11, v5
	s_waitcnt vmcnt(0)
	s_delay_alu instid0(VALU_DEP_2) | instskip(SKIP_1) | instid1(VALU_DEP_3)
	v_add_co_u32 v6, vcc_lo, v6, v4
	v_mov_b32_e32 v4, v9
	v_add_co_ci_u32_e32 v7, vcc_lo, v7, v5, vcc_lo
	v_mov_b32_e32 v5, v10
	global_store_b64 v[6:7], v[9:10], off
	s_waitcnt_vscnt null, 0x0
	global_atomic_cmpswap_b64 v[4:5], v8, v[2:5], s[2:3] offset:24 glc
	s_waitcnt vmcnt(0)
	v_cmp_ne_u64_e32 vcc_lo, v[4:5], v[9:10]
	s_and_b32 exec_lo, exec_lo, vcc_lo
	s_cbranch_execz .LBB7_270
; %bb.268:
	s_mov_b32 s0, 0
.LBB7_269:                              ; =>This Inner Loop Header: Depth=1
	s_sleep 1
	global_store_b64 v[6:7], v[4:5], off
	s_waitcnt_vscnt null, 0x0
	global_atomic_cmpswap_b64 v[9:10], v8, v[2:5], s[2:3] offset:24 glc
	s_waitcnt vmcnt(0)
	v_cmp_eq_u64_e32 vcc_lo, v[9:10], v[4:5]
	v_dual_mov_b32 v4, v9 :: v_dual_mov_b32 v5, v10
	s_or_b32 s0, vcc_lo, s0
	s_delay_alu instid0(SALU_CYCLE_1)
	s_and_not1_b32 exec_lo, exec_lo, s0
	s_cbranch_execnz .LBB7_269
.LBB7_270:
	s_or_b32 exec_lo, exec_lo, s1
	s_getpc_b64 s[0:1]
	s_add_u32 s0, s0, __FUNCTION__._ZL18flash_attn_ext_vecILi64ELi1EL9ggml_type3ELS0_3ELb1EEvPKcS2_S2_S2_S2_PKiPfP15HIP_vector_typeIfLj2EEffffjfiS6_IjLj3EEiiiiiiiiiiiliiliiiiil@rel32@lo+4
	s_addc_u32 s1, s1, __FUNCTION__._ZL18flash_attn_ext_vecILi64ELi1EL9ggml_type3ELS0_3ELb1EEvPKcS2_S2_S2_S2_PKiPfP15HIP_vector_typeIfLj2EEffffjfiS6_IjLj3EEiiiiiiiiiiiliiliiiiil@rel32@hi+12
	s_delay_alu instid0(SALU_CYCLE_1) | instskip(SKIP_3) | instid1(SALU_CYCLE_1)
	v_dual_mov_b32 v2, s0 :: v_dual_mov_b32 v3, s1
	s_cmp_lg_u64 s[0:1], 0
	s_mov_b64 s[16:17], s[8:9]
	s_cselect_b32 s4, 19, 0
	v_dual_mov_b32 v5, 0 :: v_dual_mov_b32 v4, s4
	s_getpc_b64 s[2:3]
	s_add_u32 s2, s2, __ockl_printf_append_string_n@rel32@lo+4
	s_addc_u32 s3, s3, __ockl_printf_append_string_n@rel32@hi+12
	s_delay_alu instid0(SALU_CYCLE_1)
	s_swappc_b64 s[30:31], s[2:3]
	v_dual_mov_b32 v2, 0x514 :: v_dual_mov_b32 v3, 0
	v_mov_b32_e32 v4, 1
	s_mov_b64 s[8:9], s[16:17]
	s_getpc_b64 s[0:1]
	s_add_u32 s0, s0, __ockl_printf_append_args@rel32@lo+4
	s_addc_u32 s1, s1, __ockl_printf_append_args@rel32@hi+12
	s_delay_alu instid0(SALU_CYCLE_1)
	s_swappc_b64 s[30:31], s[0:1]
	s_trap 2
	s_sendmsg_rtn_b32 s0, sendmsg(MSG_RTN_GET_DOORBELL)
	s_mov_b32 ttmp2, m0
	s_waitcnt lgkmcnt(0)
	s_and_b32 s0, s0, 0x3ff
	s_delay_alu instid0(SALU_CYCLE_1) | instskip(NEXT) | instid1(SALU_CYCLE_1)
	s_bitset1_b32 s0, 10
	s_mov_b32 m0, s0
	s_sendmsg sendmsg(MSG_INTERRUPT)
	s_mov_b32 m0, ttmp2
.LBB7_271:                              ; =>This Inner Loop Header: Depth=1
	s_sethalt 5
	s_branch .LBB7_271
.Lfunc_end7:
	.size	_ZL14no_device_codePKciS0_iS0_, .Lfunc_end7-_ZL14no_device_codePKciS0_iS0_
                                        ; -- End function
	.section	.AMDGPU.csdata,"",@progbits
; Function info:
; codeLenInByte = 10544
; NumSgprs: 36
; NumVgprs: 37
; ScratchSize: 16
; MemoryBound: 0
	.section	.text._ZL18flash_attn_ext_vecILi64ELi1EL9ggml_type3ELS0_3ELb1EEvPKcS2_S2_S2_S2_PKiPfP15HIP_vector_typeIfLj2EEffffjfiS6_IjLj3EEiiiiiiiiiiiliiliiiiil,"axG",@progbits,_ZL18flash_attn_ext_vecILi64ELi1EL9ggml_type3ELS0_3ELb1EEvPKcS2_S2_S2_S2_PKiPfP15HIP_vector_typeIfLj2EEffffjfiS6_IjLj3EEiiiiiiiiiiiliiliiiiil,comdat
	.globl	_ZL18flash_attn_ext_vecILi64ELi1EL9ggml_type3ELS0_3ELb1EEvPKcS2_S2_S2_S2_PKiPfP15HIP_vector_typeIfLj2EEffffjfiS6_IjLj3EEiiiiiiiiiiiliiliiiiil ; -- Begin function _ZL18flash_attn_ext_vecILi64ELi1EL9ggml_type3ELS0_3ELb1EEvPKcS2_S2_S2_S2_PKiPfP15HIP_vector_typeIfLj2EEffffjfiS6_IjLj3EEiiiiiiiiiiiliiliiiiil
	.p2align	8
	.type	_ZL18flash_attn_ext_vecILi64ELi1EL9ggml_type3ELS0_3ELb1EEvPKcS2_S2_S2_S2_PKiPfP15HIP_vector_typeIfLj2EEffffjfiS6_IjLj3EEiiiiiiiiiiiliiliiiiil,@function
_ZL18flash_attn_ext_vecILi64ELi1EL9ggml_type3ELS0_3ELb1EEvPKcS2_S2_S2_S2_PKiPfP15HIP_vector_typeIfLj2EEffffjfiS6_IjLj3EEiiiiiiiiiiiliiliiiiil: ; @_ZL18flash_attn_ext_vecILi64ELi1EL9ggml_type3ELS0_3ELb1EEvPKcS2_S2_S2_S2_PKiPfP15HIP_vector_typeIfLj2EEffffjfiS6_IjLj3EEiiiiiiiiiiiliiliiiiil
; %bb.0:
	s_add_u32 s8, s0, 0xd0
	s_addc_u32 s9, s1, 0
	s_mov_b32 s32, 0
	s_getpc_b64 s[0:1]
	s_add_u32 s0, s0, _ZL14no_device_codePKciS0_iS0_@rel32@lo+4
	s_addc_u32 s1, s1, _ZL14no_device_codePKciS0_iS0_@rel32@hi+12
	s_delay_alu instid0(SALU_CYCLE_1)
	s_swappc_b64 s[30:31], s[0:1]
	.section	.rodata,"a",@progbits
	.p2align	6, 0x0
	.amdhsa_kernel _ZL18flash_attn_ext_vecILi64ELi1EL9ggml_type3ELS0_3ELb1EEvPKcS2_S2_S2_S2_PKiPfP15HIP_vector_typeIfLj2EEffffjfiS6_IjLj3EEiiiiiiiiiiiliiliiiiil
		.amdhsa_group_segment_fixed_size 0
		.amdhsa_private_segment_fixed_size 16
		.amdhsa_kernarg_size 464
		.amdhsa_user_sgpr_count 15
		.amdhsa_user_sgpr_dispatch_ptr 0
		.amdhsa_user_sgpr_queue_ptr 0
		.amdhsa_user_sgpr_kernarg_segment_ptr 1
		.amdhsa_user_sgpr_dispatch_id 0
		.amdhsa_user_sgpr_private_segment_size 0
		.amdhsa_wavefront_size32 1
		.amdhsa_uses_dynamic_stack 0
		.amdhsa_enable_private_segment 1
		.amdhsa_system_sgpr_workgroup_id_x 1
		.amdhsa_system_sgpr_workgroup_id_y 0
		.amdhsa_system_sgpr_workgroup_id_z 0
		.amdhsa_system_sgpr_workgroup_info 0
		.amdhsa_system_vgpr_workitem_id 0
		.amdhsa_next_free_vgpr 37
		.amdhsa_next_free_sgpr 34
		.amdhsa_reserve_vcc 1
		.amdhsa_float_round_mode_32 0
		.amdhsa_float_round_mode_16_64 0
		.amdhsa_float_denorm_mode_32 3
		.amdhsa_float_denorm_mode_16_64 3
		.amdhsa_dx10_clamp 1
		.amdhsa_ieee_mode 1
		.amdhsa_fp16_overflow 0
		.amdhsa_workgroup_processor_mode 1
		.amdhsa_memory_ordered 1
		.amdhsa_forward_progress 0
		.amdhsa_shared_vgpr_count 0
		.amdhsa_exception_fp_ieee_invalid_op 0
		.amdhsa_exception_fp_denorm_src 0
		.amdhsa_exception_fp_ieee_div_zero 0
		.amdhsa_exception_fp_ieee_overflow 0
		.amdhsa_exception_fp_ieee_underflow 0
		.amdhsa_exception_fp_ieee_inexact 0
		.amdhsa_exception_int_div_zero 0
	.end_amdhsa_kernel
	.section	.text._ZL18flash_attn_ext_vecILi64ELi1EL9ggml_type3ELS0_3ELb1EEvPKcS2_S2_S2_S2_PKiPfP15HIP_vector_typeIfLj2EEffffjfiS6_IjLj3EEiiiiiiiiiiiliiliiiiil,"axG",@progbits,_ZL18flash_attn_ext_vecILi64ELi1EL9ggml_type3ELS0_3ELb1EEvPKcS2_S2_S2_S2_PKiPfP15HIP_vector_typeIfLj2EEffffjfiS6_IjLj3EEiiiiiiiiiiiliiliiiiil,comdat
.Lfunc_end8:
	.size	_ZL18flash_attn_ext_vecILi64ELi1EL9ggml_type3ELS0_3ELb1EEvPKcS2_S2_S2_S2_PKiPfP15HIP_vector_typeIfLj2EEffffjfiS6_IjLj3EEiiiiiiiiiiiliiliiiiil, .Lfunc_end8-_ZL18flash_attn_ext_vecILi64ELi1EL9ggml_type3ELS0_3ELb1EEvPKcS2_S2_S2_S2_PKiPfP15HIP_vector_typeIfLj2EEffffjfiS6_IjLj3EEiiiiiiiiiiiliiliiiiil
                                        ; -- End function
	.section	.AMDGPU.csdata,"",@progbits
; Kernel info:
; codeLenInByte = 44
; NumSgprs: 36
; NumVgprs: 37
; ScratchSize: 16
; MemoryBound: 0
; FloatMode: 240
; IeeeMode: 1
; LDSByteSize: 0 bytes/workgroup (compile time only)
; SGPRBlocks: 4
; VGPRBlocks: 4
; NumSGPRsForWavesPerEU: 36
; NumVGPRsForWavesPerEU: 37
; Occupancy: 16
; WaveLimiterHint : 1
; COMPUTE_PGM_RSRC2:SCRATCH_EN: 1
; COMPUTE_PGM_RSRC2:USER_SGPR: 15
; COMPUTE_PGM_RSRC2:TRAP_HANDLER: 0
; COMPUTE_PGM_RSRC2:TGID_X_EN: 1
; COMPUTE_PGM_RSRC2:TGID_Y_EN: 0
; COMPUTE_PGM_RSRC2:TGID_Z_EN: 0
; COMPUTE_PGM_RSRC2:TIDIG_COMP_CNT: 0
	.section	.text._ZL18flash_attn_ext_vecILi64ELi2EL9ggml_type3ELS0_3ELb0EEvPKcS2_S2_S2_S2_PKiPfP15HIP_vector_typeIfLj2EEffffjfiS6_IjLj3EEiiiiiiiiiiiliiliiiiil,"axG",@progbits,_ZL18flash_attn_ext_vecILi64ELi2EL9ggml_type3ELS0_3ELb0EEvPKcS2_S2_S2_S2_PKiPfP15HIP_vector_typeIfLj2EEffffjfiS6_IjLj3EEiiiiiiiiiiiliiliiiiil,comdat
	.globl	_ZL18flash_attn_ext_vecILi64ELi2EL9ggml_type3ELS0_3ELb0EEvPKcS2_S2_S2_S2_PKiPfP15HIP_vector_typeIfLj2EEffffjfiS6_IjLj3EEiiiiiiiiiiiliiliiiiil ; -- Begin function _ZL18flash_attn_ext_vecILi64ELi2EL9ggml_type3ELS0_3ELb0EEvPKcS2_S2_S2_S2_PKiPfP15HIP_vector_typeIfLj2EEffffjfiS6_IjLj3EEiiiiiiiiiiiliiliiiiil
	.p2align	8
	.type	_ZL18flash_attn_ext_vecILi64ELi2EL9ggml_type3ELS0_3ELb0EEvPKcS2_S2_S2_S2_PKiPfP15HIP_vector_typeIfLj2EEffffjfiS6_IjLj3EEiiiiiiiiiiiliiliiiiil,@function
_ZL18flash_attn_ext_vecILi64ELi2EL9ggml_type3ELS0_3ELb0EEvPKcS2_S2_S2_S2_PKiPfP15HIP_vector_typeIfLj2EEffffjfiS6_IjLj3EEiiiiiiiiiiiliiliiiiil: ; @_ZL18flash_attn_ext_vecILi64ELi2EL9ggml_type3ELS0_3ELb0EEvPKcS2_S2_S2_S2_PKiPfP15HIP_vector_typeIfLj2EEffffjfiS6_IjLj3EEiiiiiiiiiiiliiliiiiil
; %bb.0:
	s_clause 0x2
	s_load_b64 s[34:35], s[2:3], 0x64
	s_load_b64 s[36:37], s[2:3], 0x80
	;; [unrolled: 1-line block ×3, first 2 shown]
	v_mov_b32_e32 v38, 1.0
	s_waitcnt lgkmcnt(0)
	v_cvt_f32_u32_e32 v1, s35
	s_sub_i32 s5, 0, s35
	s_delay_alu instid0(VALU_DEP_1) | instskip(SKIP_2) | instid1(VALU_DEP_1)
	v_rcp_iflag_f32_e32 v1, v1
	s_waitcnt_depctr 0xfff
	v_mul_f32_e32 v1, 0x4f7ffffe, v1
	v_cvt_u32_f32_e32 v1, v1
	s_delay_alu instid0(VALU_DEP_1) | instskip(NEXT) | instid1(VALU_DEP_1)
	v_readfirstlane_b32 s4, v1
	s_mul_i32 s5, s5, s4
	s_delay_alu instid0(SALU_CYCLE_1) | instskip(NEXT) | instid1(SALU_CYCLE_1)
	s_mul_hi_u32 s5, s4, s5
	s_add_i32 s4, s4, s5
	s_delay_alu instid0(SALU_CYCLE_1) | instskip(NEXT) | instid1(SALU_CYCLE_1)
	s_mul_hi_u32 s4, s15, s4
	s_mul_i32 s5, s4, s35
	s_add_i32 s6, s4, 1
	s_sub_i32 s5, s15, s5
	s_delay_alu instid0(SALU_CYCLE_1)
	s_sub_i32 s7, s5, s35
	s_cmp_ge_u32 s5, s35
	s_cselect_b32 s4, s6, s4
	s_cselect_b32 s5, s7, s5
	s_add_i32 s6, s4, 1
	s_cmp_ge_u32 s5, s35
	s_cselect_b32 s33, s6, s4
	s_abs_i32 s4, s37
	s_abs_i32 s8, s35
	v_cvt_f32_u32_e32 v1, s4
	s_sub_i32 s6, 0, s4
	s_xor_b32 s7, s35, s37
	s_delay_alu instid0(SALU_CYCLE_1) | instskip(NEXT) | instid1(VALU_DEP_1)
	s_ashr_i32 s7, s7, 31
	v_rcp_iflag_f32_e32 v1, v1
	s_waitcnt_depctr 0xfff
	v_mul_f32_e32 v1, 0x4f7ffffe, v1
	s_delay_alu instid0(VALU_DEP_1) | instskip(NEXT) | instid1(VALU_DEP_1)
	v_cvt_u32_f32_e32 v1, v1
	v_readfirstlane_b32 s5, v1
	s_delay_alu instid0(VALU_DEP_1) | instskip(NEXT) | instid1(SALU_CYCLE_1)
	s_mul_i32 s6, s6, s5
	s_mul_hi_u32 s6, s5, s6
	s_delay_alu instid0(SALU_CYCLE_1) | instskip(SKIP_4) | instid1(SALU_CYCLE_1)
	s_add_i32 s5, s5, s6
	s_mul_i32 s6, s33, s35
	s_mul_hi_u32 s5, s8, s5
	s_sub_i32 s12, s15, s6
	s_mul_i32 s9, s5, s4
	s_sub_i32 s6, s8, s9
	s_add_i32 s8, s5, 1
	s_sub_i32 s9, s6, s4
	s_cmp_ge_u32 s6, s4
	s_cselect_b32 s5, s8, s5
	s_cselect_b32 s6, s9, s6
	s_add_i32 s8, s5, 1
	s_cmp_ge_u32 s6, s4
	s_cselect_b32 s4, s8, s5
	s_abs_i32 s38, s38
	s_xor_b32 s4, s4, s7
	v_cvt_f32_u32_e32 v1, s38
	s_sub_i32 s41, s4, s7
	s_clause 0x1
	s_load_b128 s[8:11], s[2:3], 0x40
	s_load_b32 s4, s[2:3], 0x50
	s_abs_i32 s40, s41
	v_rcp_iflag_f32_e32 v1, v1
	v_cvt_f32_u32_e32 v2, s40
	s_delay_alu instid0(VALU_DEP_1) | instskip(SKIP_2) | instid1(VALU_DEP_1)
	v_rcp_iflag_f32_e32 v2, v2
	s_waitcnt_depctr 0xfff
	v_mul_f32_e32 v1, 0x4f7ffffe, v1
	v_cvt_u32_f32_e32 v1, v1
	v_mul_f32_e32 v2, 0x4f7ffffe, v2
	s_waitcnt lgkmcnt(0)
	v_cmp_le_f32_e64 s5, s9, 0
	s_delay_alu instid0(VALU_DEP_3) | instskip(NEXT) | instid1(VALU_DEP_3)
	v_readfirstlane_b32 s9, v1
	v_cvt_u32_f32_e32 v2, v2
	s_delay_alu instid0(VALU_DEP_3) | instskip(NEXT) | instid1(VALU_DEP_1)
	s_and_b32 vcc_lo, exec_lo, s5
	v_readfirstlane_b32 s42, v2
	s_cbranch_vccnz .LBB9_2
; %bb.1:
	s_sub_i32 s5, s12, s4
	s_add_i32 s6, s12, 1
	s_lshl_b32 s5, s5, 1
	v_mov_b32_e32 v1, s10
	s_or_b32 s5, s5, 1
	s_cmp_lt_u32 s12, s4
	s_cselect_b32 vcc_lo, -1, 0
	s_delay_alu instid0(VALU_DEP_1)
	v_cndmask_b32_e32 v3, s11, v1, vcc_lo
	s_and_b32 s4, vcc_lo, exec_lo
	s_cselect_b32 s4, s6, s5
	s_mov_b32 s5, 0x3e76c4e1
	v_cvt_f32_i32_e32 v1, s4
	v_cmp_neq_f32_e32 vcc_lo, 1.0, v3
	s_delay_alu instid0(VALU_DEP_2) | instskip(NEXT) | instid1(VALU_DEP_1)
	v_cndmask_b32_e32 v4, 1.0, v1, vcc_lo
	v_cmp_eq_f32_e32 vcc_lo, 0, v4
	v_cndmask_b32_e64 v5, |v3|, 1.0, vcc_lo
	s_delay_alu instid0(VALU_DEP_1) | instskip(NEXT) | instid1(VALU_DEP_1)
	v_frexp_mant_f32_e32 v1, v5
	v_cmp_gt_f32_e64 s4, 0x3f2aaaab, v1
	s_delay_alu instid0(VALU_DEP_1) | instskip(NEXT) | instid1(VALU_DEP_1)
	v_cndmask_b32_e64 v2, 1.0, 2.0, s4
	v_mul_f32_e32 v1, v1, v2
	s_delay_alu instid0(VALU_DEP_1) | instskip(SKIP_1) | instid1(VALU_DEP_2)
	v_add_f32_e32 v2, 1.0, v1
	v_add_f32_e32 v7, -1.0, v1
	v_rcp_f32_e32 v6, v2
	s_waitcnt_depctr 0xfff
	v_mul_f32_e32 v8, v7, v6
	s_delay_alu instid0(VALU_DEP_1) | instskip(NEXT) | instid1(VALU_DEP_1)
	v_dual_add_f32 v9, -1.0, v2 :: v_dual_mul_f32 v10, v2, v8
	v_sub_f32_e32 v1, v1, v9
	v_cndmask_b32_e64 v3, v3, 1.0, vcc_lo
	s_delay_alu instid0(VALU_DEP_3) | instskip(NEXT) | instid1(VALU_DEP_2)
	v_fma_f32 v2, v8, v2, -v10
	v_cmp_eq_f32_e64 s6, 0, v3
	s_delay_alu instid0(VALU_DEP_2) | instskip(NEXT) | instid1(VALU_DEP_1)
	v_fmac_f32_e32 v2, v8, v1
	v_add_f32_e32 v1, v10, v2
	s_delay_alu instid0(VALU_DEP_1) | instskip(NEXT) | instid1(VALU_DEP_1)
	v_dual_sub_f32 v10, v1, v10 :: v_dual_sub_f32 v9, v7, v1
	v_dual_sub_f32 v2, v10, v2 :: v_dual_sub_f32 v7, v7, v9
	s_delay_alu instid0(VALU_DEP_1) | instskip(NEXT) | instid1(VALU_DEP_1)
	v_sub_f32_e32 v1, v7, v1
	v_add_f32_e32 v1, v2, v1
	s_delay_alu instid0(VALU_DEP_1) | instskip(NEXT) | instid1(VALU_DEP_1)
	v_add_f32_e32 v1, v9, v1
	v_mul_f32_e32 v1, v6, v1
	s_delay_alu instid0(VALU_DEP_1) | instskip(NEXT) | instid1(VALU_DEP_1)
	v_add_f32_e32 v6, v8, v1
	v_sub_f32_e32 v2, v6, v8
	v_mul_f32_e32 v7, v6, v6
	s_delay_alu instid0(VALU_DEP_2) | instskip(NEXT) | instid1(VALU_DEP_2)
	v_sub_f32_e32 v8, v1, v2
	v_fma_f32 v9, v6, v6, -v7
	s_delay_alu instid0(VALU_DEP_2) | instskip(NEXT) | instid1(VALU_DEP_1)
	v_add_f32_e32 v1, v8, v8
	v_fmac_f32_e32 v9, v6, v1
	v_cvt_f64_f32_e32 v[1:2], v5
	s_delay_alu instid0(VALU_DEP_2) | instskip(NEXT) | instid1(VALU_DEP_1)
	v_add_f32_e32 v10, v7, v9
	v_fmaak_f32 v11, s5, v10, 0x3e91f4c4
	v_sub_f32_e32 v7, v10, v7
	v_mul_f32_e32 v14, v6, v10
	s_delay_alu instid0(VALU_DEP_3) | instskip(NEXT) | instid1(VALU_DEP_3)
	v_fmaak_f32 v11, v10, v11, 0x3ecccdef
	v_sub_f32_e32 v7, v9, v7
	s_delay_alu instid0(VALU_DEP_2) | instskip(NEXT) | instid1(VALU_DEP_1)
	v_mul_f32_e32 v12, v10, v11
	v_fma_f32 v9, v10, v11, -v12
	s_delay_alu instid0(VALU_DEP_1) | instskip(NEXT) | instid1(VALU_DEP_1)
	v_fmac_f32_e32 v9, v7, v11
	v_add_f32_e32 v11, v12, v9
	v_frexp_exp_i32_f64_e32 v1, v[1:2]
	s_delay_alu instid0(VALU_DEP_2) | instskip(NEXT) | instid1(VALU_DEP_1)
	v_sub_f32_e32 v12, v11, v12
	v_sub_f32_e32 v2, v9, v12
	v_fma_f32 v12, v10, v6, -v14
	s_delay_alu instid0(VALU_DEP_2) | instskip(NEXT) | instid1(VALU_DEP_2)
	v_add_f32_e32 v2, 0x31739010, v2
	v_dual_add_f32 v13, 0x3f2aaaaa, v11 :: v_dual_fmac_f32 v12, v10, v8
	v_ldexp_f32 v8, v8, 1
	s_delay_alu instid0(VALU_DEP_2) | instskip(NEXT) | instid1(VALU_DEP_1)
	v_dual_add_f32 v9, 0xbf2aaaaa, v13 :: v_dual_fmac_f32 v12, v7, v6
	v_sub_f32_e32 v9, v11, v9
	s_delay_alu instid0(VALU_DEP_1) | instskip(NEXT) | instid1(VALU_DEP_3)
	v_add_f32_e32 v2, v2, v9
	v_add_f32_e32 v9, v14, v12
	s_delay_alu instid0(VALU_DEP_2) | instskip(NEXT) | instid1(VALU_DEP_1)
	v_add_f32_e32 v7, v13, v2
	v_sub_f32_e32 v10, v13, v7
	s_delay_alu instid0(VALU_DEP_3) | instskip(SKIP_2) | instid1(VALU_DEP_4)
	v_mul_f32_e32 v11, v9, v7
	v_sub_f32_e32 v13, v9, v14
	v_subrev_co_ci_u32_e64 v1, s4, 0, v1, s4
	v_add_f32_e32 v2, v2, v10
	s_delay_alu instid0(VALU_DEP_4) | instskip(NEXT) | instid1(VALU_DEP_4)
	v_fma_f32 v10, v9, v7, -v11
	v_sub_f32_e32 v12, v12, v13
	s_delay_alu instid0(VALU_DEP_4) | instskip(NEXT) | instid1(VALU_DEP_3)
	v_cvt_f32_i32_e32 v1, v1
	v_fmac_f32_e32 v10, v9, v2
	v_ldexp_f32 v2, v6, 1
	s_delay_alu instid0(VALU_DEP_2) | instskip(NEXT) | instid1(VALU_DEP_1)
	v_fmac_f32_e32 v10, v12, v7
	v_add_f32_e32 v6, v11, v10
	s_delay_alu instid0(VALU_DEP_1) | instskip(NEXT) | instid1(VALU_DEP_1)
	v_add_f32_e32 v7, v2, v6
	v_dual_sub_f32 v2, v7, v2 :: v_dual_sub_f32 v9, v6, v11
	s_delay_alu instid0(VALU_DEP_1) | instskip(NEXT) | instid1(VALU_DEP_2)
	v_sub_f32_e32 v2, v6, v2
	v_sub_f32_e32 v9, v10, v9
	s_delay_alu instid0(VALU_DEP_1) | instskip(NEXT) | instid1(VALU_DEP_1)
	v_add_f32_e32 v6, v8, v9
	v_dual_mul_f32 v11, 0x3f317218, v1 :: v_dual_add_f32 v2, v6, v2
	s_delay_alu instid0(VALU_DEP_1) | instskip(NEXT) | instid1(VALU_DEP_2)
	v_fma_f32 v10, 0x3f317218, v1, -v11
	v_add_f32_e32 v8, v7, v2
	s_delay_alu instid0(VALU_DEP_1) | instskip(NEXT) | instid1(VALU_DEP_1)
	v_sub_f32_e32 v7, v8, v7
	v_dual_fmamk_f32 v1, v1, 0xb102e308, v10 :: v_dual_sub_f32 v2, v2, v7
	s_delay_alu instid0(VALU_DEP_1) | instskip(NEXT) | instid1(VALU_DEP_1)
	v_add_f32_e32 v6, v11, v1
	v_add_f32_e32 v9, v6, v8
	s_delay_alu instid0(VALU_DEP_1) | instskip(NEXT) | instid1(VALU_DEP_1)
	v_dual_sub_f32 v11, v6, v11 :: v_dual_sub_f32 v10, v9, v6
	v_sub_f32_e32 v12, v9, v10
	s_delay_alu instid0(VALU_DEP_2) | instskip(NEXT) | instid1(VALU_DEP_2)
	v_sub_f32_e32 v1, v1, v11
	v_dual_sub_f32 v7, v8, v10 :: v_dual_sub_f32 v6, v6, v12
	s_delay_alu instid0(VALU_DEP_2) | instskip(NEXT) | instid1(VALU_DEP_2)
	v_add_f32_e32 v8, v1, v2
	v_add_f32_e32 v6, v7, v6
	s_delay_alu instid0(VALU_DEP_1) | instskip(NEXT) | instid1(VALU_DEP_1)
	v_add_f32_e32 v6, v8, v6
	v_dual_sub_f32 v7, v8, v1 :: v_dual_add_f32 v10, v9, v6
	s_delay_alu instid0(VALU_DEP_1) | instskip(SKIP_1) | instid1(VALU_DEP_3)
	v_sub_f32_e32 v8, v8, v7
	v_sub_f32_e32 v2, v2, v7
	;; [unrolled: 1-line block ×3, first 2 shown]
	s_delay_alu instid0(VALU_DEP_3) | instskip(NEXT) | instid1(VALU_DEP_1)
	v_sub_f32_e32 v1, v1, v8
	v_add_f32_e32 v1, v2, v1
	s_delay_alu instid0(VALU_DEP_3) | instskip(NEXT) | instid1(VALU_DEP_1)
	v_sub_f32_e32 v2, v6, v7
	v_add_f32_e32 v1, v1, v2
	s_delay_alu instid0(VALU_DEP_1) | instskip(NEXT) | instid1(VALU_DEP_1)
	v_add_f32_e32 v2, v10, v1
	v_mul_f32_e32 v7, v4, v2
	v_sub_f32_e32 v6, v2, v10
	s_delay_alu instid0(VALU_DEP_2) | instskip(NEXT) | instid1(VALU_DEP_2)
	v_fma_f32 v2, v4, v2, -v7
	v_sub_f32_e32 v1, v1, v6
	v_cmp_class_f32_e64 s4, v7, 0x204
	s_delay_alu instid0(VALU_DEP_2) | instskip(NEXT) | instid1(VALU_DEP_1)
	v_fmac_f32_e32 v2, v4, v1
	v_add_f32_e32 v1, v7, v2
	s_delay_alu instid0(VALU_DEP_1) | instskip(NEXT) | instid1(VALU_DEP_1)
	v_cndmask_b32_e64 v6, v1, v7, s4
	v_cmp_eq_f32_e64 s4, 0x42b17218, v6
	s_delay_alu instid0(VALU_DEP_1) | instskip(SKIP_1) | instid1(VALU_DEP_2)
	v_cndmask_b32_e64 v8, 0, 0x37000000, s4
	v_cmp_neq_f32_e64 s4, 0x7f800000, |v6|
	v_sub_f32_e32 v9, v6, v8
	v_trunc_f32_e32 v6, v4
	s_delay_alu instid0(VALU_DEP_2) | instskip(NEXT) | instid1(VALU_DEP_1)
	v_mul_f32_e32 v10, 0x3fb8aa3b, v9
	v_fma_f32 v11, 0x3fb8aa3b, v9, -v10
	v_rndne_f32_e32 v12, v10
	s_delay_alu instid0(VALU_DEP_1) | instskip(NEXT) | instid1(VALU_DEP_1)
	v_dual_fmamk_f32 v11, v9, 0x32a5705f, v11 :: v_dual_sub_f32 v10, v10, v12
	v_add_f32_e32 v10, v10, v11
	v_sub_f32_e32 v1, v1, v7
	v_cvt_i32_f32_e32 v7, v12
	s_delay_alu instid0(VALU_DEP_3) | instskip(NEXT) | instid1(VALU_DEP_2)
	v_exp_f32_e32 v10, v10
	v_sub_f32_e32 v1, v2, v1
	s_delay_alu instid0(VALU_DEP_1)
	v_cndmask_b32_e64 v1, 0, v1, s4
	v_cmp_ngt_f32_e64 s4, 0xc2ce8ed0, v9
	s_waitcnt_depctr 0xfff
	v_ldexp_f32 v2, v10, v7
	v_mul_f32_e32 v7, 0.5, v4
	v_add_f32_e32 v1, v8, v1
	s_delay_alu instid0(VALU_DEP_3) | instskip(NEXT) | instid1(VALU_DEP_3)
	v_cndmask_b32_e64 v2, 0, v2, s4
	v_trunc_f32_e32 v10, v7
	v_cmp_nlt_f32_e64 s4, 0x42b17218, v9
	s_delay_alu instid0(VALU_DEP_2) | instskip(NEXT) | instid1(VALU_DEP_2)
	v_cmp_neq_f32_e64 s5, v10, v7
	v_cndmask_b32_e64 v2, 0x7f800000, v2, s4
	v_cmp_eq_f32_e64 s4, v6, v4
	s_delay_alu instid0(VALU_DEP_2) | instskip(NEXT) | instid1(VALU_DEP_2)
	v_fma_f32 v1, v2, v1, v2
	s_and_b32 vcc_lo, s4, s5
	v_cmp_class_f32_e64 s5, v2, 0x204
	v_cndmask_b32_e32 v6, 1.0, v3, vcc_lo
	s_delay_alu instid0(VALU_DEP_2) | instskip(SKIP_1) | instid1(VALU_DEP_2)
	v_cndmask_b32_e64 v1, v1, v2, s5
	v_cmp_gt_f32_e64 s5, 0, v4
	v_bfi_b32 v1, 0x7fffffff, v1, v6
	s_delay_alu instid0(VALU_DEP_2)
	s_xor_b32 s5, s5, s6
	v_cndmask_b32_e32 v6, 0, v3, vcc_lo
	v_cndmask_b32_e64 v2, 0x7f800000, 0, s5
	v_cmp_eq_f32_e32 vcc_lo, 0x7f800000, v5
	v_cndmask_b32_e64 v4, 0x7fc00000, v1, s4
	v_cmp_gt_f32_e64 s4, 0, v3
	s_delay_alu instid0(VALU_DEP_4) | instskip(SKIP_1) | instid1(VALU_DEP_2)
	v_bfi_b32 v2, 0x7fffffff, v2, v6
	s_or_b32 vcc_lo, vcc_lo, s6
	v_cndmask_b32_e64 v1, v1, v4, s4
	s_delay_alu instid0(VALU_DEP_1) | instskip(SKIP_1) | instid1(VALU_DEP_2)
	v_cndmask_b32_e32 v1, v1, v2, vcc_lo
	v_cmp_o_f32_e32 vcc_lo, v3, v3
	v_cndmask_b32_e32 v38, 0x7fc00000, v1, vcc_lo
.LBB9_2:
	s_load_b64 s[0:1], s[0:1], 0x4
	v_bfe_u32 v33, v0, 10, 10
	v_and_b32_e32 v32, 0x3ff, v0
	s_load_b512 s[16:31], s[2:3], 0x0
	v_bfe_u32 v0, v0, 20, 10
	s_lshl_b32 s15, s13, 1
	s_mov_b32 s6, exec_lo
	s_waitcnt lgkmcnt(0)
	v_mul_u32_u24_e32 v1, s1, v33
	s_lshr_b32 s0, s0, 16
	s_delay_alu instid0(SALU_CYCLE_1)
	s_mul_i32 s0, s0, s1
	s_delay_alu instid0(VALU_DEP_1) | instid1(SALU_CYCLE_1)
	v_mad_u32_u24 v1, s0, v32, v1
	v_cmp_lt_u32_e64 s0, 1, v33
	s_delay_alu instid0(VALU_DEP_2) | instskip(NEXT) | instid1(VALU_DEP_1)
	v_add_lshl_u32 v8, v1, v0, 4
	v_dual_mov_b32 v4, 0 :: v_dual_add_nc_u32 v1, 0x400, v8
	v_add_nc_u32_e32 v0, 0x604, v8
	ds_store_2addr_b32 v0, v4, v4 offset1:1
	ds_store_2addr_b32 v1, v4, v4 offset0:128 offset1:131
	v_cmpx_gt_u32_e32 2, v33
	s_cbranch_execz .LBB9_23
; %bb.3:
	v_or_b32_e32 v0, s15, v33
	v_lshlrev_b32_e32 v2, 7, v33
	s_mov_b32 s1, exec_lo
	s_delay_alu instid0(VALU_DEP_2)
	v_cmpx_le_i32_e64 s34, v0
	s_xor_b32 s1, exec_lo, s1
	s_cbranch_execz .LBB9_9
; %bb.4:
	s_mov_b32 s4, exec_lo
	v_cmpx_gt_u32_e32 16, v32
	s_cbranch_execz .LBB9_6
; %bb.5:
	v_lshl_add_u32 v0, v32, 2, v2
	v_mov_b32_e32 v1, 0
	ds_store_b32 v0, v1
.LBB9_6:
	s_or_b32 exec_lo, exec_lo, s4
	s_delay_alu instid0(SALU_CYCLE_1)
	s_mov_b32 s4, exec_lo
	v_cmpx_gt_u32_e32 2, v32
	s_cbranch_execz .LBB9_8
; %bb.7:
	v_mov_b32_e32 v0, 0
	v_lshl_add_u32 v2, v32, 3, v2
	s_delay_alu instid0(VALU_DEP_2)
	v_mov_b32_e32 v1, v0
	ds_store_b64 v2, v[0:1] offset:64
.LBB9_8:
	s_or_b32 exec_lo, exec_lo, s4
                                        ; implicit-def: $vgpr2
.LBB9_9:
	s_and_not1_saveexec_b32 s1, s1
	s_cbranch_execz .LBB9_23
; %bb.10:
	s_load_b128 s[44:47], s[2:3], 0x70
	v_lshlrev_b32_e32 v1, 4, v32
	v_cmp_gt_u32_e32 vcc_lo, 16, v32
	v_mov_b32_e32 v5, 0
	s_waitcnt lgkmcnt(0)
	v_mul_lo_u32 v0, v33, s44
	s_mul_i32 s1, s33, s46
	s_mul_i32 s4, s15, s44
	;; [unrolled: 1-line block ×3, first 2 shown]
	s_add_i32 s1, s1, s4
	s_delay_alu instid0(SALU_CYCLE_1) | instskip(NEXT) | instid1(SALU_CYCLE_1)
	s_add_i32 s1, s1, s5
	s_ashr_i32 s4, s1, 31
	s_delay_alu instid0(VALU_DEP_1) | instskip(SKIP_3) | instid1(VALU_DEP_1)
	v_ashrrev_i32_e32 v3, 31, v0
	s_add_u32 s1, s16, s1
	s_addc_u32 s4, s17, s4
	v_add_co_u32 v0, s1, s1, v0
	v_add_co_ci_u32_e64 v3, s1, s4, v3, s1
	s_delay_alu instid0(VALU_DEP_2) | instskip(NEXT) | instid1(VALU_DEP_1)
	v_add_co_u32 v0, s1, v0, v1
	v_add_co_ci_u32_e64 v1, s1, 0, v3, s1
	v_mov_b32_e32 v3, 0
	s_and_saveexec_b32 s1, vcc_lo
	s_cbranch_execz .LBB9_12
; %bb.11:
	global_load_b32 v3, v[0:1], off
	s_waitcnt vmcnt(0)
	v_mul_f32_e32 v3, s8, v3
.LBB9_12:
	s_or_b32 exec_lo, exec_lo, s1
	s_and_saveexec_b32 s1, vcc_lo
	s_cbranch_execz .LBB9_14
; %bb.13:
	global_load_b32 v5, v[0:1], off offset:4
	s_waitcnt vmcnt(0)
	v_mul_f32_e32 v5, s8, v5
.LBB9_14:
	s_or_b32 exec_lo, exec_lo, s1
	v_dual_mov_b32 v6, 0 :: v_dual_mov_b32 v7, 0
	s_and_saveexec_b32 s1, vcc_lo
	s_cbranch_execz .LBB9_16
; %bb.15:
	global_load_b32 v7, v[0:1], off offset:8
	s_waitcnt vmcnt(0)
	v_mul_f32_e32 v7, s8, v7
.LBB9_16:
	s_or_b32 exec_lo, exec_lo, s1
	s_and_saveexec_b32 s1, vcc_lo
	s_cbranch_execz .LBB9_18
; %bb.17:
	global_load_b32 v0, v[0:1], off offset:12
	s_waitcnt vmcnt(0)
	v_mul_f32_e32 v6, s8, v0
.LBB9_18:
	s_or_b32 exec_lo, exec_lo, s1
	v_mbcnt_lo_u32_b32 v0, -1, 0
	v_max_f32_e64 v1, |v5|, |v5|
	v_max_f32_e64 v9, |v3|, |v3|
	s_mov_b32 s7, exec_lo
	s_delay_alu instid0(VALU_DEP_3) | instskip(SKIP_1) | instid1(VALU_DEP_3)
	v_xor_b32_e32 v10, 4, v0
	v_xor_b32_e32 v11, 2, v0
	v_max_f32_e32 v1, v9, v1
	v_xor_b32_e32 v12, 1, v0
	s_delay_alu instid0(VALU_DEP_4) | instskip(NEXT) | instid1(VALU_DEP_3)
	v_cmp_gt_i32_e32 vcc_lo, 32, v10
	v_max3_f32 v1, v1, |v7|, |v6|
	v_cndmask_b32_e32 v9, v0, v10, vcc_lo
	v_cmp_gt_i32_e32 vcc_lo, 32, v11
	v_cndmask_b32_e32 v11, v0, v11, vcc_lo
	v_cmp_gt_i32_e32 vcc_lo, 32, v12
	v_cndmask_b32_e32 v0, v0, v12, vcc_lo
	v_add_f32_e32 v12, v3, v5
	s_delay_alu instid0(VALU_DEP_2) | instskip(NEXT) | instid1(VALU_DEP_2)
	v_lshlrev_b32_e32 v0, 2, v0
	v_dual_add_f32 v12, v12, v7 :: v_dual_lshlrev_b32 v9, 2, v9
	v_lshlrev_b32_e32 v11, 2, v11
	ds_bpermute_b32 v10, v9, v1
	v_add_f32_e32 v12, v12, v6
	s_waitcnt lgkmcnt(0)
	v_max_f32_e32 v10, v10, v10
	s_delay_alu instid0(VALU_DEP_1)
	v_max_f32_e32 v1, v1, v10
	ds_bpermute_b32 v10, v11, v1
	s_waitcnt lgkmcnt(0)
	v_max_f32_e32 v10, v10, v10
	ds_bpermute_b32 v9, v9, v12
	v_max_f32_e32 v1, v1, v10
	ds_bpermute_b32 v10, v0, v1
	s_waitcnt lgkmcnt(0)
	v_max_f32_e32 v10, v10, v10
	s_delay_alu instid0(VALU_DEP_1) | instskip(NEXT) | instid1(VALU_DEP_1)
	v_dual_max_f32 v10, v1, v10 :: v_dual_add_f32 v1, v12, v9
	v_div_scale_f32 v13, null, 0x42fe0000, 0x42fe0000, v10
	ds_bpermute_b32 v11, v11, v1
	v_div_scale_f32 v12, vcc_lo, v10, 0x42fe0000, v10
	v_rcp_f32_e32 v14, v13
	s_waitcnt_depctr 0xfff
	v_fma_f32 v9, -v13, v14, 1.0
	s_delay_alu instid0(VALU_DEP_1) | instskip(SKIP_2) | instid1(VALU_DEP_2)
	v_fmac_f32_e32 v14, v9, v14
	s_waitcnt lgkmcnt(0)
	v_add_f32_e32 v1, v1, v11
	v_mul_f32_e32 v15, v12, v14
	s_delay_alu instid0(VALU_DEP_1) | instskip(NEXT) | instid1(VALU_DEP_1)
	v_fma_f32 v9, -v13, v15, v12
	v_fmac_f32_e32 v15, v9, v14
	ds_bpermute_b32 v9, v0, v1
	v_fma_f32 v11, -v13, v15, v12
	s_delay_alu instid0(VALU_DEP_1) | instskip(NEXT) | instid1(VALU_DEP_1)
	v_div_fmas_f32 v0, v11, v14, v15
	v_div_fixup_f32 v0, v0, 0x42fe0000, v10
	v_mov_b32_e32 v10, 0
	s_delay_alu instid0(VALU_DEP_2)
	v_cmpx_neq_f32_e32 0, v0
	s_cbranch_execz .LBB9_20
; %bb.19:
	v_div_scale_f32 v10, null, v0, v0, v3
	v_div_scale_f32 v11, null, v0, v0, v5
	;; [unrolled: 1-line block ×3, first 2 shown]
	s_delay_alu instid0(VALU_DEP_3) | instskip(SKIP_1) | instid1(VALU_DEP_3)
	v_rcp_f32_e32 v12, v10
	v_div_scale_f32 v14, null, v0, v0, v6
	v_rcp_f32_e32 v15, v11
	s_delay_alu instid0(VALU_DEP_2) | instskip(SKIP_1) | instid1(VALU_DEP_2)
	v_rcp_f32_e32 v16, v13
	v_div_scale_f32 v20, vcc_lo, v3, v0, v3
	v_rcp_f32_e32 v17, v14
	v_fma_f32 v18, -v10, v12, 1.0
	s_delay_alu instid0(TRANS32_DEP_3)
	v_fma_f32 v19, -v11, v15, 1.0
	s_waitcnt_depctr 0xfff
	v_fma_f32 v21, -v13, v16, 1.0
	v_fmac_f32_e32 v12, v18, v12
	v_div_scale_f32 v18, s1, v5, v0, v5
	v_fmac_f32_e32 v15, v19, v15
	v_fma_f32 v22, -v14, v17, 1.0
	v_fmac_f32_e32 v16, v21, v16
	v_div_scale_f32 v19, s4, v7, v0, v7
	s_delay_alu instid0(VALU_DEP_4) | instskip(NEXT) | instid1(VALU_DEP_4)
	v_mul_f32_e32 v23, v18, v15
	v_dual_fmac_f32 v17, v22, v17 :: v_dual_mul_f32 v22, v20, v12
	v_div_scale_f32 v21, s5, v6, v0, v6
	s_delay_alu instid0(VALU_DEP_4) | instskip(NEXT) | instid1(VALU_DEP_4)
	v_mul_f32_e32 v24, v19, v16
	v_fma_f32 v27, -v11, v23, v18
	s_delay_alu instid0(VALU_DEP_4) | instskip(NEXT) | instid1(VALU_DEP_4)
	v_fma_f32 v26, -v10, v22, v20
	v_mul_f32_e32 v25, v21, v17
	s_delay_alu instid0(VALU_DEP_4) | instskip(NEXT) | instid1(VALU_DEP_3)
	v_fma_f32 v28, -v13, v24, v19
	v_dual_fmac_f32 v23, v27, v15 :: v_dual_fmac_f32 v22, v26, v12
	s_delay_alu instid0(VALU_DEP_3) | instskip(NEXT) | instid1(VALU_DEP_3)
	v_fma_f32 v29, -v14, v25, v21
	v_fmac_f32_e32 v24, v28, v16
	s_delay_alu instid0(VALU_DEP_3) | instskip(NEXT) | instid1(VALU_DEP_4)
	v_fma_f32 v11, -v11, v23, v18
	v_fma_f32 v10, -v10, v22, v20
	s_delay_alu instid0(VALU_DEP_4) | instskip(NEXT) | instid1(VALU_DEP_4)
	v_fmac_f32_e32 v25, v29, v17
	v_fma_f32 v13, -v13, v24, v19
	s_delay_alu instid0(VALU_DEP_3) | instskip(SKIP_3) | instid1(VALU_DEP_2)
	v_div_fmas_f32 v10, v10, v12, v22
	s_mov_b32 vcc_lo, s1
	v_div_fmas_f32 v11, v11, v15, v23
	s_mov_b32 vcc_lo, s4
	v_div_fixup_f32 v3, v10, v0, v3
	v_div_fmas_f32 v12, v13, v16, v24
	v_fma_f32 v13, -v14, v25, v21
	s_mov_b32 vcc_lo, s5
	v_div_fixup_f32 v5, v11, v0, v5
	v_trunc_f32_e32 v15, v3
	v_div_fixup_f32 v7, v12, v0, v7
	v_div_fmas_f32 v12, v13, v17, v25
	s_delay_alu instid0(VALU_DEP_2) | instskip(NEXT) | instid1(VALU_DEP_2)
	v_trunc_f32_e32 v11, v7
	v_div_fixup_f32 v6, v12, v0, v6
	v_trunc_f32_e32 v12, v5
	s_delay_alu instid0(VALU_DEP_3) | instskip(NEXT) | instid1(VALU_DEP_3)
	v_sub_f32_e32 v13, v7, v11
	v_trunc_f32_e32 v10, v6
	s_delay_alu instid0(VALU_DEP_3) | instskip(NEXT) | instid1(VALU_DEP_3)
	v_sub_f32_e32 v14, v5, v12
	v_cmp_ge_f32_e64 s1, |v13|, 0.5
	s_delay_alu instid0(VALU_DEP_3) | instskip(NEXT) | instid1(VALU_DEP_2)
	v_sub_f32_e32 v16, v6, v10
	v_cndmask_b32_e64 v13, 0, 1.0, s1
	s_delay_alu instid0(VALU_DEP_4) | instskip(NEXT) | instid1(VALU_DEP_2)
	v_cmp_ge_f32_e64 s1, |v14|, 0.5
	v_bfi_b32 v7, 0x7fffffff, v13, v7
	v_sub_f32_e32 v13, v3, v15
	s_delay_alu instid0(VALU_DEP_3) | instskip(SKIP_1) | instid1(VALU_DEP_2)
	v_cndmask_b32_e64 v14, 0, 1.0, s1
	v_cmp_ge_f32_e64 s1, |v16|, 0.5
	v_bfi_b32 v5, 0x7fffffff, v14, v5
	s_delay_alu instid0(VALU_DEP_2) | instskip(SKIP_1) | instid1(VALU_DEP_3)
	v_cndmask_b32_e64 v16, 0, 1.0, s1
	v_cmp_ge_f32_e64 s1, |v13|, 0.5
	v_add_f32_e32 v5, v12, v5
	s_delay_alu instid0(VALU_DEP_3) | instskip(SKIP_1) | instid1(VALU_DEP_4)
	v_bfi_b32 v6, 0x7fffffff, v16, v6
	v_add_f32_e32 v7, v11, v7
	v_cndmask_b32_e64 v11, 0, 1.0, s1
	s_delay_alu instid0(VALU_DEP_4) | instskip(NEXT) | instid1(VALU_DEP_4)
	v_cvt_i32_f32_e32 v5, v5
	v_add_f32_e32 v6, v10, v6
	s_delay_alu instid0(VALU_DEP_4) | instskip(NEXT) | instid1(VALU_DEP_4)
	v_cvt_i32_f32_e32 v7, v7
	v_bfi_b32 v3, 0x7fffffff, v11, v3
	s_delay_alu instid0(VALU_DEP_4) | instskip(NEXT) | instid1(VALU_DEP_4)
	v_and_b32_e32 v5, 0xff, v5
	v_cvt_i32_f32_e32 v6, v6
	s_delay_alu instid0(VALU_DEP_4) | instskip(NEXT) | instid1(VALU_DEP_4)
	v_and_b32_e32 v7, 0xff, v7
	v_add_f32_e32 v3, v15, v3
	s_delay_alu instid0(VALU_DEP_4) | instskip(NEXT) | instid1(VALU_DEP_3)
	v_lshlrev_b32_e32 v5, 8, v5
	v_lshlrev_b32_e32 v7, 16, v7
	s_delay_alu instid0(VALU_DEP_3) | instskip(NEXT) | instid1(VALU_DEP_2)
	v_cvt_i32_f32_e32 v3, v3
	v_lshl_or_b32 v6, v6, 24, v7
	s_delay_alu instid0(VALU_DEP_2) | instskip(NEXT) | instid1(VALU_DEP_1)
	v_and_b32_e32 v3, 0xff, v3
	v_or3_b32 v10, v6, v5, v3
.LBB9_20:
	s_or_b32 exec_lo, exec_lo, s7
	v_and_b32_e32 v3, 0x77, v32
	v_lshl_add_u32 v5, v32, 2, v2
	s_mov_b32 s1, exec_lo
	ds_store_b32 v5, v10
	v_cmpx_eq_u32_e32 0, v3
	s_cbranch_execz .LBB9_22
; %bb.21:
	s_waitcnt lgkmcnt(1)
	v_dual_add_f32 v1, v1, v9 :: v_dual_add_nc_u32 v2, v2, v32
	ds_store_b64 v2, v[0:1] offset:64
.LBB9_22:
	s_or_b32 exec_lo, exec_lo, s1
.LBB9_23:
	s_delay_alu instid0(SALU_CYCLE_1)
	s_or_b32 exec_lo, exec_lo, s6
	v_and_b32_e32 v11, 1, v32
	s_waitcnt lgkmcnt(0)
	s_barrier
	buffer_gl0_inv
	s_cmp_eq_u64 s[26:27], 0
	v_lshlrev_b32_e32 v9, 2, v11
	s_mov_b32 s37, s36
	ds_load_2addr_b32 v[12:13], v9 offset1:2
	ds_load_2addr_b32 v[14:15], v9 offset0:4 offset1:6
	ds_load_2addr_b32 v[16:17], v9 offset0:8 offset1:10
	ds_load_2addr_b32 v[18:19], v9 offset0:12 offset1:14
	ds_load_2addr_b32 v[20:21], v9 offset0:32 offset1:34
	ds_load_b128 v[0:3], v4 offset:64
	ds_load_b128 v[4:7], v4 offset:192
	ds_load_2addr_b32 v[22:23], v9 offset0:36 offset1:38
	ds_load_2addr_b32 v[24:25], v9 offset0:40 offset1:42
	;; [unrolled: 1-line block ×3, first 2 shown]
	s_waitcnt lgkmcnt(0)
	s_barrier
	buffer_gl0_inv
	s_cbranch_scc1 .LBB9_25
; %bb.24:
	s_load_b32 s1, s[2:3], 0xd0
	s_mov_b32 s5, 0
	s_waitcnt lgkmcnt(0)
	s_mul_i32 s1, s1, s33
	s_delay_alu instid0(SALU_CYCLE_1) | instskip(NEXT) | instid1(SALU_CYCLE_1)
	s_add_i32 s4, s1, s13
	s_lshl_b64 s[4:5], s[4:5], 2
	s_delay_alu instid0(SALU_CYCLE_1)
	s_add_u32 s4, s26, s4
	s_addc_u32 s5, s27, s5
	s_load_b32 s37, s[4:5], 0x0
.LBB9_25:
	s_mov_b32 s10, 0
	s_mov_b32 s4, 0xfeffffff
	;; [unrolled: 1-line block ×3, first 2 shown]
	s_delay_alu instid0(SALU_CYCLE_1) | instskip(SKIP_2) | instid1(VALU_DEP_2)
	v_dual_mov_b32 v29, s11 :: v_dual_lshlrev_b32 v10, 5, v33
	s_mov_b32 s5, s4
	v_dual_mov_b32 v28, s10 :: v_dual_add_nc_u32 v37, 0x600, v8
	v_dual_mov_b32 v31, s5 :: v_dual_add_nc_u32 v34, v10, v32
	v_mov_b32_e32 v30, s4
	v_mbcnt_lo_u32_b32 v39, -1, 0
	v_lshlrev_b32_e32 v36, 2, v32
	s_delay_alu instid0(VALU_DEP_4)
	v_lshlrev_b32_e32 v35, 1, v34
	s_lshl_b32 s8, s14, 7
	s_waitcnt lgkmcnt(0)
	s_cmp_ge_i32 s8, s37
	s_cbranch_scc1 .LBB9_38
; %bb.26:
	s_clause 0x1
	s_load_b128 s[4:7], s[2:3], 0x98
	s_load_b64 s[16:17], s[2:3], 0x8c
	s_sub_i32 s1, 0, s40
	s_sub_i32 s11, 0, s38
	s_mul_i32 s1, s1, s42
	s_abs_i32 s13, s12
	s_mul_hi_u32 s1, s42, s1
	s_mul_i32 s11, s11, s9
	s_add_i32 s42, s42, s1
	s_mul_hi_u32 s1, s9, s11
	s_mul_hi_u32 s11, s13, s42
	s_ashr_i32 s27, s41, 31
	s_ashr_i32 s46, s33, 31
	s_add_i32 s9, s9, s1
	s_mul_i32 s1, s11, s40
	s_ashr_i32 s26, s12, 31
	s_sub_i32 s1, s13, s1
	s_abs_i32 s43, s33
	s_xor_b32 s26, s26, s27
	s_add_i32 s27, s11, 1
	s_waitcnt lgkmcnt(0)
	s_mul_i32 s5, s33, s5
	s_mul_hi_u32 s41, s33, s4
	s_mul_i32 s42, s46, s4
	s_add_i32 s47, s41, s5
	s_sub_i32 s5, s1, s40
	s_add_i32 s47, s47, s42
	s_cmp_ge_u32 s1, s40
	v_and_b32_e32 v8, 30, v39
	s_cselect_b32 s11, s27, s11
	s_cselect_b32 s1, s5, s1
	s_add_i32 s5, s11, 1
	s_cmp_ge_u32 s1, s40
	v_xor_b32_e32 v28, 1, v39
	s_cselect_b32 s1, s5, s11
	s_mul_hi_u32 s5, s43, s9
	s_xor_b32 s1, s1, s26
	s_mul_i32 s5, s5, s38
	s_sub_i32 s42, s1, s26
	s_load_b64 s[26:27], s[2:3], 0xc8
	s_sub_i32 s1, s43, s5
	s_mul_i32 s48, s42, s17
	s_mul_i32 s42, s42, s7
	s_ashr_i32 s49, s48, 31
	s_ashr_i32 s43, s42, 31
	s_sub_i32 s5, s1, s38
	s_cmp_ge_u32 s1, s38
	v_xor_b32_e32 v43, 4, v39
	s_cselect_b32 s1, s5, s1
	v_and_b32_e32 v29, 0x7e, v32
	s_sub_i32 s5, s1, s38
	s_cmp_ge_u32 s1, s38
	v_xor_b32_e32 v44, 8, v39
	s_cselect_b32 s1, s5, s1
	s_load_b32 s5, s[2:3], 0xd4
	s_xor_b32 s1, s1, s46
	s_load_b64 s[40:41], s[2:3], 0xa8
	s_sub_i32 s45, s1, s46
	s_mul_i32 s50, s33, s4
	s_waitcnt lgkmcnt(0)
	s_mul_i32 s1, s45, s27
	s_mul_hi_u32 s7, s45, s26
	s_ashr_i32 s9, s45, 31
	s_add_i32 s44, s7, s1
	v_cmp_eq_u32_e64 s1, 0, v11
	v_xor_b32_e32 v11, 2, v39
	v_add_nc_u32_e32 v8, 2, v8
	s_mul_i32 s9, s9, s26
	s_mul_i32 s7, s15, s39
	s_add_i32 s44, s44, s9
	s_ashr_i32 s13, s7, 31
	v_cmp_lt_i32_e32 vcc_lo, v28, v8
	s_cmp_lg_u64 s[22:23], 0
	s_mov_b32 s9, s10
	s_cselect_b32 s11, -1, 0
	s_lshl_b32 s4, s5, 7
	v_cndmask_b32_e32 v28, v39, v28, vcc_lo
	v_cmp_gt_i32_e32 vcc_lo, 32, v11
	s_cmp_lt_i32 s15, s34
	s_mov_b32 s5, s10
	s_cselect_b32 s10, -1, 0
	s_mul_i32 s45, s45, s26
	v_cndmask_b32_e32 v11, v39, v11, vcc_lo
	v_cmp_gt_i32_e32 vcc_lo, 32, v43
	v_add_nc_u32_e32 v8, v10, v29
	s_or_b32 s26, s15, 1
	s_and_b32 s38, s11, s10
	v_lshlrev_b32_e32 v42, 2, v11
	v_cndmask_b32_e32 v43, v39, v43, vcc_lo
	v_xor_b32_e32 v11, 16, v39
	v_cmp_gt_i32_e32 vcc_lo, 32, v44
	v_mul_lo_u32 v56, v8, s16
	s_cmp_lt_i32 s26, s34
	v_lshlrev_b32_e32 v43, 2, v43
	v_lshrrev_b32_e32 v30, 4, v32
	v_cndmask_b32_e32 v44, v39, v44, vcc_lo
	v_cmp_gt_i32_e32 vcc_lo, 32, v11
	v_lshlrev_b32_e32 v40, 2, v28
	s_cselect_b32 s10, -1, 0
	v_add_nc_u32_e32 v31, s16, v56
	s_and_b32 s39, s11, s10
	v_cndmask_b32_e32 v11, v39, v11, vcc_lo
	v_or_b32_e32 v46, v10, v30
	v_add_nc_u32_e32 v114, v10, v30
	v_ashrrev_i32_e32 v51, 31, v31
	s_ashr_i32 s10, s36, 31
	v_lshlrev_b32_e32 v45, 2, v11
	v_add_co_u32 v11, s11, s50, v9
	s_delay_alu instid0(VALU_DEP_1) | instskip(SKIP_1) | instid1(VALU_DEP_3)
	v_add_co_ci_u32_e64 v30, null, s47, 0, s11
	v_add_co_u32 v9, s11, v8, s36
	v_add_co_u32 v48, vcc_lo, v11, v31
	s_delay_alu instid0(VALU_DEP_3)
	v_add_co_ci_u32_e32 v49, vcc_lo, v30, v51, vcc_lo
	v_add_co_ci_u32_e64 v10, null, 0, s10, s11
	s_add_u32 s10, s18, s48
	s_addc_u32 s11, s19, s49
	v_add_co_u32 v48, vcc_lo, s10, v48
	v_add_co_ci_u32_e32 v49, vcc_lo, s11, v49, vcc_lo
	v_dual_mov_b32 v127, 0xfeffffff :: v_dual_add_nc_u32 v28, s36, v8
	v_add_co_u32 v11, vcc_lo, v11, s48
	v_ashrrev_i32_e32 v58, 31, v56
	v_add_co_ci_u32_e32 v30, vcc_lo, s49, v30, vcc_lo
	s_delay_alu instid0(VALU_DEP_4) | instskip(NEXT) | instid1(VALU_DEP_4)
	v_ashrrev_i32_e32 v29, 31, v28
	v_add_co_u32 v11, vcc_lo, v11, v56
	s_add_u32 s10, s10, s50
	s_delay_alu instid0(VALU_DEP_3)
	v_add_co_ci_u32_e32 v30, vcc_lo, v30, v58, vcc_lo
	v_bfe_u32 v54, v32, 3, 1
	s_addc_u32 s11, s11, s47
	v_add_co_u32 v50, vcc_lo, s10, v31
	v_add_co_ci_u32_e32 v51, vcc_lo, s11, v51, vcc_lo
	s_lshl_b64 s[26:27], s[8:9], 1
	v_lshlrev_b64 v[28:29], 1, v[28:29]
	v_add_co_u32 v52, vcc_lo, s18, v11
	s_add_u32 s9, s22, s26
	v_add_co_ci_u32_e32 v53, vcc_lo, s19, v30, vcc_lo
	s_addc_u32 s10, s23, s27
	v_mul_hi_u32_u24_e32 v31, 20, v54
	v_mul_u32_u24_e32 v30, 20, v54
	s_add_u32 s9, s9, s45
	s_addc_u32 s36, s10, s44
	v_add_co_u32 v54, vcc_lo, s9, v28
	v_add_co_ci_u32_e32 v55, vcc_lo, s36, v29, vcc_lo
	v_mad_u64_u32 v[28:29], null, s33, s40, v[30:31]
	v_add_nc_u32_e32 v11, 30, v114
	v_dual_mov_b32 v128, 0xfeffffff :: v_dual_and_b32 v57, 12, v36
	s_mul_i32 s41, s33, s41
	s_mul_i32 s46, s46, s40
	s_delay_alu instid0(VALU_DEP_2) | instskip(NEXT) | instid1(VALU_DEP_4)
	v_mul_lo_u32 v11, s6, v11
	v_add3_u32 v29, s41, s46, v29
	s_lshl_b64 s[10:11], s[4:5], 1
	s_add_u32 s5, s50, s48
	s_addc_u32 s47, s47, s49
	v_add_co_u32 v30, vcc_lo, v28, v57
	s_add_u32 s5, s18, s5
	v_add_co_ci_u32_e32 v31, vcc_lo, 0, v29, vcc_lo
	s_addc_u32 s18, s19, s47
	v_ashrrev_i32_e32 v60, 31, v11
	v_add_co_u32 v56, vcc_lo, s5, v56
	v_add_co_ci_u32_e32 v57, vcc_lo, s18, v58, vcc_lo
	v_add_co_u32 v58, vcc_lo, v30, v11
	v_add_nc_u32_e32 v61, 28, v114
	v_add_co_ci_u32_e32 v59, vcc_lo, v31, v60, vcc_lo
	s_add_u32 s5, s20, s42
	s_addc_u32 s18, s21, s43
	v_add_co_u32 v58, vcc_lo, s5, v58
	v_mul_lo_u32 v64, s6, v61
	v_add_co_ci_u32_e32 v59, vcc_lo, s18, v59, vcc_lo
	v_add_co_u32 v56, vcc_lo, v56, 20
	v_add_co_ci_u32_e32 v57, vcc_lo, 0, v57, vcc_lo
	v_add_co_u32 v58, vcc_lo, v58, 4
	s_delay_alu instid0(VALU_DEP_4)
	v_add_co_ci_u32_e32 v59, vcc_lo, 0, v59, vcc_lo
	v_ashrrev_i32_e32 v65, 31, v64
	v_add_co_u32 v11, vcc_lo, v28, v11
	v_add_co_ci_u32_e32 v61, vcc_lo, v29, v60, vcc_lo
	v_add_co_u32 v60, vcc_lo, v30, v64
	v_add_nc_u32_e32 v63, 26, v114
	v_add_co_ci_u32_e32 v62, vcc_lo, v31, v65, vcc_lo
	s_delay_alu instid0(VALU_DEP_3) | instskip(NEXT) | instid1(VALU_DEP_3)
	v_add_co_u32 v66, vcc_lo, s5, v60
	v_mul_lo_u32 v68, s6, v63
	s_delay_alu instid0(VALU_DEP_3) | instskip(SKIP_3) | instid1(VALU_DEP_4)
	v_add_co_ci_u32_e32 v67, vcc_lo, s18, v62, vcc_lo
	v_add_co_u32 v60, vcc_lo, s5, v11
	v_add_co_ci_u32_e32 v61, vcc_lo, s18, v61, vcc_lo
	v_add_co_u32 v62, vcc_lo, v66, 4
	v_add_co_ci_u32_e32 v63, vcc_lo, 0, v67, vcc_lo
	v_ashrrev_i32_e32 v11, 31, v68
	v_add_co_u32 v64, vcc_lo, v28, v64
	v_add_co_ci_u32_e32 v65, vcc_lo, v29, v65, vcc_lo
	v_add_co_u32 v66, vcc_lo, v30, v68
	v_add_nc_u32_e32 v69, 24, v114
	v_add_co_ci_u32_e32 v67, vcc_lo, v31, v11, vcc_lo
	s_delay_alu instid0(VALU_DEP_3) | instskip(NEXT) | instid1(VALU_DEP_3)
	v_add_co_u32 v66, vcc_lo, s5, v66
	v_mul_lo_u32 v72, s6, v69
	s_delay_alu instid0(VALU_DEP_3) | instskip(SKIP_3) | instid1(VALU_DEP_4)
	v_add_co_ci_u32_e32 v67, vcc_lo, s18, v67, vcc_lo
	v_add_co_u32 v64, vcc_lo, s5, v64
	v_add_co_ci_u32_e32 v65, vcc_lo, s18, v65, vcc_lo
	v_add_co_u32 v66, vcc_lo, v66, 4
	;; [unrolled: 15-line block ×13, first 2 shown]
	v_add_co_ci_u32_e32 v111, vcc_lo, 0, v116, vcc_lo
	v_ashrrev_i32_e32 v11, 31, v117
	v_add_co_u32 v112, vcc_lo, v28, v112
	v_add_co_ci_u32_e32 v113, vcc_lo, v29, v113, vcc_lo
	v_add_co_u32 v115, vcc_lo, v30, v117
	s_delay_alu instid0(VALU_DEP_4) | instskip(NEXT) | instid1(VALU_DEP_4)
	v_add_co_ci_u32_e32 v116, vcc_lo, v31, v11, vcc_lo
	v_add_co_u32 v112, vcc_lo, s5, v112
	s_delay_alu instid0(VALU_DEP_4) | instskip(NEXT) | instid1(VALU_DEP_4)
	v_add_co_ci_u32_e32 v113, vcc_lo, s18, v113, vcc_lo
	v_add_co_u32 v115, vcc_lo, s5, v115
	s_delay_alu instid0(VALU_DEP_4) | instskip(SKIP_2) | instid1(VALU_DEP_4)
	v_add_co_ci_u32_e32 v116, vcc_lo, s18, v116, vcc_lo
	v_mul_lo_u32 v120, s6, v114
	v_lshl_add_u32 v47, v114, 1, 0x100
	v_add_co_u32 v114, vcc_lo, v115, 4
	s_delay_alu instid0(VALU_DEP_4)
	v_add_co_ci_u32_e32 v115, vcc_lo, 0, v116, vcc_lo
	v_add_co_u32 v30, vcc_lo, v30, s42
	v_add_co_ci_u32_e32 v31, vcc_lo, s43, v31, vcc_lo
	v_ashrrev_i32_e32 v121, 31, v120
	v_add_co_u32 v116, vcc_lo, v28, v117
	v_add_co_ci_u32_e32 v11, vcc_lo, v29, v11, vcc_lo
	v_add_co_u32 v30, vcc_lo, v30, v120
	s_delay_alu instid0(VALU_DEP_4) | instskip(NEXT) | instid1(VALU_DEP_4)
	v_add_co_ci_u32_e32 v31, vcc_lo, v31, v121, vcc_lo
	v_add_co_u32 v116, vcc_lo, s5, v116
	s_delay_alu instid0(VALU_DEP_4) | instskip(NEXT) | instid1(VALU_DEP_4)
	v_add_co_ci_u32_e32 v117, vcc_lo, s18, v11, vcc_lo
	v_add_co_u32 v11, vcc_lo, v30, s20
	s_delay_alu instid0(VALU_DEP_4) | instskip(SKIP_2) | instid1(VALU_DEP_4)
	v_add_co_ci_u32_e32 v30, vcc_lo, s21, v31, vcc_lo
	v_add_co_u32 v28, vcc_lo, v28, s42
	v_add_co_ci_u32_e32 v29, vcc_lo, s43, v29, vcc_lo
	v_add_co_u32 v118, vcc_lo, v11, 4
	s_delay_alu instid0(VALU_DEP_4) | instskip(NEXT) | instid1(VALU_DEP_4)
	v_add_co_ci_u32_e32 v119, vcc_lo, 0, v30, vcc_lo
	v_add_co_u32 v11, vcc_lo, v28, v120
	s_delay_alu instid0(VALU_DEP_4) | instskip(SKIP_1) | instid1(VALU_DEP_3)
	v_add_co_ci_u32_e32 v28, vcc_lo, v29, v121, vcc_lo
	v_lshlrev_b64 v[9:10], 1, v[9:10]
	v_add_co_u32 v120, vcc_lo, s20, v11
	s_delay_alu instid0(VALU_DEP_3) | instskip(SKIP_1) | instid1(VALU_DEP_4)
	v_add_co_ci_u32_e32 v121, vcc_lo, s21, v28, vcc_lo
	v_lshlrev_b32_e32 v30, 1, v8
	v_add_co_u32 v28, vcc_lo, s9, v9
	v_add_co_ci_u32_e32 v29, vcc_lo, s36, v10, vcc_lo
	ds_load_b128 v[8:11], v37
	s_add_u32 s5, s45, s26
	s_addc_u32 s9, s44, s27
	s_add_u32 s5, s22, s5
	s_addc_u32 s9, s23, s9
	v_add_co_u32 v30, s5, s5, v30
	s_delay_alu instid0(VALU_DEP_1) | instskip(SKIP_2) | instid1(VALU_DEP_4)
	v_add_co_ci_u32_e64 v31, null, s9, 0, s5
	v_add_co_u32 v122, vcc_lo, v28, 2
	v_add_co_ci_u32_e32 v123, vcc_lo, 0, v29, vcc_lo
	v_add_co_u32 v124, vcc_lo, v30, 2
	v_and_b32_e32 v41, 4, v32
	v_lshlrev_b32_e32 v44, 2, v44
	v_lshlrev_b32_e32 v46, 1, v46
	v_add_co_ci_u32_e32 v125, vcc_lo, 0, v31, vcc_lo
	v_dual_mov_b32 v28, 0 :: v_dual_mov_b32 v29, 0
	s_mul_i32 s17, s8, s6
	s_mul_i32 s5, s8, s16
	;; [unrolled: 1-line block ×4, first 2 shown]
                                        ; implicit-def: $vgpr126
.LBB9_27:                               ; =>This Inner Loop Header: Depth=1
	v_add_co_u32 v30, vcc_lo, v56, s5
	v_add_co_ci_u32_e32 v31, vcc_lo, 0, v57, vcc_lo
	v_add_co_u32 v139, vcc_lo, v52, s5
	v_add_co_ci_u32_e32 v140, vcc_lo, 0, v53, vcc_lo
	s_clause 0x1
	global_load_b32 v130, v[30:31], off offset:-20
	global_load_b32 v30, v[30:31], off
	s_and_b32 vcc_lo, exec_lo, s38
	s_clause 0x1
	global_load_b32 v129, v[139:140], off offset:4
	global_load_b32 v133, v[139:140], off offset:24
	s_waitcnt vmcnt(3)
	v_cvt_f32_f16_e64 v135, v130
	v_lshrrev_b32_e32 v130, 16, v130
	s_waitcnt vmcnt(0)
	v_lshrrev_b32_e32 v31, 4, v133
	v_and_b32_e32 v132, 0xf0f0f0f, v133
	s_delay_alu instid0(VALU_DEP_3) | instskip(SKIP_3) | instid1(VALU_DEP_1)
	v_cvt_f32_f16_e64 v137, v130
	global_load_b32 v130, v[139:140], off offset:12
	v_and_b32_e32 v133, 0xf0f0f0f, v31
	v_mul_f32_e32 v141, v1, v137
	v_mul_f32_e32 v141, 0x3e000000, v141
	v_and_b32_e32 v136, 0xf0f0f0f, v129
	v_lshrrev_b32_e32 v129, 4, v129
	s_delay_alu instid0(VALU_DEP_1)
	v_and_b32_e32 v134, 0xf0f0f0f, v129
	s_waitcnt vmcnt(0)
	v_and_b32_e32 v138, 0xf0f0f0f, v130
	v_lshrrev_b32_e32 v129, 4, v130
	v_cvt_f32_f16_e64 v130, v30
	v_lshrrev_b32_e32 v30, 16, v30
	s_delay_alu instid0(VALU_DEP_4) | instskip(NEXT) | instid1(VALU_DEP_4)
	v_dot4_i32_iu8 v142, v138, v13, 0 neg_lo:[1,1,0]
	v_and_b32_e32 v129, 0xf0f0f0f, v129
	s_delay_alu instid0(VALU_DEP_3) | instskip(SKIP_3) | instid1(VALU_DEP_1)
	v_cvt_f32_f16_e64 v131, v30
	global_load_b32 v30, v[139:140], off offset:32
	v_mul_f32_e32 v140, v0, v135
	v_cvt_f32_i32_e32 v142, v142
	v_fma_f32 v142, v140, v142, v141
	s_waitcnt vmcnt(0)
	v_and_b32_e32 v139, 0xf0f0f0f, v30
	v_lshrrev_b32_e32 v30, 4, v30
	s_delay_alu instid0(VALU_DEP_1) | instskip(SKIP_1) | instid1(VALU_DEP_1)
	v_and_b32_e32 v31, 0xf0f0f0f, v30
	v_dot4_i32_iu8 v30, v136, v12, 0 neg_lo:[1,1,0]
	v_cvt_f32_i32_e32 v30, v30
	s_delay_alu instid0(VALU_DEP_1) | instskip(NEXT) | instid1(VALU_DEP_1)
	v_fma_f32 v30, v140, v30, v141
	v_add_f32_e32 v30, 0, v30
	s_delay_alu instid0(VALU_DEP_1) | instskip(SKIP_1) | instid1(VALU_DEP_1)
	v_add_f32_e32 v30, v30, v142
	v_dot4_i32_iu8 v142, v134, v14, 0 neg_lo:[1,1,0]
	v_cvt_f32_i32_e32 v142, v142
	s_delay_alu instid0(VALU_DEP_1) | instskip(NEXT) | instid1(VALU_DEP_1)
	v_fma_f32 v142, v140, v142, v141
	v_add_f32_e32 v30, v30, v142
	v_dot4_i32_iu8 v142, v129, v15, 0 neg_lo:[1,1,0]
	s_delay_alu instid0(VALU_DEP_1) | instskip(NEXT) | instid1(VALU_DEP_1)
	v_cvt_f32_i32_e32 v142, v142
	v_dual_fmac_f32 v141, v140, v142 :: v_dual_mul_f32 v142, v3, v131
	v_dot4_i32_iu8 v140, v132, v16, 0 neg_lo:[1,1,0]
	s_delay_alu instid0(VALU_DEP_2) | instskip(SKIP_1) | instid1(VALU_DEP_3)
	v_add_f32_e32 v30, v30, v141
	v_mul_f32_e32 v141, v2, v130
	v_cvt_f32_i32_e32 v140, v140
	v_mul_f32_e32 v142, 0x3e000000, v142
	s_delay_alu instid0(VALU_DEP_1) | instskip(NEXT) | instid1(VALU_DEP_1)
	v_fma_f32 v140, v141, v140, v142
	v_add_f32_e32 v30, v30, v140
	v_dot4_i32_iu8 v140, v139, v17, 0 neg_lo:[1,1,0]
	s_delay_alu instid0(VALU_DEP_1) | instskip(NEXT) | instid1(VALU_DEP_1)
	v_cvt_f32_i32_e32 v140, v140
	v_fma_f32 v140, v141, v140, v142
	s_delay_alu instid0(VALU_DEP_1) | instskip(SKIP_1) | instid1(VALU_DEP_1)
	v_add_f32_e32 v30, v30, v140
	v_dot4_i32_iu8 v140, v133, v18, 0 neg_lo:[1,1,0]
	v_cvt_f32_i32_e32 v140, v140
	s_delay_alu instid0(VALU_DEP_1) | instskip(NEXT) | instid1(VALU_DEP_1)
	v_fma_f32 v140, v141, v140, v142
	v_add_f32_e32 v30, v30, v140
	v_dot4_i32_iu8 v140, v31, v19, 0 neg_lo:[1,1,0]
	s_delay_alu instid0(VALU_DEP_1) | instskip(NEXT) | instid1(VALU_DEP_1)
	v_cvt_f32_i32_e32 v140, v140
	v_fmac_f32_e32 v142, v141, v140
	s_delay_alu instid0(VALU_DEP_1)
	v_add_f32_e32 v30, v30, v142
	ds_bpermute_b32 v140, v40, v30
	s_waitcnt lgkmcnt(0)
	v_add_f32_e32 v30, v30, v140
	s_cbranch_vccz .LBB9_29
; %bb.28:                               ;   in Loop: Header=BB9_27 Depth=1
	v_add_co_u32 v140, vcc_lo, v124, s7
	v_add_co_ci_u32_e32 v141, vcc_lo, s13, v125, vcc_lo
	global_load_u16 v140, v[140:141], off offset:-2
	s_waitcnt vmcnt(0)
	v_fma_mix_f32 v30, v38, v140, v30 op_sel_hi:[0,1,0]
.LBB9_29:                               ;   in Loop: Header=BB9_27 Depth=1
	v_dot4_i32_iu8 v136, v136, v20, 0 neg_lo:[1,1,0]
	v_mul_f32_e32 v137, v5, v137
	v_dual_mul_f32 v135, v4, v135 :: v_dual_mul_f32 v130, v6, v130
	v_dot4_i32_iu8 v138, v138, v21, 0 neg_lo:[1,1,0]
	s_delay_alu instid0(VALU_DEP_4) | instskip(NEXT) | instid1(VALU_DEP_4)
	v_cvt_f32_i32_e32 v136, v136
	v_mul_f32_e32 v137, 0x3e000000, v137
	v_dot4_i32_iu8 v134, v134, v22, 0 neg_lo:[1,1,0]
	v_dot4_i32_iu8 v129, v129, v23, 0 neg_lo:[1,1,0]
	v_cvt_f32_i32_e32 v138, v138
	v_dot4_i32_iu8 v132, v132, v24, 0 neg_lo:[1,1,0]
	v_fma_f32 v136, v135, v136, v137
	v_cvt_f32_i32_e32 v134, v134
	v_mul_f32_e32 v131, v7, v131
	v_fma_f32 v138, v135, v138, v137
	v_cvt_f32_i32_e32 v129, v129
	v_add_f32_e32 v136, 0, v136
	v_cvt_f32_i32_e32 v132, v132
	v_mul_f32_e32 v131, 0x3e000000, v131
	v_dot4_i32_iu8 v133, v133, v26, 0 neg_lo:[1,1,0]
	v_dot4_i32_iu8 v31, v31, v27, 0 neg_lo:[1,1,0]
	v_add_f32_e32 v136, v136, v138
	v_fma_f32 v134, v135, v134, v137
	v_dot4_i32_iu8 v138, v139, v25, 0 neg_lo:[1,1,0]
	v_fmac_f32_e32 v137, v135, v129
	v_fma_f32 v132, v130, v132, v131
	v_cvt_f32_i32_e32 v133, v133
	v_add_f32_e32 v129, v136, v134
	v_cvt_f32_i32_e32 v134, v138
	v_cvt_f32_i32_e32 v31, v31
	s_and_not1_b32 vcc_lo, exec_lo, s39
	s_delay_alu instid0(VALU_DEP_3) | instskip(NEXT) | instid1(VALU_DEP_3)
	v_add_f32_e32 v129, v129, v137
	v_fma_f32 v134, v130, v134, v131
	s_delay_alu instid0(VALU_DEP_2) | instskip(SKIP_2) | instid1(VALU_DEP_3)
	v_add_f32_e32 v129, v129, v132
	v_fma_f32 v132, v130, v133, v131
	v_fmac_f32_e32 v131, v130, v31
	v_add_f32_e32 v129, v129, v134
	s_delay_alu instid0(VALU_DEP_1) | instskip(NEXT) | instid1(VALU_DEP_1)
	v_add_f32_e32 v129, v129, v132
	v_add_f32_e32 v31, v129, v131
	ds_bpermute_b32 v129, v40, v31
	s_waitcnt lgkmcnt(0)
	v_add_f32_e32 v31, v31, v129
	s_cbranch_vccnz .LBB9_31
; %bb.30:                               ;   in Loop: Header=BB9_27 Depth=1
	v_add_co_u32 v129, vcc_lo, v54, s7
	v_add_co_ci_u32_e32 v130, vcc_lo, s13, v55, vcc_lo
	global_load_u16 v129, v[129:130], off
	s_waitcnt vmcnt(0)
	v_fma_mix_f32 v31, v38, v129, v31 op_sel_hi:[0,1,0]
.LBB9_31:                               ;   in Loop: Header=BB9_27 Depth=1
	v_add_co_u32 v129, vcc_lo, v48, s5
	v_add_co_ci_u32_e32 v130, vcc_lo, 0, v49, vcc_lo
	v_add_co_u32 v131, vcc_lo, v50, s5
	v_add_co_ci_u32_e32 v132, vcc_lo, 0, v51, vcc_lo
	s_and_not1_b32 vcc_lo, exec_lo, s38
	global_load_b32 v135, v[129:130], off offset:4
	global_load_b32 v133, v[131:132], off
	s_clause 0x1
	global_load_b32 v136, v[129:130], off offset:12
	global_load_b32 v137, v[129:130], off offset:24
	;; [unrolled: 1-line block ×4, first 2 shown]
	s_waitcnt vmcnt(4)
	v_lshrrev_b32_e32 v129, 16, v133
	v_cvt_f32_f16_e64 v134, v133
	v_and_b32_e32 v138, 0xf0f0f0f, v135
	v_lshrrev_b32_e32 v135, 4, v135
	s_waitcnt vmcnt(3)
	v_lshrrev_b32_e32 v139, 4, v136
	v_cvt_f32_f16_e64 v140, v129
	v_mul_f32_e32 v143, v0, v134
	s_waitcnt vmcnt(2)
	v_and_b32_e32 v131, 0xf0f0f0f, v137
	s_waitcnt vmcnt(1)
	v_cvt_f32_f16_e64 v130, v132
	v_and_b32_e32 v133, 0xf0f0f0f, v136
	v_lshrrev_b32_e32 v132, 16, v132
	v_and_b32_e32 v136, 0xf0f0f0f, v135
	v_dot4_i32_iu8 v135, v138, v12, 0 neg_lo:[1,1,0]
	v_mul_f32_e32 v142, v1, v140
	v_lshrrev_b32_e32 v137, 4, v137
	v_mul_f32_e32 v148, v2, v130
	v_dot4_i32_iu8 v144, v133, v13, 0 neg_lo:[1,1,0]
	v_cvt_f32_i32_e32 v145, v135
	v_cvt_f32_f16_e64 v135, v132
	v_mul_f32_e32 v142, 0x3e000000, v142
	v_and_b32_e32 v139, 0xf0f0f0f, v139
	v_and_b32_e32 v132, 0xf0f0f0f, v137
	v_cvt_f32_i32_e32 v144, v144
	v_mul_f32_e32 v149, v3, v135
	v_fma_f32 v145, v143, v145, v142
	v_dot4_i32_iu8 v147, v139, v15, 0 neg_lo:[1,1,0]
	v_dot4_i32_iu8 v146, v131, v16, 0 neg_lo:[1,1,0]
	v_fma_f32 v144, v143, v144, v142
	s_delay_alu instid0(VALU_DEP_4)
	v_add_f32_e32 v145, 0, v145
	v_dot4_i32_iu8 v137, v136, v14, 0 neg_lo:[1,1,0]
	s_waitcnt vmcnt(0)
	v_and_b32_e32 v129, 0xf0f0f0f, v141
	v_cvt_f32_i32_e32 v147, v147
	v_cvt_f32_i32_e32 v146, v146
	v_add_f32_e32 v144, v145, v144
	v_cvt_f32_i32_e32 v137, v137
	v_dot4_i32_iu8 v145, v129, v17, 0 neg_lo:[1,1,0]
	v_mul_f32_e32 v149, 0x3e000000, v149
	v_lshrrev_b32_e32 v141, 4, v141
	s_delay_alu instid0(VALU_DEP_4)
	v_fma_f32 v137, v143, v137, v142
	v_fmac_f32_e32 v142, v143, v147
	v_cvt_f32_i32_e32 v143, v145
	v_fma_f32 v145, v148, v146, v149
	v_and_b32_e32 v141, 0xf0f0f0f, v141
	v_add_f32_e32 v137, v144, v137
	s_delay_alu instid0(VALU_DEP_4) | instskip(NEXT) | instid1(VALU_DEP_2)
	v_fma_f32 v143, v148, v143, v149
	v_add_f32_e32 v137, v137, v142
	v_dot4_i32_iu8 v144, v132, v18, 0 neg_lo:[1,1,0]
	s_delay_alu instid0(VALU_DEP_2) | instskip(NEXT) | instid1(VALU_DEP_2)
	v_add_f32_e32 v137, v137, v145
	v_cvt_f32_i32_e32 v142, v144
	v_dot4_i32_iu8 v144, v141, v19, 0 neg_lo:[1,1,0]
	s_delay_alu instid0(VALU_DEP_3) | instskip(NEXT) | instid1(VALU_DEP_3)
	v_add_f32_e32 v137, v137, v143
	v_fma_f32 v142, v148, v142, v149
	s_delay_alu instid0(VALU_DEP_3) | instskip(NEXT) | instid1(VALU_DEP_2)
	v_cvt_f32_i32_e32 v143, v144
	v_add_f32_e32 v137, v137, v142
	s_delay_alu instid0(VALU_DEP_2) | instskip(NEXT) | instid1(VALU_DEP_1)
	v_fmac_f32_e32 v149, v148, v143
	v_add_f32_e32 v137, v137, v149
	ds_bpermute_b32 v142, v40, v137
	s_waitcnt lgkmcnt(0)
	v_add_f32_e32 v137, v137, v142
	s_cbranch_vccnz .LBB9_33
; %bb.32:                               ;   in Loop: Header=BB9_27 Depth=1
	v_add_co_u32 v142, vcc_lo, v124, s7
	v_add_co_ci_u32_e32 v143, vcc_lo, s13, v125, vcc_lo
	global_load_u16 v142, v[142:143], off
	s_waitcnt vmcnt(0)
	v_fma_mix_f32 v137, v38, v142, v137 op_sel_hi:[0,1,0]
.LBB9_33:                               ;   in Loop: Header=BB9_27 Depth=1
	v_dot4_i32_iu8 v138, v138, v20, 0 neg_lo:[1,1,0]
	v_dual_mul_f32 v140, v5, v140 :: v_dual_mul_f32 v135, v7, v135
	v_mul_f32_e32 v134, v4, v134
	v_dot4_i32_iu8 v133, v133, v21, 0 neg_lo:[1,1,0]
	s_delay_alu instid0(VALU_DEP_4) | instskip(NEXT) | instid1(VALU_DEP_4)
	v_cvt_f32_i32_e32 v138, v138
	v_dual_mul_f32 v140, 0x3e000000, v140 :: v_dual_mul_f32 v135, 0x3e000000, v135
	v_dot4_i32_iu8 v136, v136, v22, 0 neg_lo:[1,1,0]
	s_delay_alu instid0(VALU_DEP_4) | instskip(SKIP_1) | instid1(VALU_DEP_4)
	v_cvt_f32_i32_e32 v133, v133
	v_dot4_i32_iu8 v139, v139, v23, 0 neg_lo:[1,1,0]
	v_fma_f32 v138, v134, v138, v140
	v_dot4_i32_iu8 v131, v131, v24, 0 neg_lo:[1,1,0]
	v_cvt_f32_i32_e32 v136, v136
	v_fma_f32 v133, v134, v133, v140
	v_cvt_f32_i32_e32 v139, v139
	v_add_f32_e32 v138, 0, v138
	v_dot4_i32_iu8 v129, v129, v25, 0 neg_lo:[1,1,0]
	v_cvt_f32_i32_e32 v131, v131
	v_dot4_i32_iu8 v132, v132, v26, 0 neg_lo:[1,1,0]
	s_and_not1_b32 vcc_lo, exec_lo, s39
	v_add_f32_e32 v133, v138, v133
	v_fma_f32 v136, v134, v136, v140
	v_fmac_f32_e32 v140, v134, v139
	v_cvt_f32_i32_e32 v129, v129
	v_cvt_f32_i32_e32 v132, v132
	s_delay_alu instid0(VALU_DEP_4) | instskip(NEXT) | instid1(VALU_DEP_1)
	v_dual_add_f32 v133, v133, v136 :: v_dual_mul_f32 v130, v6, v130
	v_add_f32_e32 v133, v133, v140
	s_delay_alu instid0(VALU_DEP_2) | instskip(SKIP_2) | instid1(VALU_DEP_3)
	v_fma_f32 v131, v130, v131, v135
	v_fma_f32 v129, v130, v129, v135
	;; [unrolled: 1-line block ×3, first 2 shown]
	v_add_f32_e32 v131, v133, v131
	v_dot4_i32_iu8 v133, v141, v27, 0 neg_lo:[1,1,0]
	s_delay_alu instid0(VALU_DEP_2) | instskip(NEXT) | instid1(VALU_DEP_2)
	v_add_f32_e32 v129, v131, v129
	v_cvt_f32_i32_e32 v131, v133
	s_delay_alu instid0(VALU_DEP_2) | instskip(NEXT) | instid1(VALU_DEP_2)
	v_add_f32_e32 v129, v129, v132
	v_fmac_f32_e32 v135, v130, v131
	s_delay_alu instid0(VALU_DEP_1)
	v_add_f32_e32 v129, v129, v135
	ds_bpermute_b32 v130, v40, v129
	s_waitcnt lgkmcnt(0)
	v_add_f32_e32 v129, v129, v130
	s_cbranch_vccnz .LBB9_35
; %bb.34:                               ;   in Loop: Header=BB9_27 Depth=1
	v_add_co_u32 v130, vcc_lo, v122, s7
	v_add_co_ci_u32_e32 v131, vcc_lo, s13, v123, vcc_lo
	global_load_u16 v130, v[130:131], off
	s_waitcnt vmcnt(0)
	v_fma_mix_f32 v129, v38, v130, v129 op_sel_hi:[0,1,0]
.LBB9_35:                               ;   in Loop: Header=BB9_27 Depth=1
	v_cndmask_b32_e64 v126, v126, v30, s1
	s_delay_alu instid0(VALU_DEP_2) | instskip(SKIP_3) | instid1(SALU_CYCLE_1)
	v_dual_add_f32 v30, 0x40051340, v30 :: v_dual_add_f32 v131, 0x40051340, v129
	v_add_f32_e32 v130, 0x40051340, v137
	v_cndmask_b32_e64 v129, v129, v31, s1
	s_add_i32 s8, s8, s4
	s_cmp_ge_i32 s8, s37
	s_delay_alu instid0(VALU_DEP_2)
	v_max3_f32 v30, v128, v30, v130
	v_add_f32_e32 v130, 0x40051340, v31
	v_cndmask_b32_e64 v31, v137, v126, s1
	ds_bpermute_b32 v126, v42, v30
	v_max3_f32 v130, v127, v130, v131
	s_waitcnt lgkmcnt(0)
	v_max_f32_e32 v126, v126, v126
	s_delay_alu instid0(VALU_DEP_1) | instskip(SKIP_3) | instid1(VALU_DEP_1)
	v_max_f32_e32 v30, v30, v126
	ds_bpermute_b32 v126, v43, v30
	s_waitcnt lgkmcnt(0)
	v_max_f32_e32 v126, v126, v126
	v_max_f32_e32 v30, v30, v126
	ds_bpermute_b32 v126, v44, v30
	s_waitcnt lgkmcnt(0)
	v_max_f32_e32 v126, v126, v126
	s_delay_alu instid0(VALU_DEP_1) | instskip(SKIP_3) | instid1(VALU_DEP_1)
	v_max_f32_e32 v30, v30, v126
	ds_bpermute_b32 v126, v45, v30
	s_waitcnt lgkmcnt(0)
	v_max_f32_e32 v126, v126, v126
	v_max_f32_e32 v30, v30, v126
	s_delay_alu instid0(VALU_DEP_1) | instskip(SKIP_1) | instid1(VALU_DEP_2)
	v_sub_f32_e32 v126, v128, v30
	v_sub_f32_e32 v31, v31, v30
	v_mul_f32_e32 v128, 0x3fb8aa3b, v126
	v_cmp_ngt_f32_e32 vcc_lo, 0xc2ce8ed0, v126
	s_delay_alu instid0(VALU_DEP_2) | instskip(SKIP_1) | instid1(VALU_DEP_1)
	v_fma_f32 v131, 0x3fb8aa3b, v126, -v128
	v_rndne_f32_e32 v132, v128
	v_dual_fmac_f32 v131, 0x32a5705f, v126 :: v_dual_sub_f32 v128, v128, v132
	s_delay_alu instid0(VALU_DEP_1) | instskip(SKIP_1) | instid1(VALU_DEP_2)
	v_add_f32_e32 v128, v128, v131
	v_cvt_i32_f32_e32 v131, v132
	v_exp_f32_e32 v128, v128
	s_waitcnt_depctr 0xfff
	v_ldexp_f32 v128, v128, v131
	s_delay_alu instid0(VALU_DEP_1) | instskip(SKIP_2) | instid1(VALU_DEP_3)
	v_cndmask_b32_e32 v128, 0, v128, vcc_lo
	v_cmp_nlt_f32_e32 vcc_lo, 0x42b17218, v126
	v_mul_f32_e32 v126, 0x3fb8aa3b, v31
	v_cndmask_b32_e32 v128, 0x7f800000, v128, vcc_lo
	s_delay_alu instid0(VALU_DEP_2) | instskip(SKIP_2) | instid1(VALU_DEP_4)
	v_fma_f32 v131, 0x3fb8aa3b, v31, -v126
	v_rndne_f32_e32 v132, v126
	v_cmp_ngt_f32_e32 vcc_lo, 0xc2ce8ed0, v31
	v_cvt_f16_f32_e64 v134, v128
	s_delay_alu instid0(VALU_DEP_3) | instskip(NEXT) | instid1(VALU_DEP_1)
	v_dual_fmac_f32 v131, 0x32a5705f, v31 :: v_dual_sub_f32 v126, v126, v132
	v_add_f32_e32 v126, v126, v131
	v_cvt_i32_f32_e32 v131, v132
	s_delay_alu instid0(VALU_DEP_2) | instskip(SKIP_2) | instid1(VALU_DEP_1)
	v_exp_f32_e32 v126, v126
	s_waitcnt_depctr 0xfff
	v_ldexp_f32 v126, v126, v131
	v_cndmask_b32_e32 v126, 0, v126, vcc_lo
	v_cmp_nlt_f32_e32 vcc_lo, 0x42b17218, v31
	s_delay_alu instid0(VALU_DEP_2) | instskip(NEXT) | instid1(VALU_DEP_1)
	v_cndmask_b32_e32 v126, 0x7f800000, v126, vcc_lo
	v_cvt_f16_f32_e32 v31, v126
	v_fma_f32 v28, v28, v128, v126
	ds_store_b16 v35, v31
	ds_bpermute_b32 v31, v42, v130
	s_waitcnt lgkmcnt(0)
	v_max_f32_e32 v31, v31, v31
	s_delay_alu instid0(VALU_DEP_1) | instskip(SKIP_3) | instid1(VALU_DEP_1)
	v_max_f32_e32 v31, v130, v31
	ds_bpermute_b32 v128, v43, v31
	s_waitcnt lgkmcnt(0)
	v_max_f32_e32 v128, v128, v128
	v_max_f32_e32 v31, v31, v128
	ds_bpermute_b32 v128, v44, v31
	s_waitcnt lgkmcnt(0)
	v_max_f32_e32 v128, v128, v128
	s_delay_alu instid0(VALU_DEP_1) | instskip(SKIP_3) | instid1(VALU_DEP_1)
	v_max_f32_e32 v31, v31, v128
	ds_bpermute_b32 v128, v45, v31
	s_waitcnt lgkmcnt(0)
	v_max_f32_e32 v128, v128, v128
	v_max_f32_e32 v31, v31, v128
	s_delay_alu instid0(VALU_DEP_1) | instskip(NEXT) | instid1(VALU_DEP_1)
	v_sub_f32_e32 v127, v127, v31
	v_mul_f32_e32 v128, 0x3fb8aa3b, v127
	v_cmp_ngt_f32_e32 vcc_lo, 0xc2ce8ed0, v127
	s_delay_alu instid0(VALU_DEP_2) | instskip(SKIP_1) | instid1(VALU_DEP_2)
	v_fma_f32 v130, 0x3fb8aa3b, v127, -v128
	v_rndne_f32_e32 v131, v128
	v_fmac_f32_e32 v130, 0x32a5705f, v127
	s_delay_alu instid0(VALU_DEP_2) | instskip(NEXT) | instid1(VALU_DEP_1)
	v_sub_f32_e32 v128, v128, v131
	v_add_f32_e32 v128, v128, v130
	v_cvt_i32_f32_e32 v130, v131
	s_delay_alu instid0(VALU_DEP_2) | instskip(SKIP_2) | instid1(VALU_DEP_1)
	v_exp_f32_e32 v128, v128
	s_waitcnt_depctr 0xfff
	v_ldexp_f32 v128, v128, v130
	v_cndmask_b32_e32 v128, 0, v128, vcc_lo
	v_cmp_nlt_f32_e32 vcc_lo, 0x42b17218, v127
	s_delay_alu instid0(VALU_DEP_2) | instskip(NEXT) | instid1(VALU_DEP_1)
	v_dual_cndmask_b32 v127, 0x7f800000, v128 :: v_dual_sub_f32 v128, v129, v31
	v_cvt_f16_f32_e64 v136, v127
	s_delay_alu instid0(VALU_DEP_2) | instskip(SKIP_1) | instid1(VALU_DEP_2)
	v_mul_f32_e32 v129, 0x3fb8aa3b, v128
	v_cmp_ngt_f32_e32 vcc_lo, 0xc2ce8ed0, v128
	v_fma_f32 v130, 0x3fb8aa3b, v128, -v129
	v_rndne_f32_e32 v131, v129
	s_delay_alu instid0(VALU_DEP_1) | instskip(NEXT) | instid1(VALU_DEP_1)
	v_dual_fmac_f32 v130, 0x32a5705f, v128 :: v_dual_sub_f32 v129, v129, v131
	v_add_f32_e32 v129, v129, v130
	v_cvt_i32_f32_e32 v130, v131
	s_delay_alu instid0(VALU_DEP_2) | instskip(SKIP_2) | instid1(VALU_DEP_1)
	v_exp_f32_e32 v129, v129
	s_waitcnt_depctr 0xfff
	v_ldexp_f32 v129, v129, v130
	v_cndmask_b32_e32 v129, 0, v129, vcc_lo
	v_cmp_nlt_f32_e32 vcc_lo, 0x42b17218, v128
	s_delay_alu instid0(VALU_DEP_2) | instskip(NEXT) | instid1(VALU_DEP_1)
	v_cndmask_b32_e32 v128, 0x7f800000, v129, vcc_lo
	v_fma_f32 v29, v29, v127, v128
	v_cvt_f16_f32_e64 v128, v128
	v_add_co_u32 v127, vcc_lo, v120, s17
	ds_store_b16 v35, v128 offset:256
	v_add_co_ci_u32_e32 v128, vcc_lo, 0, v121, vcc_lo
	v_add_co_u32 v129, vcc_lo, v118, s17
	v_add_co_ci_u32_e32 v130, vcc_lo, 0, v119, vcc_lo
	global_load_b32 v127, v[127:128], off
	ds_load_u16 v139, v46 offset:256
	global_load_b32 v129, v[129:130], off
	s_waitcnt vmcnt(0)
	v_ashrrev_i32_e32 v129, v41, v129
	s_delay_alu instid0(VALU_DEP_1) | instskip(SKIP_3) | instid1(VALU_DEP_4)
	v_lshrrev_b32_e32 v131, 8, v129
	v_and_b32_e32 v130, 15, v129
	v_lshrrev_b32_e32 v132, 16, v129
	v_bfe_u32 v129, v129, 24, 4
	v_and_b32_e32 v131, 15, v131
	s_delay_alu instid0(VALU_DEP_4) | instskip(NEXT) | instid1(VALU_DEP_4)
	v_cvt_f16_u16_e64 v128, v130
	v_and_b32_e32 v132, 15, v132
	s_delay_alu instid0(VALU_DEP_4) | instskip(NEXT) | instid1(VALU_DEP_4)
	v_cvt_f16_u16_e64 v129, v129
	v_cvt_f16_u16_e64 v130, v131
	s_delay_alu instid0(VALU_DEP_1) | instskip(NEXT) | instid1(VALU_DEP_1)
	v_pack_b32_f16 v128, v128, v130
	v_pk_fma_f16 v140, v127, v128, v127 op_sel:[0,0,1] op_sel_hi:[0,1,1]
	v_cvt_f16_u16_e64 v128, v132
	s_delay_alu instid0(VALU_DEP_1) | instskip(NEXT) | instid1(VALU_DEP_1)
	v_pack_b32_f16 v128, v128, v129
	v_pk_fma_f16 v141, v127, v128, v127 op_sel:[0,0,1] op_sel_hi:[0,1,1]
	ds_load_u16 v142, v46
	ds_load_u16 v143, v46 offset:4
	ds_load_u16 v144, v46 offset:8
	;; [unrolled: 1-line block ×15, first 2 shown]
	s_waitcnt lgkmcnt(15)
	v_pk_mul_f16 v148, v140, v142 op_sel_hi:[1,0]
	s_delay_alu instid0(VALU_DEP_1) | instskip(SKIP_1) | instid1(VALU_DEP_1)
	v_pk_fma_f16 v148, v134, v8, v148 op_sel_hi:[0,1,1]
	v_pk_mul_f16 v8, v140, v139 op_sel_hi:[1,0]
	v_pk_fma_f16 v140, v136, v10, v8 op_sel_hi:[0,1,1]
	v_pk_mul_f16 v8, v141, v142 op_sel_hi:[1,0]
	s_delay_alu instid0(VALU_DEP_1) | instskip(SKIP_1) | instid1(VALU_DEP_1)
	v_pk_fma_f16 v142, v134, v9, v8 op_sel_hi:[0,1,1]
	v_pk_mul_f16 v8, v141, v139 op_sel_hi:[1,0]
	v_pk_fma_f16 v141, v136, v11, v8 op_sel_hi:[0,1,1]
	v_add_co_u32 v8, vcc_lo, v116, s17
	v_add_co_ci_u32_e32 v9, vcc_lo, 0, v117, vcc_lo
	v_add_co_u32 v10, vcc_lo, v114, s17
	v_add_co_ci_u32_e32 v11, vcc_lo, 0, v115, vcc_lo
	global_load_b32 v8, v[8:9], off
	global_load_b32 v10, v[10:11], off
	s_waitcnt vmcnt(0)
	v_ashrrev_i32_e32 v10, v41, v10
	s_delay_alu instid0(VALU_DEP_1) | instskip(SKIP_3) | instid1(VALU_DEP_4)
	v_lshrrev_b32_e32 v134, 8, v10
	v_and_b32_e32 v11, 15, v10
	v_lshrrev_b32_e32 v136, 16, v10
	v_bfe_u32 v10, v10, 24, 4
	v_and_b32_e32 v134, 15, v134
	s_delay_alu instid0(VALU_DEP_4) | instskip(NEXT) | instid1(VALU_DEP_4)
	v_cvt_f16_u16_e32 v9, v11
	v_and_b32_e32 v136, 15, v136
	s_delay_alu instid0(VALU_DEP_4) | instskip(NEXT) | instid1(VALU_DEP_4)
	v_cvt_f16_u16_e32 v10, v10
	v_cvt_f16_u16_e64 v11, v134
	s_delay_alu instid0(VALU_DEP_1) | instskip(NEXT) | instid1(VALU_DEP_1)
	v_pack_b32_f16 v9, v9, v11
	v_pk_fma_f16 v149, v8, v9, v8 op_sel:[0,0,1] op_sel_hi:[0,1,1]
	v_cvt_f16_u16_e64 v9, v136
	s_waitcnt lgkmcnt(14)
	s_delay_alu instid0(VALU_DEP_2) | instskip(NEXT) | instid1(VALU_DEP_2)
	v_pk_fma_f16 v148, v149, v143, v148 op_sel_hi:[1,0,1]
	v_pack_b32_f16 v9, v9, v10
	s_delay_alu instid0(VALU_DEP_1)
	v_pk_fma_f16 v150, v8, v9, v8 op_sel:[0,0,1] op_sel_hi:[0,1,1]
	ds_load_u16 v151, v47 offset:4
	ds_load_u16 v152, v47 offset:8
	;; [unrolled: 1-line block ×12, first 2 shown]
	v_pk_fma_f16 v156, v150, v143, v142 op_sel_hi:[1,0,1]
	s_waitcnt lgkmcnt(11)
	v_pk_fma_f16 v149, v149, v151, v140 op_sel_hi:[1,0,1]
	v_add_co_u32 v140, vcc_lo, v112, s17
	v_pk_fma_f16 v150, v150, v151, v141 op_sel_hi:[1,0,1]
	v_add_co_ci_u32_e32 v141, vcc_lo, 0, v113, vcc_lo
	v_add_co_u32 v142, vcc_lo, v110, s17
	v_add_co_ci_u32_e32 v143, vcc_lo, 0, v111, vcc_lo
	global_load_b32 v140, v[140:141], off
	global_load_b32 v142, v[142:143], off
	s_waitcnt vmcnt(0)
	v_ashrrev_i32_e32 v142, v41, v142
	s_delay_alu instid0(VALU_DEP_1) | instskip(SKIP_3) | instid1(VALU_DEP_4)
	v_lshrrev_b32_e32 v151, 8, v142
	v_and_b32_e32 v143, 15, v142
	v_lshrrev_b32_e32 v157, 16, v142
	v_bfe_u32 v142, v142, 24, 4
	v_and_b32_e32 v151, 15, v151
	s_delay_alu instid0(VALU_DEP_4) | instskip(NEXT) | instid1(VALU_DEP_4)
	v_cvt_f16_u16_e64 v141, v143
	v_and_b32_e32 v157, 15, v157
	s_delay_alu instid0(VALU_DEP_4) | instskip(NEXT) | instid1(VALU_DEP_4)
	v_cvt_f16_u16_e64 v142, v142
	v_cvt_f16_u16_e64 v143, v151
	s_delay_alu instid0(VALU_DEP_1) | instskip(NEXT) | instid1(VALU_DEP_4)
	v_pack_b32_f16 v141, v141, v143
	v_cvt_f16_u16_e64 v143, v157
	s_delay_alu instid0(VALU_DEP_2) | instskip(NEXT) | instid1(VALU_DEP_2)
	v_pk_fma_f16 v141, v140, v141, v140 op_sel:[0,0,1] op_sel_hi:[0,1,1]
	v_pack_b32_f16 v142, v143, v142
	s_delay_alu instid0(VALU_DEP_2) | instskip(NEXT) | instid1(VALU_DEP_2)
	v_pk_fma_f16 v148, v141, v144, v148 op_sel_hi:[1,0,1]
	v_pk_fma_f16 v140, v140, v142, v140 op_sel:[0,0,1] op_sel_hi:[0,1,1]
	s_waitcnt lgkmcnt(10)
	v_pk_fma_f16 v149, v141, v152, v149 op_sel_hi:[1,0,1]
	s_delay_alu instid0(VALU_DEP_2)
	v_pk_fma_f16 v144, v140, v144, v156 op_sel_hi:[1,0,1]
	v_pk_fma_f16 v150, v140, v152, v150 op_sel_hi:[1,0,1]
	v_add_co_u32 v140, vcc_lo, v108, s17
	v_add_co_ci_u32_e32 v141, vcc_lo, 0, v109, vcc_lo
	v_add_co_u32 v142, vcc_lo, v106, s17
	v_add_co_ci_u32_e32 v143, vcc_lo, 0, v107, vcc_lo
	global_load_b32 v140, v[140:141], off
	global_load_b32 v142, v[142:143], off
	s_waitcnt vmcnt(0)
	v_ashrrev_i32_e32 v142, v41, v142
	s_delay_alu instid0(VALU_DEP_1) | instskip(SKIP_3) | instid1(VALU_DEP_4)
	v_lshrrev_b32_e32 v151, 8, v142
	v_and_b32_e32 v143, 15, v142
	v_lshrrev_b32_e32 v152, 16, v142
	v_bfe_u32 v142, v142, 24, 4
	v_and_b32_e32 v151, 15, v151
	s_delay_alu instid0(VALU_DEP_4) | instskip(NEXT) | instid1(VALU_DEP_4)
	v_cvt_f16_u16_e64 v141, v143
	v_and_b32_e32 v152, 15, v152
	s_delay_alu instid0(VALU_DEP_4) | instskip(NEXT) | instid1(VALU_DEP_4)
	v_cvt_f16_u16_e64 v142, v142
	v_cvt_f16_u16_e64 v143, v151
	s_delay_alu instid0(VALU_DEP_1) | instskip(NEXT) | instid1(VALU_DEP_4)
	v_pack_b32_f16 v141, v141, v143
	v_cvt_f16_u16_e64 v143, v152
	s_delay_alu instid0(VALU_DEP_2) | instskip(NEXT) | instid1(VALU_DEP_2)
	v_pk_fma_f16 v141, v140, v141, v140 op_sel:[0,0,1] op_sel_hi:[0,1,1]
	v_pack_b32_f16 v142, v143, v142
	s_delay_alu instid0(VALU_DEP_2) | instskip(NEXT) | instid1(VALU_DEP_2)
	v_pk_fma_f16 v148, v141, v145, v148 op_sel_hi:[1,0,1]
	v_pk_fma_f16 v140, v140, v142, v140 op_sel:[0,0,1] op_sel_hi:[0,1,1]
	s_waitcnt lgkmcnt(9)
	v_pk_fma_f16 v149, v141, v153, v149 op_sel_hi:[1,0,1]
	s_delay_alu instid0(VALU_DEP_2)
	v_pk_fma_f16 v144, v140, v145, v144 op_sel_hi:[1,0,1]
	v_pk_fma_f16 v145, v140, v153, v150 op_sel_hi:[1,0,1]
	v_add_co_u32 v140, vcc_lo, v104, s17
	v_add_co_ci_u32_e32 v141, vcc_lo, 0, v105, vcc_lo
	v_add_co_u32 v142, vcc_lo, v102, s17
	v_add_co_ci_u32_e32 v143, vcc_lo, 0, v103, vcc_lo
	global_load_b32 v140, v[140:141], off
	ds_load_u16 v150, v46 offset:272
	global_load_b32 v142, v[142:143], off
	s_waitcnt vmcnt(0)
	v_ashrrev_i32_e32 v142, v41, v142
	s_delay_alu instid0(VALU_DEP_1) | instskip(SKIP_3) | instid1(VALU_DEP_4)
	v_lshrrev_b32_e32 v151, 8, v142
	v_and_b32_e32 v143, 15, v142
	v_lshrrev_b32_e32 v152, 16, v142
	v_bfe_u32 v142, v142, 24, 4
	v_and_b32_e32 v151, 15, v151
	s_delay_alu instid0(VALU_DEP_4) | instskip(NEXT) | instid1(VALU_DEP_4)
	v_cvt_f16_u16_e64 v141, v143
	v_and_b32_e32 v152, 15, v152
	s_delay_alu instid0(VALU_DEP_4) | instskip(NEXT) | instid1(VALU_DEP_4)
	v_cvt_f16_u16_e64 v142, v142
	v_cvt_f16_u16_e64 v143, v151
	s_delay_alu instid0(VALU_DEP_1) | instskip(NEXT) | instid1(VALU_DEP_4)
	v_pack_b32_f16 v141, v141, v143
	v_cvt_f16_u16_e64 v143, v152
	s_delay_alu instid0(VALU_DEP_2) | instskip(NEXT) | instid1(VALU_DEP_2)
	v_pk_fma_f16 v141, v140, v141, v140 op_sel:[0,0,1] op_sel_hi:[0,1,1]
	v_pack_b32_f16 v142, v143, v142
	s_delay_alu instid0(VALU_DEP_2) | instskip(NEXT) | instid1(VALU_DEP_2)
	v_pk_fma_f16 v148, v141, v146, v148 op_sel_hi:[1,0,1]
	v_pk_fma_f16 v140, v140, v142, v140 op_sel:[0,0,1] op_sel_hi:[0,1,1]
	s_waitcnt lgkmcnt(0)
	v_pk_fma_f16 v149, v141, v150, v149 op_sel_hi:[1,0,1]
	s_delay_alu instid0(VALU_DEP_2)
	v_pk_fma_f16 v144, v140, v146, v144 op_sel_hi:[1,0,1]
	v_pk_fma_f16 v145, v140, v150, v145 op_sel_hi:[1,0,1]
	v_add_co_u32 v140, vcc_lo, v100, s17
	v_add_co_ci_u32_e32 v141, vcc_lo, 0, v101, vcc_lo
	v_add_co_u32 v142, vcc_lo, v98, s17
	v_add_co_ci_u32_e32 v143, vcc_lo, 0, v99, vcc_lo
	global_load_b32 v140, v[140:141], off
	global_load_b32 v142, v[142:143], off
	s_waitcnt vmcnt(0)
	v_ashrrev_i32_e32 v142, v41, v142
	s_delay_alu instid0(VALU_DEP_1) | instskip(SKIP_3) | instid1(VALU_DEP_4)
	v_lshrrev_b32_e32 v146, 8, v142
	v_and_b32_e32 v143, 15, v142
	v_lshrrev_b32_e32 v150, 16, v142
	v_bfe_u32 v142, v142, 24, 4
	v_and_b32_e32 v146, 15, v146
	s_delay_alu instid0(VALU_DEP_4) | instskip(NEXT) | instid1(VALU_DEP_4)
	v_cvt_f16_u16_e64 v141, v143
	v_and_b32_e32 v150, 15, v150
	s_delay_alu instid0(VALU_DEP_4) | instskip(NEXT) | instid1(VALU_DEP_4)
	v_cvt_f16_u16_e64 v142, v142
	v_cvt_f16_u16_e64 v143, v146
	s_delay_alu instid0(VALU_DEP_1) | instskip(NEXT) | instid1(VALU_DEP_4)
	v_pack_b32_f16 v141, v141, v143
	v_cvt_f16_u16_e64 v143, v150
	s_delay_alu instid0(VALU_DEP_2) | instskip(NEXT) | instid1(VALU_DEP_2)
	v_pk_fma_f16 v141, v140, v141, v140 op_sel:[0,0,1] op_sel_hi:[0,1,1]
	v_pack_b32_f16 v142, v143, v142
	s_delay_alu instid0(VALU_DEP_2) | instskip(NEXT) | instid1(VALU_DEP_2)
	v_pk_fma_f16 v146, v141, v147, v148 op_sel_hi:[1,0,1]
	v_pk_fma_f16 v140, v140, v142, v140 op_sel:[0,0,1] op_sel_hi:[0,1,1]
	v_pk_fma_f16 v148, v141, v154, v149 op_sel_hi:[1,0,1]
	s_delay_alu instid0(VALU_DEP_2)
	v_pk_fma_f16 v144, v140, v147, v144 op_sel_hi:[1,0,1]
	v_pk_fma_f16 v145, v140, v154, v145 op_sel_hi:[1,0,1]
	v_add_co_u32 v140, vcc_lo, v96, s17
	v_add_co_ci_u32_e32 v141, vcc_lo, 0, v97, vcc_lo
	v_add_co_u32 v142, vcc_lo, v94, s17
	v_add_co_ci_u32_e32 v143, vcc_lo, 0, v95, vcc_lo
	global_load_b32 v140, v[140:141], off
	global_load_b32 v142, v[142:143], off
	s_waitcnt vmcnt(0)
	v_ashrrev_i32_e32 v142, v41, v142
	s_delay_alu instid0(VALU_DEP_1) | instskip(SKIP_3) | instid1(VALU_DEP_4)
	v_lshrrev_b32_e32 v147, 8, v142
	v_and_b32_e32 v143, 15, v142
	v_lshrrev_b32_e32 v149, 16, v142
	v_bfe_u32 v142, v142, 24, 4
	v_and_b32_e32 v147, 15, v147
	s_delay_alu instid0(VALU_DEP_4) | instskip(NEXT) | instid1(VALU_DEP_4)
	v_cvt_f16_u16_e64 v141, v143
	v_and_b32_e32 v149, 15, v149
	s_delay_alu instid0(VALU_DEP_4) | instskip(NEXT) | instid1(VALU_DEP_4)
	v_cvt_f16_u16_e64 v142, v142
	v_cvt_f16_u16_e64 v143, v147
	s_delay_alu instid0(VALU_DEP_1) | instskip(NEXT) | instid1(VALU_DEP_4)
	v_pack_b32_f16 v141, v141, v143
	v_cvt_f16_u16_e64 v143, v149
	s_delay_alu instid0(VALU_DEP_2) | instskip(NEXT) | instid1(VALU_DEP_2)
	v_pk_fma_f16 v141, v140, v141, v140 op_sel:[0,0,1] op_sel_hi:[0,1,1]
	v_pack_b32_f16 v142, v143, v142
	s_delay_alu instid0(VALU_DEP_2) | instskip(NEXT) | instid1(VALU_DEP_2)
	v_pk_fma_f16 v146, v141, v138, v146 op_sel_hi:[1,0,1]
	v_pk_fma_f16 v140, v140, v142, v140 op_sel:[0,0,1] op_sel_hi:[0,1,1]
	v_pk_fma_f16 v147, v141, v155, v148 op_sel_hi:[1,0,1]
	s_delay_alu instid0(VALU_DEP_2)
	v_pk_fma_f16 v138, v140, v138, v144 op_sel_hi:[1,0,1]
	v_pk_fma_f16 v144, v140, v155, v145 op_sel_hi:[1,0,1]
	v_add_co_u32 v140, vcc_lo, v92, s17
	v_add_co_ci_u32_e32 v141, vcc_lo, 0, v93, vcc_lo
	v_add_co_u32 v142, vcc_lo, v90, s17
	v_add_co_ci_u32_e32 v143, vcc_lo, 0, v91, vcc_lo
	global_load_b32 v140, v[140:141], off
	global_load_b32 v142, v[142:143], off
	s_waitcnt vmcnt(0)
	v_ashrrev_i32_e32 v142, v41, v142
	s_delay_alu instid0(VALU_DEP_1) | instskip(SKIP_3) | instid1(VALU_DEP_4)
	v_lshrrev_b32_e32 v145, 8, v142
	v_and_b32_e32 v143, 15, v142
	v_lshrrev_b32_e32 v148, 16, v142
	v_bfe_u32 v142, v142, 24, 4
	v_and_b32_e32 v145, 15, v145
	s_delay_alu instid0(VALU_DEP_4) | instskip(NEXT) | instid1(VALU_DEP_4)
	v_cvt_f16_u16_e64 v141, v143
	v_and_b32_e32 v148, 15, v148
	s_delay_alu instid0(VALU_DEP_4) | instskip(NEXT) | instid1(VALU_DEP_4)
	v_cvt_f16_u16_e64 v142, v142
	v_cvt_f16_u16_e64 v143, v145
	ds_load_u16 v145, v46 offset:288
	v_pack_b32_f16 v141, v141, v143
	v_cvt_f16_u16_e64 v143, v148
	s_delay_alu instid0(VALU_DEP_2) | instskip(NEXT) | instid1(VALU_DEP_2)
	v_pk_fma_f16 v141, v140, v141, v140 op_sel:[0,0,1] op_sel_hi:[0,1,1]
	v_pack_b32_f16 v142, v143, v142
	s_delay_alu instid0(VALU_DEP_1) | instskip(NEXT) | instid1(VALU_DEP_3)
	v_pk_fma_f16 v140, v140, v142, v140 op_sel:[0,0,1] op_sel_hi:[0,1,1]
	v_pk_fma_f16 v142, v141, v137, v146 op_sel_hi:[1,0,1]
	v_pk_fma_f16 v141, v141, v139, v147 op_sel_hi:[1,0,1]
	s_delay_alu instid0(VALU_DEP_3)
	v_pk_fma_f16 v143, v140, v137, v138 op_sel_hi:[1,0,1]
	v_add_co_u32 v137, vcc_lo, v88, s17
	v_add_co_ci_u32_e32 v138, vcc_lo, 0, v89, vcc_lo
	v_pk_fma_f16 v144, v140, v139, v144 op_sel_hi:[1,0,1]
	v_add_co_u32 v139, vcc_lo, v86, s17
	v_add_co_ci_u32_e32 v140, vcc_lo, 0, v87, vcc_lo
	global_load_b32 v137, v[137:138], off
	global_load_b32 v139, v[139:140], off
	s_waitcnt vmcnt(0)
	v_ashrrev_i32_e32 v139, v41, v139
	s_delay_alu instid0(VALU_DEP_1) | instskip(SKIP_3) | instid1(VALU_DEP_4)
	v_lshrrev_b32_e32 v146, 8, v139
	v_and_b32_e32 v140, 15, v139
	v_lshrrev_b32_e32 v147, 16, v139
	v_bfe_u32 v139, v139, 24, 4
	v_and_b32_e32 v146, 15, v146
	s_delay_alu instid0(VALU_DEP_4) | instskip(NEXT) | instid1(VALU_DEP_4)
	v_cvt_f16_u16_e64 v138, v140
	v_and_b32_e32 v147, 15, v147
	s_delay_alu instid0(VALU_DEP_4) | instskip(NEXT) | instid1(VALU_DEP_4)
	v_cvt_f16_u16_e64 v139, v139
	v_cvt_f16_u16_e64 v140, v146
	s_delay_alu instid0(VALU_DEP_1) | instskip(NEXT) | instid1(VALU_DEP_4)
	v_pack_b32_f16 v138, v138, v140
	v_cvt_f16_u16_e64 v140, v147
	s_delay_alu instid0(VALU_DEP_2) | instskip(NEXT) | instid1(VALU_DEP_2)
	v_pk_fma_f16 v138, v137, v138, v137 op_sel:[0,0,1] op_sel_hi:[0,1,1]
	v_pack_b32_f16 v139, v140, v139
	s_delay_alu instid0(VALU_DEP_2) | instskip(NEXT) | instid1(VALU_DEP_2)
	v_pk_fma_f16 v142, v138, v135, v142 op_sel_hi:[1,0,1]
	v_pk_fma_f16 v137, v137, v139, v137 op_sel:[0,0,1] op_sel_hi:[0,1,1]
	s_waitcnt lgkmcnt(0)
	v_pk_fma_f16 v141, v138, v145, v141 op_sel_hi:[1,0,1]
	s_delay_alu instid0(VALU_DEP_2)
	v_pk_fma_f16 v135, v137, v135, v143 op_sel_hi:[1,0,1]
	v_pk_fma_f16 v143, v137, v145, v144 op_sel_hi:[1,0,1]
	v_add_co_u32 v137, vcc_lo, v84, s17
	v_add_co_ci_u32_e32 v138, vcc_lo, 0, v85, vcc_lo
	v_add_co_u32 v139, vcc_lo, v82, s17
	v_add_co_ci_u32_e32 v140, vcc_lo, 0, v83, vcc_lo
	global_load_b32 v137, v[137:138], off
	global_load_b32 v139, v[139:140], off
	s_waitcnt vmcnt(0)
	v_ashrrev_i32_e32 v139, v41, v139
	s_delay_alu instid0(VALU_DEP_1) | instskip(SKIP_3) | instid1(VALU_DEP_4)
	v_lshrrev_b32_e32 v144, 8, v139
	v_and_b32_e32 v140, 15, v139
	v_lshrrev_b32_e32 v145, 16, v139
	v_bfe_u32 v139, v139, 24, 4
	v_and_b32_e32 v144, 15, v144
	s_delay_alu instid0(VALU_DEP_4) | instskip(NEXT) | instid1(VALU_DEP_4)
	v_cvt_f16_u16_e64 v138, v140
	v_and_b32_e32 v145, 15, v145
	s_delay_alu instid0(VALU_DEP_4) | instskip(NEXT) | instid1(VALU_DEP_4)
	v_cvt_f16_u16_e64 v139, v139
	v_cvt_f16_u16_e64 v140, v144
	s_delay_alu instid0(VALU_DEP_1) | instskip(NEXT) | instid1(VALU_DEP_4)
	v_pack_b32_f16 v138, v138, v140
	v_cvt_f16_u16_e64 v140, v145
	s_delay_alu instid0(VALU_DEP_2) | instskip(NEXT) | instid1(VALU_DEP_2)
	v_pk_fma_f16 v138, v137, v138, v137 op_sel:[0,0,1] op_sel_hi:[0,1,1]
	v_pack_b32_f16 v139, v140, v139
	s_delay_alu instid0(VALU_DEP_2) | instskip(NEXT) | instid1(VALU_DEP_2)
	v_pk_fma_f16 v140, v138, v136, v141 op_sel_hi:[1,0,1]
	v_pk_fma_f16 v137, v137, v139, v137 op_sel:[0,0,1] op_sel_hi:[0,1,1]
	v_pk_fma_f16 v139, v138, v133, v142 op_sel_hi:[1,0,1]
	s_delay_alu instid0(VALU_DEP_2)
	v_pk_fma_f16 v133, v137, v133, v135 op_sel_hi:[1,0,1]
	v_add_co_u32 v135, vcc_lo, v80, s17
	v_pk_fma_f16 v141, v137, v136, v143 op_sel_hi:[1,0,1]
	v_add_co_ci_u32_e32 v136, vcc_lo, 0, v81, vcc_lo
	v_add_co_u32 v137, vcc_lo, v78, s17
	v_add_co_ci_u32_e32 v138, vcc_lo, 0, v79, vcc_lo
	global_load_b32 v135, v[135:136], off
	global_load_b32 v137, v[137:138], off
	s_waitcnt vmcnt(0)
	v_ashrrev_i32_e32 v137, v41, v137
	s_delay_alu instid0(VALU_DEP_1) | instskip(SKIP_3) | instid1(VALU_DEP_4)
	v_lshrrev_b32_e32 v142, 8, v137
	v_and_b32_e32 v138, 15, v137
	v_lshrrev_b32_e32 v143, 16, v137
	v_bfe_u32 v137, v137, 24, 4
	v_and_b32_e32 v142, 15, v142
	s_delay_alu instid0(VALU_DEP_4) | instskip(NEXT) | instid1(VALU_DEP_4)
	v_cvt_f16_u16_e64 v136, v138
	v_and_b32_e32 v143, 15, v143
	s_delay_alu instid0(VALU_DEP_4) | instskip(NEXT) | instid1(VALU_DEP_4)
	v_cvt_f16_u16_e64 v137, v137
	v_cvt_f16_u16_e64 v138, v142
	s_delay_alu instid0(VALU_DEP_1) | instskip(NEXT) | instid1(VALU_DEP_4)
	v_pack_b32_f16 v136, v136, v138
	v_cvt_f16_u16_e64 v138, v143
	s_delay_alu instid0(VALU_DEP_2) | instskip(NEXT) | instid1(VALU_DEP_2)
	v_pk_fma_f16 v136, v135, v136, v135 op_sel:[0,0,1] op_sel_hi:[0,1,1]
	v_pack_b32_f16 v137, v138, v137
	s_delay_alu instid0(VALU_DEP_1) | instskip(NEXT) | instid1(VALU_DEP_3)
	v_pk_fma_f16 v135, v135, v137, v135 op_sel:[0,0,1] op_sel_hi:[0,1,1]
	v_pk_fma_f16 v137, v136, v132, v139 op_sel_hi:[1,0,1]
	v_pk_fma_f16 v136, v136, v134, v140 op_sel_hi:[1,0,1]
	s_delay_alu instid0(VALU_DEP_3)
	v_pk_fma_f16 v138, v135, v132, v133 op_sel_hi:[1,0,1]
	v_add_co_u32 v132, vcc_lo, v76, s17
	v_add_co_ci_u32_e32 v133, vcc_lo, 0, v77, vcc_lo
	v_pk_fma_f16 v139, v135, v134, v141 op_sel_hi:[1,0,1]
	v_add_co_u32 v134, vcc_lo, v74, s17
	v_add_co_ci_u32_e32 v135, vcc_lo, 0, v75, vcc_lo
	global_load_b32 v132, v[132:133], off
	global_load_b32 v134, v[134:135], off
	s_waitcnt vmcnt(0)
	v_ashrrev_i32_e32 v134, v41, v134
	s_delay_alu instid0(VALU_DEP_1) | instskip(SKIP_3) | instid1(VALU_DEP_4)
	v_lshrrev_b32_e32 v140, 8, v134
	v_and_b32_e32 v135, 15, v134
	v_lshrrev_b32_e32 v141, 16, v134
	v_bfe_u32 v134, v134, 24, 4
	v_and_b32_e32 v140, 15, v140
	s_delay_alu instid0(VALU_DEP_4) | instskip(NEXT) | instid1(VALU_DEP_4)
	v_cvt_f16_u16_e64 v133, v135
	v_and_b32_e32 v141, 15, v141
	s_delay_alu instid0(VALU_DEP_4) | instskip(NEXT) | instid1(VALU_DEP_4)
	v_cvt_f16_u16_e64 v134, v134
	v_cvt_f16_u16_e64 v135, v140
	s_delay_alu instid0(VALU_DEP_1) | instskip(NEXT) | instid1(VALU_DEP_4)
	v_pack_b32_f16 v133, v133, v135
	v_cvt_f16_u16_e64 v135, v141
	s_delay_alu instid0(VALU_DEP_2) | instskip(NEXT) | instid1(VALU_DEP_2)
	v_pk_fma_f16 v133, v132, v133, v132 op_sel:[0,0,1] op_sel_hi:[0,1,1]
	v_pack_b32_f16 v134, v135, v134
	s_delay_alu instid0(VALU_DEP_2) | instskip(NEXT) | instid1(VALU_DEP_2)
	v_pk_fma_f16 v135, v133, v131, v137 op_sel_hi:[1,0,1]
	v_pk_fma_f16 v132, v132, v134, v132 op_sel:[0,0,1] op_sel_hi:[0,1,1]
	v_pk_fma_f16 v136, v133, v10, v136 op_sel_hi:[1,0,1]
	s_delay_alu instid0(VALU_DEP_2)
	v_pk_fma_f16 v137, v132, v131, v138 op_sel_hi:[1,0,1]
	v_add_co_u32 v131, vcc_lo, v72, s17
	v_pk_fma_f16 v10, v132, v10, v139 op_sel_hi:[1,0,1]
	v_add_co_ci_u32_e32 v132, vcc_lo, 0, v73, vcc_lo
	v_add_co_u32 v133, vcc_lo, v70, s17
	v_add_co_ci_u32_e32 v134, vcc_lo, 0, v71, vcc_lo
	global_load_b32 v131, v[131:132], off
	ds_load_u16 v138, v46 offset:304
	global_load_b32 v133, v[133:134], off
	s_waitcnt vmcnt(0)
	v_ashrrev_i32_e32 v133, v41, v133
	s_delay_alu instid0(VALU_DEP_1) | instskip(SKIP_3) | instid1(VALU_DEP_4)
	v_lshrrev_b32_e32 v139, 8, v133
	v_and_b32_e32 v134, 15, v133
	v_lshrrev_b32_e32 v140, 16, v133
	v_bfe_u32 v133, v133, 24, 4
	v_and_b32_e32 v139, 15, v139
	s_delay_alu instid0(VALU_DEP_4) | instskip(NEXT) | instid1(VALU_DEP_4)
	v_cvt_f16_u16_e64 v132, v134
	v_and_b32_e32 v140, 15, v140
	s_delay_alu instid0(VALU_DEP_4) | instskip(NEXT) | instid1(VALU_DEP_4)
	v_cvt_f16_u16_e64 v133, v133
	v_cvt_f16_u16_e64 v134, v139
	s_delay_alu instid0(VALU_DEP_1) | instskip(NEXT) | instid1(VALU_DEP_4)
	v_pack_b32_f16 v132, v132, v134
	v_cvt_f16_u16_e64 v134, v140
	s_delay_alu instid0(VALU_DEP_2) | instskip(NEXT) | instid1(VALU_DEP_2)
	v_pk_fma_f16 v132, v131, v132, v131 op_sel:[0,0,1] op_sel_hi:[0,1,1]
	v_pack_b32_f16 v133, v134, v133
	s_delay_alu instid0(VALU_DEP_2) | instskip(NEXT) | instid1(VALU_DEP_2)
	v_pk_fma_f16 v134, v132, v130, v135 op_sel_hi:[1,0,1]
	v_pk_fma_f16 v131, v131, v133, v131 op_sel:[0,0,1] op_sel_hi:[0,1,1]
	s_waitcnt lgkmcnt(0)
	v_pk_fma_f16 v135, v132, v138, v136 op_sel_hi:[1,0,1]
	s_delay_alu instid0(VALU_DEP_2)
	v_pk_fma_f16 v136, v131, v130, v137 op_sel_hi:[1,0,1]
	v_add_co_u32 v130, vcc_lo, v68, s17
	v_pk_fma_f16 v10, v131, v138, v10 op_sel_hi:[1,0,1]
	v_add_co_ci_u32_e32 v131, vcc_lo, 0, v69, vcc_lo
	v_add_co_u32 v132, vcc_lo, v66, s17
	v_add_co_ci_u32_e32 v133, vcc_lo, 0, v67, vcc_lo
	global_load_b32 v130, v[130:131], off
	global_load_b32 v132, v[132:133], off
	s_waitcnt vmcnt(0)
	v_ashrrev_i32_e32 v132, v41, v132
	s_delay_alu instid0(VALU_DEP_1) | instskip(SKIP_3) | instid1(VALU_DEP_4)
	v_lshrrev_b32_e32 v137, 8, v132
	v_and_b32_e32 v133, 15, v132
	v_lshrrev_b32_e32 v138, 16, v132
	v_bfe_u32 v132, v132, 24, 4
	v_and_b32_e32 v137, 15, v137
	s_delay_alu instid0(VALU_DEP_4) | instskip(NEXT) | instid1(VALU_DEP_4)
	v_cvt_f16_u16_e64 v131, v133
	v_and_b32_e32 v138, 15, v138
	s_delay_alu instid0(VALU_DEP_4) | instskip(NEXT) | instid1(VALU_DEP_4)
	v_cvt_f16_u16_e64 v132, v132
	v_cvt_f16_u16_e64 v133, v137
	s_delay_alu instid0(VALU_DEP_1) | instskip(NEXT) | instid1(VALU_DEP_4)
	v_pack_b32_f16 v131, v131, v133
	v_cvt_f16_u16_e64 v133, v138
	s_delay_alu instid0(VALU_DEP_2) | instskip(NEXT) | instid1(VALU_DEP_2)
	v_pk_fma_f16 v131, v130, v131, v130 op_sel:[0,0,1] op_sel_hi:[0,1,1]
	v_pack_b32_f16 v132, v133, v132
	s_delay_alu instid0(VALU_DEP_1) | instskip(NEXT) | instid1(VALU_DEP_3)
	v_pk_fma_f16 v130, v130, v132, v130 op_sel:[0,0,1] op_sel_hi:[0,1,1]
	v_pk_fma_f16 v132, v131, v129, v134 op_sel_hi:[1,0,1]
	v_pk_fma_f16 v131, v131, v9, v135 op_sel_hi:[1,0,1]
	s_delay_alu instid0(VALU_DEP_3)
	v_pk_fma_f16 v134, v130, v9, v10 op_sel_hi:[1,0,1]
	v_add_co_u32 v9, vcc_lo, v64, s17
	v_add_co_ci_u32_e32 v10, vcc_lo, 0, v65, vcc_lo
	v_pk_fma_f16 v133, v130, v129, v136 op_sel_hi:[1,0,1]
	v_add_co_u32 v129, vcc_lo, v62, s17
	v_add_co_ci_u32_e32 v130, vcc_lo, 0, v63, vcc_lo
	global_load_b32 v9, v[9:10], off
	global_load_b32 v129, v[129:130], off
	s_waitcnt vmcnt(0)
	v_ashrrev_i32_e32 v129, v41, v129
	s_delay_alu instid0(VALU_DEP_1) | instskip(SKIP_3) | instid1(VALU_DEP_4)
	v_lshrrev_b32_e32 v135, 8, v129
	v_and_b32_e32 v130, 15, v129
	v_lshrrev_b32_e32 v136, 16, v129
	v_bfe_u32 v129, v129, 24, 4
	v_and_b32_e32 v135, 15, v135
	s_delay_alu instid0(VALU_DEP_4) | instskip(NEXT) | instid1(VALU_DEP_4)
	v_cvt_f16_u16_e64 v10, v130
	v_and_b32_e32 v136, 15, v136
	s_delay_alu instid0(VALU_DEP_4) | instskip(NEXT) | instid1(VALU_DEP_4)
	v_cvt_f16_u16_e64 v129, v129
	v_cvt_f16_u16_e64 v130, v135
	s_delay_alu instid0(VALU_DEP_1) | instskip(NEXT) | instid1(VALU_DEP_4)
	v_pack_b32_f16 v10, v10, v130
	v_cvt_f16_u16_e64 v130, v136
	s_delay_alu instid0(VALU_DEP_2) | instskip(NEXT) | instid1(VALU_DEP_2)
	v_pk_fma_f16 v10, v9, v10, v9 op_sel:[0,0,1] op_sel_hi:[0,1,1]
	v_pack_b32_f16 v129, v130, v129
	s_delay_alu instid0(VALU_DEP_1) | instskip(NEXT) | instid1(VALU_DEP_3)
	v_pk_fma_f16 v129, v9, v129, v9 op_sel:[0,0,1] op_sel_hi:[0,1,1]
	v_pk_fma_f16 v9, v10, v128, v132 op_sel_hi:[1,0,1]
	v_pk_fma_f16 v10, v10, v8, v131 op_sel_hi:[1,0,1]
	s_delay_alu instid0(VALU_DEP_3)
	v_pk_fma_f16 v128, v129, v128, v133 op_sel_hi:[1,0,1]
	v_add_co_u32 v133, vcc_lo, v60, s17
	v_pk_fma_f16 v129, v129, v8, v134 op_sel_hi:[1,0,1]
	v_add_co_ci_u32_e32 v134, vcc_lo, 0, v61, vcc_lo
	v_add_co_u32 v130, vcc_lo, v58, s17
	v_add_co_ci_u32_e32 v131, vcc_lo, 0, v59, vcc_lo
	global_load_b32 v133, v[133:134], off
	v_add_co_u32 v48, vcc_lo, v48, s9
	global_load_b32 v8, v[130:131], off
	v_add_co_ci_u32_e32 v49, vcc_lo, 0, v49, vcc_lo
	v_add_co_u32 v50, vcc_lo, v50, s9
	v_add_co_ci_u32_e32 v51, vcc_lo, 0, v51, vcc_lo
	v_add_co_u32 v52, vcc_lo, v52, s9
	;; [unrolled: 2-line block ×38, first 2 shown]
	v_add_co_ci_u32_e32 v125, vcc_lo, s11, v125, vcc_lo
	s_waitcnt vmcnt(0)
	v_ashrrev_i32_e32 v130, v41, v8
	s_delay_alu instid0(VALU_DEP_1) | instskip(SKIP_1) | instid1(VALU_DEP_2)
	v_lshrrev_b32_e32 v8, 8, v130
	v_and_b32_e32 v131, 15, v130
	v_and_b32_e32 v132, 15, v8
	v_lshrrev_b32_e32 v8, 16, v130
	v_bfe_u32 v130, v130, 24, 4
	s_delay_alu instid0(VALU_DEP_4) | instskip(NEXT) | instid1(VALU_DEP_4)
	v_cvt_f16_u16_e64 v131, v131
	v_cvt_f16_u16_e64 v132, v132
	s_delay_alu instid0(VALU_DEP_4) | instskip(NEXT) | instid1(VALU_DEP_4)
	v_and_b32_e32 v8, 15, v8
	v_cvt_f16_u16_e64 v130, v130
	s_delay_alu instid0(VALU_DEP_3) | instskip(NEXT) | instid1(VALU_DEP_3)
	v_pack_b32_f16 v131, v131, v132
	v_cvt_f16_u16_e32 v8, v8
	s_delay_alu instid0(VALU_DEP_2) | instskip(NEXT) | instid1(VALU_DEP_2)
	v_pk_fma_f16 v131, v133, v131, v133 op_sel:[0,0,1] op_sel_hi:[0,1,1]
	v_pack_b32_f16 v8, v8, v130
	s_delay_alu instid0(VALU_DEP_2) | instskip(NEXT) | instid1(VALU_DEP_2)
	v_pk_fma_f16 v10, v131, v11, v10 op_sel_hi:[1,0,1]
	v_pk_fma_f16 v130, v133, v8, v133 op_sel:[0,0,1] op_sel_hi:[0,1,1]
	v_pk_fma_f16 v8, v131, v127, v9 op_sel_hi:[1,0,1]
	s_delay_alu instid0(VALU_DEP_2)
	v_pk_fma_f16 v9, v130, v127, v128 op_sel_hi:[1,0,1]
	v_pk_fma_f16 v11, v130, v11, v129 op_sel_hi:[1,0,1]
	s_cbranch_scc1 .LBB9_37
; %bb.36:                               ;   in Loop: Header=BB9_27 Depth=1
	v_dual_mov_b32 v128, v30 :: v_dual_mov_b32 v127, v31
	s_branch .LBB9_27
.LBB9_37:
	ds_store_b128 v37, v[8:11]
.LBB9_38:
	s_cmp_eq_u64 s[24:25], 0
	s_cselect_b32 s1, -1, 0
	s_cmp_lg_u32 s14, 0
	s_cselect_b32 s4, -1, 0
	s_delay_alu instid0(SALU_CYCLE_1) | instskip(NEXT) | instid1(SALU_CYCLE_1)
	s_or_b32 s1, s4, s1
	s_or_b32 s0, s0, s1
	s_delay_alu instid0(SALU_CYCLE_1) | instskip(NEXT) | instid1(SALU_CYCLE_1)
	s_xor_b32 s0, s0, -1
	s_and_saveexec_b32 s1, s0
	s_cbranch_execz .LBB9_40
; %bb.39:
	s_ashr_i32 s13, s12, 31
	v_cmp_eq_u32_e32 vcc_lo, 1, v33
	s_lshl_b64 s[4:5], s[12:13], 2
	s_delay_alu instid0(SALU_CYCLE_1) | instskip(SKIP_3) | instid1(VALU_DEP_1)
	s_add_u32 s4, s24, s4
	s_addc_u32 s5, s25, s5
	s_load_b32 s0, s[4:5], 0x0
	v_cndmask_b32_e32 v0, v30, v31, vcc_lo
	v_max_f32_e32 v1, v0, v0
	s_waitcnt lgkmcnt(0)
	v_max_f32_e64 v2, s0, s0
	s_delay_alu instid0(VALU_DEP_1) | instskip(NEXT) | instid1(VALU_DEP_1)
	v_max_f32_e32 v2, v2, v1
	v_sub_f32_e32 v3, s0, v2
	v_sub_f32_e32 v4, v0, v2
	s_delay_alu instid0(VALU_DEP_2) | instskip(SKIP_1) | instid1(VALU_DEP_2)
	v_mul_f32_e32 v0, 0x3fb8aa3b, v3
	v_cmp_ngt_f32_e64 s0, 0xc2ce8ed0, v3
	v_fma_f32 v5, 0x3fb8aa3b, v3, -v0
	v_rndne_f32_e32 v6, v0
	s_delay_alu instid0(VALU_DEP_2) | instskip(SKIP_2) | instid1(VALU_DEP_2)
	v_fmac_f32_e32 v5, 0x32a5705f, v3
	v_mul_f32_e32 v1, 0x3fb8aa3b, v4
	v_cndmask_b32_e32 v31, v31, v2, vcc_lo
	v_fma_f32 v7, 0x3fb8aa3b, v4, -v1
	v_rndne_f32_e32 v8, v1
	s_delay_alu instid0(VALU_DEP_2) | instskip(NEXT) | instid1(VALU_DEP_1)
	v_dual_sub_f32 v0, v0, v6 :: v_dual_fmac_f32 v7, 0x32a5705f, v4
	v_dual_sub_f32 v1, v1, v8 :: v_dual_add_f32 v0, v0, v5
	s_delay_alu instid0(VALU_DEP_1) | instskip(NEXT) | instid1(VALU_DEP_2)
	v_add_f32_e32 v1, v1, v7
	v_exp_f32_e32 v0, v0
	v_cvt_i32_f32_e32 v7, v8
	s_delay_alu instid0(VALU_DEP_2)
	v_exp_f32_e32 v5, v1
	v_cvt_i32_f32_e32 v1, v6
	v_lshl_add_u32 v6, v33, 3, v37
	s_waitcnt_depctr 0xfff
	v_ldexp_f32 v8, v0, v1
	ds_load_b64 v[0:1], v6
	v_ldexp_f32 v5, v5, v7
	v_cndmask_b32_e64 v7, 0, v8, s0
	v_cmp_ngt_f32_e64 s0, 0xc2ce8ed0, v4
	s_delay_alu instid0(VALU_DEP_1) | instskip(SKIP_1) | instid1(VALU_DEP_1)
	v_cndmask_b32_e64 v5, 0, v5, s0
	v_cmp_nlt_f32_e64 s0, 0x42b17218, v3
	v_cndmask_b32_e64 v3, 0x7f800000, v7, s0
	v_cmp_nlt_f32_e64 s0, 0x42b17218, v4
	v_cndmask_b32_e32 v7, v28, v29, vcc_lo
	s_delay_alu instid0(VALU_DEP_2) | instskip(SKIP_1) | instid1(VALU_DEP_2)
	v_cndmask_b32_e64 v4, 0x7f800000, v5, s0
	v_cmp_eq_u32_e64 s0, 0, v32
	v_cvt_f16_f32_e32 v5, v4
	s_delay_alu instid0(VALU_DEP_2) | instskip(SKIP_2) | instid1(VALU_DEP_3)
	v_cndmask_b32_e64 v3, 0, v3, s0
	v_cmp_eq_u32_e64 s0, 0, v33
	s_waitcnt lgkmcnt(0)
	v_pk_mul_f16 v0, v5, v0 op_sel_hi:[0,1]
	s_delay_alu instid0(VALU_DEP_3) | instskip(NEXT) | instid1(VALU_DEP_3)
	v_fmac_f32_e32 v3, v7, v4
	v_cndmask_b32_e64 v30, v30, v2, s0
	v_pk_mul_f16 v1, v5, v1 op_sel_hi:[0,1]
	s_delay_alu instid0(VALU_DEP_3)
	v_cndmask_b32_e32 v29, v29, v3, vcc_lo
	v_cndmask_b32_e64 v28, v28, v3, s0
	ds_store_b64 v6, v[0:1]
.LBB9_40:
	s_or_b32 exec_lo, exec_lo, s1
	s_delay_alu instid0(SALU_CYCLE_1)
	s_mov_b32 s0, exec_lo
	v_cmpx_eq_u32_e32 0, v33
	s_cbranch_execz .LBB9_42
; %bb.41:
	v_mov_b32_e32 v0, 0xfeffffff
	v_dual_mov_b32 v2, 0 :: v_dual_add_nc_u32 v1, 0x400, v36
	ds_store_2addr_b32 v1, v0, v0 offset1:32
	ds_store_2addr_b32 v1, v2, v2 offset0:64 offset1:96
.LBB9_42:
	s_or_b32 exec_lo, exec_lo, s0
	v_cmp_eq_u32_e64 s0, 0, v32
	s_waitcnt lgkmcnt(0)
	s_barrier
	buffer_gl0_inv
	s_and_saveexec_b32 s1, s0
	s_cbranch_execz .LBB9_44
; %bb.43:
	v_lshlrev_b32_e32 v0, 2, v33
	s_delay_alu instid0(VALU_DEP_1)
	v_add_nc_u32_e32 v0, 0x400, v0
	ds_store_2addr_b32 v0, v30, v31 offset1:32
.LBB9_44:
	s_or_b32 exec_lo, exec_lo, s1
	s_cmp_lt_i32 s15, s34
	s_waitcnt lgkmcnt(0)
	s_barrier
	buffer_gl0_inv
	s_cbranch_scc1 .LBB9_46
; %bb.45:
	s_add_u32 s4, s2, 0xd0
	s_addc_u32 s5, s3, 0
	s_cbranch_execz .LBB9_47
	s_branch .LBB9_59
.LBB9_46:
                                        ; implicit-def: $sgpr4_sgpr5
.LBB9_47:
	ds_load_b32 v0, v36 offset:1024
	v_xor_b32_e32 v1, 16, v39
	v_xor_b32_e32 v3, 8, v39
	;; [unrolled: 1-line block ×3, first 2 shown]
	v_lshlrev_b32_e32 v13, 3, v32
	s_delay_alu instid0(VALU_DEP_4) | instskip(SKIP_2) | instid1(VALU_DEP_2)
	v_cmp_gt_i32_e32 vcc_lo, 32, v1
	v_cndmask_b32_e32 v1, v39, v1, vcc_lo
	v_cmp_gt_i32_e32 vcc_lo, 32, v3
	v_dual_cndmask_b32 v3, v39, v3 :: v_dual_lshlrev_b32 v2, 2, v1
	v_cmp_gt_i32_e32 vcc_lo, 32, v4
	s_waitcnt lgkmcnt(0)
	ds_bpermute_b32 v1, v2, v0
	v_max_f32_e32 v0, v0, v0
	s_waitcnt lgkmcnt(0)
	v_dual_cndmask_b32 v4, v39, v4 :: v_dual_max_f32 v1, v1, v1
	s_delay_alu instid0(VALU_DEP_1) | instskip(NEXT) | instid1(VALU_DEP_2)
	v_dual_max_f32 v0, v0, v1 :: v_dual_lshlrev_b32 v3, 2, v3
	v_lshlrev_b32_e32 v5, 2, v4
	v_xor_b32_e32 v4, 2, v39
	ds_bpermute_b32 v1, v3, v0
	v_cmp_gt_i32_e32 vcc_lo, 32, v4
	v_cndmask_b32_e32 v4, v39, v4, vcc_lo
	s_delay_alu instid0(VALU_DEP_1) | instskip(SKIP_1) | instid1(VALU_DEP_1)
	v_lshlrev_b32_e32 v6, 2, v4
	v_xor_b32_e32 v4, 1, v39
	v_cmp_gt_i32_e32 vcc_lo, 32, v4
	s_waitcnt lgkmcnt(0)
	v_max_f32_e32 v1, v1, v1
	s_delay_alu instid0(VALU_DEP_1) | instskip(SKIP_3) | instid1(VALU_DEP_1)
	v_max_f32_e32 v0, v0, v1
	ds_bpermute_b32 v1, v5, v0
	s_waitcnt lgkmcnt(0)
	v_max_f32_e32 v1, v1, v1
	v_max_f32_e32 v0, v0, v1
	ds_bpermute_b32 v1, v6, v0
	s_waitcnt lgkmcnt(0)
	v_dual_cndmask_b32 v4, v39, v4 :: v_dual_max_f32 v1, v1, v1
	s_delay_alu instid0(VALU_DEP_1) | instskip(NEXT) | instid1(VALU_DEP_2)
	v_lshlrev_b32_e32 v4, 2, v4
	v_max_f32_e32 v0, v0, v1
	ds_bpermute_b32 v1, v4, v0
	s_waitcnt lgkmcnt(0)
	v_max_f32_e32 v1, v1, v1
	s_delay_alu instid0(VALU_DEP_1) | instskip(NEXT) | instid1(VALU_DEP_1)
	v_max_f32_e32 v0, v0, v1
	v_sub_f32_e32 v1, v30, v0
	s_delay_alu instid0(VALU_DEP_1) | instskip(SKIP_1) | instid1(VALU_DEP_2)
	v_mul_f32_e32 v7, 0x3fb8aa3b, v1
	v_cmp_ngt_f32_e32 vcc_lo, 0xc2ce8ed0, v1
	v_fma_f32 v8, 0x3fb8aa3b, v1, -v7
	v_rndne_f32_e32 v9, v7
	s_delay_alu instid0(VALU_DEP_1) | instskip(NEXT) | instid1(VALU_DEP_1)
	v_dual_fmamk_f32 v8, v1, 0x32a5705f, v8 :: v_dual_sub_f32 v7, v7, v9
	v_add_f32_e32 v7, v7, v8
	v_cvt_i32_f32_e32 v8, v9
	v_and_b32_e32 v9, 0x380, v13
	s_delay_alu instid0(VALU_DEP_3) | instskip(NEXT) | instid1(VALU_DEP_1)
	v_exp_f32_e32 v7, v7
	v_lshl_add_u32 v14, v33, 8, v9
	s_waitcnt_depctr 0xfff
	v_ldexp_f32 v7, v7, v8
	s_delay_alu instid0(VALU_DEP_1) | instskip(SKIP_1) | instid1(VALU_DEP_2)
	v_cndmask_b32_e32 v7, 0, v7, vcc_lo
	v_cmp_nlt_f32_e32 vcc_lo, 0x42b17218, v1
	v_cndmask_b32_e32 v1, 0x7f800000, v7, vcc_lo
	s_delay_alu instid0(VALU_DEP_1)
	v_mul_f32_e32 v7, v28, v1
	ds_bpermute_b32 v7, v2, v7
	s_waitcnt lgkmcnt(0)
	v_fmac_f32_e32 v7, v28, v1
	v_cvt_f16_f32_e32 v1, v1
	ds_bpermute_b32 v8, v3, v7
	s_waitcnt lgkmcnt(0)
	v_add_f32_e32 v7, v7, v8
	ds_bpermute_b32 v8, v5, v7
	s_waitcnt lgkmcnt(0)
	v_add_f32_e32 v7, v7, v8
	;; [unrolled: 3-line block ×3, first 2 shown]
	ds_load_b64 v[7:8], v37
	ds_bpermute_b32 v12, v4, v11
	s_waitcnt lgkmcnt(1)
	v_pk_mul_f16 v9, v1, v7 op_sel_hi:[0,1]
	v_pk_mul_f16 v10, v1, v8 op_sel_hi:[0,1]
	v_and_or_b32 v7, 0x78, v13, v14
	ds_store_b64 v37, v[9:10]
	ds_store_b64 v7, v[9:10]
	s_waitcnt lgkmcnt(2)
	v_add_f32_e32 v28, v11, v12
	s_and_saveexec_b32 s1, s0
	s_cbranch_execz .LBB9_49
; %bb.48:
	v_lshlrev_b32_e32 v1, 2, v33
	ds_store_b32 v1, v28 offset:1280
.LBB9_49:
	s_or_b32 exec_lo, exec_lo, s1
	v_cmp_gt_u32_e64 s1, 64, v34
	s_add_u32 s4, s2, 0xd0
	s_mul_i32 s2, s33, s34
	s_addc_u32 s5, s3, 0
	s_add_i32 s2, s2, s15
	s_waitcnt lgkmcnt(0)
	s_barrier
	buffer_gl0_inv
	s_and_saveexec_b32 s3, s1
	s_cbranch_execz .LBB9_51
; %bb.50:
	ds_load_b32 v1, v36 offset:1280
	ds_load_u16 v8, v35
	ds_load_u16 v9, v35 offset:128
	ds_load_u16 v10, v35 offset:256
	;; [unrolled: 1-line block ×6, first 2 shown]
	s_load_b32 s6, s[4:5], 0x4
	s_mul_i32 s7, s2, s35
	s_waitcnt lgkmcnt(0)
	ds_bpermute_b32 v15, v2, v1
	v_cvt_f32_f16_e32 v8, v8
	v_cvt_f32_f16_e32 v9, v9
	;; [unrolled: 1-line block ×4, first 2 shown]
	s_delay_alu instid0(VALU_DEP_4) | instskip(SKIP_1) | instid1(VALU_DEP_1)
	v_add_f32_e32 v8, 0, v8
	s_cmp_eq_u32 s6, 1
	v_add_f32_e32 v8, v8, v9
	ds_load_u16 v9, v35 offset:896
	v_add_f32_e32 v8, v8, v10
	v_cvt_f32_f16_e32 v10, v12
	v_cvt_f32_f16_e32 v12, v13
	s_waitcnt lgkmcnt(1)
	v_add_f32_e32 v1, v1, v15
	v_add_f32_e32 v8, v8, v11
	ds_bpermute_b32 v15, v3, v1
	v_add_f32_e32 v8, v8, v10
	v_cvt_f32_f16_e32 v10, v14
	s_delay_alu instid0(VALU_DEP_2) | instskip(SKIP_2) | instid1(VALU_DEP_2)
	v_add_f32_e32 v8, v8, v12
	s_waitcnt lgkmcnt(1)
	v_cvt_f32_f16_e32 v9, v9
	v_add_f32_e32 v8, v8, v10
	s_waitcnt lgkmcnt(0)
	s_delay_alu instid0(VALU_DEP_1)
	v_dual_add_f32 v10, v8, v9 :: v_dual_add_f32 v1, v1, v15
	ds_bpermute_b32 v15, v5, v1
	s_waitcnt lgkmcnt(0)
	v_add_f32_e32 v1, v1, v15
	ds_bpermute_b32 v15, v6, v1
	s_waitcnt lgkmcnt(0)
	v_add_f32_e32 v1, v1, v15
	;; [unrolled: 3-line block ×3, first 2 shown]
	s_delay_alu instid0(VALU_DEP_1) | instskip(SKIP_1) | instid1(VALU_DEP_2)
	v_div_scale_f32 v1, null, v28, v28, v10
	v_div_scale_f32 v11, vcc_lo, v10, v28, v10
	v_rcp_f32_e32 v8, v1
	s_waitcnt_depctr 0xfff
	v_fma_f32 v9, -v1, v8, 1.0
	s_delay_alu instid0(VALU_DEP_1) | instskip(NEXT) | instid1(VALU_DEP_1)
	v_fmac_f32_e32 v8, v9, v8
	v_mul_f32_e32 v9, v11, v8
	s_delay_alu instid0(VALU_DEP_1) | instskip(NEXT) | instid1(VALU_DEP_1)
	v_fma_f32 v12, -v1, v9, v11
	v_fmac_f32_e32 v9, v12, v8
	s_delay_alu instid0(VALU_DEP_1) | instskip(NEXT) | instid1(VALU_DEP_1)
	v_fma_f32 v1, -v1, v9, v11
	v_div_fmas_f32 v1, v1, v8, v9
	s_cselect_b32 vcc_lo, -1, 0
	s_add_i32 s7, s7, s12
	v_mov_b32_e32 v9, 0
	s_mul_i32 s6, s6, s7
	v_div_fixup_f32 v1, v1, v28, v10
	s_add_i32 s6, s6, s14
	s_delay_alu instid0(SALU_CYCLE_1) | instskip(NEXT) | instid1(VALU_DEP_2)
	v_lshl_or_b32 v8, s6, 6, v34
	v_cndmask_b32_e32 v1, v10, v1, vcc_lo
	s_delay_alu instid0(VALU_DEP_2) | instskip(NEXT) | instid1(VALU_DEP_1)
	v_lshlrev_b64 v[8:9], 2, v[8:9]
	v_add_co_u32 v8, vcc_lo, s28, v8
	s_delay_alu instid0(VALU_DEP_2)
	v_add_co_ci_u32_e32 v9, vcc_lo, s29, v9, vcc_lo
	global_store_b32 v[8:9], v1, off
.LBB9_51:
	s_or_b32 exec_lo, exec_lo, s3
	s_or_b32 s3, s15, 1
	s_waitcnt_vscnt null, 0x0
	s_cmp_ge_i32 s3, s34
	s_barrier
	buffer_gl0_inv
	s_cbranch_scc1 .LBB9_57
; %bb.52:
	v_or_b32_e32 v1, 0x400, v36
	ds_load_b32 v1, v1 offset:128
	s_waitcnt lgkmcnt(0)
	ds_bpermute_b32 v8, v2, v1
	s_waitcnt lgkmcnt(0)
	v_dual_max_f32 v1, v1, v1 :: v_dual_max_f32 v8, v8, v8
	s_delay_alu instid0(VALU_DEP_1) | instskip(SKIP_3) | instid1(VALU_DEP_1)
	v_max_f32_e32 v1, v1, v8
	ds_bpermute_b32 v8, v3, v1
	s_waitcnt lgkmcnt(0)
	v_max_f32_e32 v8, v8, v8
	v_max_f32_e32 v1, v1, v8
	ds_bpermute_b32 v8, v5, v1
	s_waitcnt lgkmcnt(0)
	v_max_f32_e32 v8, v8, v8
	s_delay_alu instid0(VALU_DEP_1) | instskip(SKIP_3) | instid1(VALU_DEP_1)
	v_max_f32_e32 v1, v1, v8
	ds_bpermute_b32 v8, v6, v1
	s_waitcnt lgkmcnt(0)
	v_max_f32_e32 v8, v8, v8
	v_max_f32_e32 v1, v1, v8
	ds_bpermute_b32 v8, v4, v1
	s_waitcnt lgkmcnt(0)
	v_max_f32_e32 v8, v8, v8
	s_delay_alu instid0(VALU_DEP_1) | instskip(NEXT) | instid1(VALU_DEP_1)
	v_max_f32_e32 v1, v1, v8
	v_sub_f32_e32 v8, v31, v1
	s_delay_alu instid0(VALU_DEP_1) | instskip(SKIP_1) | instid1(VALU_DEP_2)
	v_mul_f32_e32 v9, 0x3fb8aa3b, v8
	v_cmp_ngt_f32_e32 vcc_lo, 0xc2ce8ed0, v8
	v_fma_f32 v10, 0x3fb8aa3b, v8, -v9
	v_rndne_f32_e32 v11, v9
	s_delay_alu instid0(VALU_DEP_1) | instskip(NEXT) | instid1(VALU_DEP_1)
	v_dual_fmamk_f32 v10, v8, 0x32a5705f, v10 :: v_dual_sub_f32 v9, v9, v11
	v_add_f32_e32 v9, v9, v10
	v_cvt_i32_f32_e32 v10, v11
	s_delay_alu instid0(VALU_DEP_2) | instskip(SKIP_2) | instid1(VALU_DEP_1)
	v_exp_f32_e32 v9, v9
	s_waitcnt_depctr 0xfff
	v_ldexp_f32 v9, v9, v10
	v_cndmask_b32_e32 v9, 0, v9, vcc_lo
	v_cmp_nlt_f32_e32 vcc_lo, 0x42b17218, v8
	s_delay_alu instid0(VALU_DEP_2) | instskip(NEXT) | instid1(VALU_DEP_1)
	v_cndmask_b32_e32 v10, 0x7f800000, v9, vcc_lo
	v_mul_f32_e32 v8, v29, v10
	ds_bpermute_b32 v8, v2, v8
	s_waitcnt lgkmcnt(0)
	v_fmac_f32_e32 v8, v29, v10
	v_cvt_f16_f32_e32 v10, v10
	ds_bpermute_b32 v9, v3, v8
	s_waitcnt lgkmcnt(0)
	v_add_f32_e32 v8, v8, v9
	ds_bpermute_b32 v9, v5, v8
	s_waitcnt lgkmcnt(0)
	v_add_f32_e32 v8, v8, v9
	;; [unrolled: 3-line block ×3, first 2 shown]
	ds_load_b64 v[8:9], v37 offset:8
	ds_bpermute_b32 v12, v4, v11
	s_waitcnt lgkmcnt(1)
	v_pk_mul_f16 v8, v10, v8 op_sel_hi:[0,1]
	v_pk_mul_f16 v9, v10, v9 op_sel_hi:[0,1]
	ds_store_b64 v37, v[8:9] offset:8
	ds_store_b64 v7, v[8:9]
	s_waitcnt lgkmcnt(2)
	v_add_f32_e32 v29, v11, v12
	s_and_saveexec_b32 s3, s0
	s_cbranch_execz .LBB9_54
; %bb.53:
	v_lshlrev_b32_e32 v7, 2, v33
	ds_store_b32 v7, v29 offset:1408
.LBB9_54:
	s_or_b32 exec_lo, exec_lo, s3
	s_waitcnt lgkmcnt(0)
	s_barrier
	buffer_gl0_inv
	s_and_saveexec_b32 s0, s1
	s_cbranch_execz .LBB9_56
; %bb.55:
	ds_load_b32 v7, v36 offset:1408
	ds_load_u16 v8, v35
	ds_load_u16 v9, v35 offset:128
	ds_load_u16 v10, v35 offset:256
	;; [unrolled: 1-line block ×6, first 2 shown]
	s_load_b32 s1, s[4:5], 0x4
	s_add_i32 s2, s2, 1
	s_delay_alu instid0(SALU_CYCLE_1) | instskip(NEXT) | instid1(SALU_CYCLE_1)
	s_mul_i32 s2, s2, s35
	s_add_i32 s2, s2, s12
	s_waitcnt lgkmcnt(0)
	ds_bpermute_b32 v2, v2, v7
	s_cmp_eq_u32 s1, 1
	s_mul_i32 s1, s1, s2
	s_waitcnt lgkmcnt(0)
	v_add_f32_e32 v2, v7, v2
	v_cvt_f32_f16_e32 v7, v10
	ds_bpermute_b32 v3, v3, v2
	s_waitcnt lgkmcnt(0)
	v_add_f32_e32 v2, v2, v3
	ds_bpermute_b32 v3, v5, v2
	v_cvt_f32_f16_e32 v5, v8
	v_cvt_f32_f16_e32 v8, v11
	s_waitcnt lgkmcnt(0)
	s_delay_alu instid0(VALU_DEP_2) | instskip(SKIP_2) | instid1(VALU_DEP_1)
	v_dual_add_f32 v5, 0, v5 :: v_dual_add_f32 v2, v2, v3
	ds_bpermute_b32 v3, v6, v2
	v_cvt_f32_f16_e32 v6, v9
	v_add_f32_e32 v5, v5, v6
	ds_load_u16 v6, v35 offset:896
	v_add_f32_e32 v5, v5, v7
	v_cvt_f32_f16_e32 v7, v13
	s_waitcnt lgkmcnt(1)
	s_delay_alu instid0(VALU_DEP_2) | instskip(SKIP_1) | instid1(VALU_DEP_1)
	v_dual_add_f32 v5, v5, v8 :: v_dual_add_f32 v2, v2, v3
	v_cvt_f32_f16_e32 v3, v12
	v_add_f32_e32 v3, v5, v3
	v_cvt_f32_f16_e32 v5, v14
	s_waitcnt lgkmcnt(0)
	v_cvt_f32_f16_e32 v6, v6
	s_delay_alu instid0(VALU_DEP_3) | instskip(NEXT) | instid1(VALU_DEP_1)
	v_add_f32_e32 v3, v3, v7
	v_add_f32_e32 v3, v3, v5
	ds_bpermute_b32 v4, v4, v2
	v_add_f32_e32 v5, v3, v6
	s_waitcnt lgkmcnt(0)
	v_add_f32_e32 v29, v2, v4
	s_delay_alu instid0(VALU_DEP_1) | instskip(SKIP_1) | instid1(VALU_DEP_2)
	v_div_scale_f32 v2, null, v29, v29, v5
	v_div_scale_f32 v6, vcc_lo, v5, v29, v5
	v_rcp_f32_e32 v3, v2
	s_waitcnt_depctr 0xfff
	v_fma_f32 v4, -v2, v3, 1.0
	s_delay_alu instid0(VALU_DEP_1) | instskip(NEXT) | instid1(VALU_DEP_1)
	v_fmac_f32_e32 v3, v4, v3
	v_mul_f32_e32 v4, v6, v3
	s_delay_alu instid0(VALU_DEP_1) | instskip(NEXT) | instid1(VALU_DEP_1)
	v_fma_f32 v7, -v2, v4, v6
	v_fmac_f32_e32 v4, v7, v3
	s_delay_alu instid0(VALU_DEP_1) | instskip(NEXT) | instid1(VALU_DEP_1)
	v_fma_f32 v2, -v2, v4, v6
	v_div_fmas_f32 v2, v2, v3, v4
	s_cselect_b32 vcc_lo, -1, 0
	s_add_i32 s1, s1, s14
	v_mov_b32_e32 v3, 0
	s_delay_alu instid0(VALU_DEP_2) | instskip(SKIP_1) | instid1(VALU_DEP_2)
	v_div_fixup_f32 v4, v2, v29, v5
	v_lshl_or_b32 v2, s1, 6, v34
	v_cndmask_b32_e32 v4, v5, v4, vcc_lo
	s_delay_alu instid0(VALU_DEP_2) | instskip(NEXT) | instid1(VALU_DEP_1)
	v_lshlrev_b64 v[2:3], 2, v[2:3]
	v_add_co_u32 v2, vcc_lo, s28, v2
	s_delay_alu instid0(VALU_DEP_2)
	v_add_co_ci_u32_e32 v3, vcc_lo, s29, v3, vcc_lo
	global_store_b32 v[2:3], v4, off
.LBB9_56:
	s_or_b32 exec_lo, exec_lo, s0
	s_branch .LBB9_58
.LBB9_57:
	v_mov_b32_e32 v1, v31
.LBB9_58:
	s_delay_alu instid0(VALU_DEP_1)
	v_dual_mov_b32 v31, v1 :: v_dual_mov_b32 v30, v0
.LBB9_59:
	s_load_b32 s1, s[4:5], 0x4
	v_or_b32_e32 v0, s15, v32
	v_cmp_gt_u32_e32 vcc_lo, 2, v34
	s_delay_alu instid0(VALU_DEP_2) | instskip(SKIP_3) | instid1(SALU_CYCLE_1)
	v_cmp_gt_i32_e64 s0, s34, v0
	s_waitcnt lgkmcnt(0)
	s_cmp_lg_u32 s1, 1
	s_cselect_b32 s2, -1, 0
	s_and_b32 s2, vcc_lo, s2
	s_delay_alu instid0(SALU_CYCLE_1) | instskip(NEXT) | instid1(SALU_CYCLE_1)
	s_and_b32 s0, s2, s0
	s_and_saveexec_b32 s2, s0
	s_cbranch_execz .LBB9_61
; %bb.60:
	v_mad_u64_u32 v[1:2], null, s33, s34, v[0:1]
	v_cmp_eq_u32_e32 vcc_lo, 1, v34
	s_delay_alu instid0(VALU_DEP_2) | instskip(SKIP_1) | instid1(VALU_DEP_2)
	v_mad_u64_u32 v[2:3], null, v1, s35, s[12:13]
	v_cndmask_b32_e32 v3, v28, v29, vcc_lo
	v_mad_u64_u32 v[0:1], null, s1, v2, s[14:15]
	v_dual_mov_b32 v1, 0 :: v_dual_cndmask_b32 v2, v30, v31
	s_delay_alu instid0(VALU_DEP_1) | instskip(NEXT) | instid1(VALU_DEP_1)
	v_lshlrev_b64 v[0:1], 3, v[0:1]
	v_add_co_u32 v0, vcc_lo, s30, v0
	s_delay_alu instid0(VALU_DEP_2)
	v_add_co_ci_u32_e32 v1, vcc_lo, s31, v1, vcc_lo
	global_store_b64 v[0:1], v[2:3], off
.LBB9_61:
	s_nop 0
	s_sendmsg sendmsg(MSG_DEALLOC_VGPRS)
	s_endpgm
	.section	.rodata,"a",@progbits
	.p2align	6, 0x0
	.amdhsa_kernel _ZL18flash_attn_ext_vecILi64ELi2EL9ggml_type3ELS0_3ELb0EEvPKcS2_S2_S2_S2_PKiPfP15HIP_vector_typeIfLj2EEffffjfiS6_IjLj3EEiiiiiiiiiiiliiliiiiil
		.amdhsa_group_segment_fixed_size 3584
		.amdhsa_private_segment_fixed_size 0
		.amdhsa_kernarg_size 464
		.amdhsa_user_sgpr_count 13
		.amdhsa_user_sgpr_dispatch_ptr 1
		.amdhsa_user_sgpr_queue_ptr 0
		.amdhsa_user_sgpr_kernarg_segment_ptr 1
		.amdhsa_user_sgpr_dispatch_id 0
		.amdhsa_user_sgpr_private_segment_size 0
		.amdhsa_wavefront_size32 1
		.amdhsa_uses_dynamic_stack 0
		.amdhsa_enable_private_segment 0
		.amdhsa_system_sgpr_workgroup_id_x 1
		.amdhsa_system_sgpr_workgroup_id_y 1
		.amdhsa_system_sgpr_workgroup_id_z 1
		.amdhsa_system_sgpr_workgroup_info 0
		.amdhsa_system_vgpr_workitem_id 2
		.amdhsa_next_free_vgpr 158
		.amdhsa_next_free_sgpr 51
		.amdhsa_reserve_vcc 1
		.amdhsa_float_round_mode_32 0
		.amdhsa_float_round_mode_16_64 0
		.amdhsa_float_denorm_mode_32 3
		.amdhsa_float_denorm_mode_16_64 3
		.amdhsa_dx10_clamp 1
		.amdhsa_ieee_mode 1
		.amdhsa_fp16_overflow 0
		.amdhsa_workgroup_processor_mode 1
		.amdhsa_memory_ordered 1
		.amdhsa_forward_progress 0
		.amdhsa_shared_vgpr_count 0
		.amdhsa_exception_fp_ieee_invalid_op 0
		.amdhsa_exception_fp_denorm_src 0
		.amdhsa_exception_fp_ieee_div_zero 0
		.amdhsa_exception_fp_ieee_overflow 0
		.amdhsa_exception_fp_ieee_underflow 0
		.amdhsa_exception_fp_ieee_inexact 0
		.amdhsa_exception_int_div_zero 0
	.end_amdhsa_kernel
	.section	.text._ZL18flash_attn_ext_vecILi64ELi2EL9ggml_type3ELS0_3ELb0EEvPKcS2_S2_S2_S2_PKiPfP15HIP_vector_typeIfLj2EEffffjfiS6_IjLj3EEiiiiiiiiiiiliiliiiiil,"axG",@progbits,_ZL18flash_attn_ext_vecILi64ELi2EL9ggml_type3ELS0_3ELb0EEvPKcS2_S2_S2_S2_PKiPfP15HIP_vector_typeIfLj2EEffffjfiS6_IjLj3EEiiiiiiiiiiiliiliiiiil,comdat
.Lfunc_end9:
	.size	_ZL18flash_attn_ext_vecILi64ELi2EL9ggml_type3ELS0_3ELb0EEvPKcS2_S2_S2_S2_PKiPfP15HIP_vector_typeIfLj2EEffffjfiS6_IjLj3EEiiiiiiiiiiiliiliiiiil, .Lfunc_end9-_ZL18flash_attn_ext_vecILi64ELi2EL9ggml_type3ELS0_3ELb0EEvPKcS2_S2_S2_S2_PKiPfP15HIP_vector_typeIfLj2EEffffjfiS6_IjLj3EEiiiiiiiiiiiliiliiiiil
                                        ; -- End function
	.section	.AMDGPU.csdata,"",@progbits
; Kernel info:
; codeLenInByte = 14760
; NumSgprs: 53
; NumVgprs: 158
; ScratchSize: 0
; MemoryBound: 0
; FloatMode: 240
; IeeeMode: 1
; LDSByteSize: 3584 bytes/workgroup (compile time only)
; SGPRBlocks: 6
; VGPRBlocks: 19
; NumSGPRsForWavesPerEU: 53
; NumVGPRsForWavesPerEU: 158
; Occupancy: 9
; WaveLimiterHint : 0
; COMPUTE_PGM_RSRC2:SCRATCH_EN: 0
; COMPUTE_PGM_RSRC2:USER_SGPR: 13
; COMPUTE_PGM_RSRC2:TRAP_HANDLER: 0
; COMPUTE_PGM_RSRC2:TGID_X_EN: 1
; COMPUTE_PGM_RSRC2:TGID_Y_EN: 1
; COMPUTE_PGM_RSRC2:TGID_Z_EN: 1
; COMPUTE_PGM_RSRC2:TIDIG_COMP_CNT: 2
	.section	.text._ZL25flash_attn_mask_to_KV_maxILi2EEvPK7__half2Piiii,"axG",@progbits,_ZL25flash_attn_mask_to_KV_maxILi2EEvPK7__half2Piiii,comdat
	.globl	_ZL25flash_attn_mask_to_KV_maxILi2EEvPK7__half2Piiii ; -- Begin function _ZL25flash_attn_mask_to_KV_maxILi2EEvPK7__half2Piiii
	.p2align	8
	.type	_ZL25flash_attn_mask_to_KV_maxILi2EEvPK7__half2Piiii,@function
_ZL25flash_attn_mask_to_KV_maxILi2EEvPK7__half2Piiii: ; @_ZL25flash_attn_mask_to_KV_maxILi2EEvPK7__half2Piiii
; %bb.0:
	s_load_b128 s[4:7], s[0:1], 0x0
	s_mov_b32 s2, exec_lo
	v_cmpx_gt_u32_e32 32, v0
	s_cbranch_execz .LBB10_2
; %bb.1:
	v_dual_mov_b32 v2, 1 :: v_dual_lshlrev_b32 v1, 2, v0
	ds_store_b32 v1, v2
.LBB10_2:
	s_or_b32 exec_lo, exec_lo, s2
	s_clause 0x1
	s_load_b128 s[8:11], s[0:1], 0x10
	s_load_b32 s1, s[0:1], 0x20
	v_dual_mov_b32 v2, 0 :: v_dual_and_b32 v1, 31, v0
	v_lshrrev_b32_e32 v3, 3, v0
	s_waitcnt lgkmcnt(0)
	s_barrier
	s_delay_alu instid0(VALU_DEP_2) | instskip(SKIP_4) | instid1(SALU_CYCLE_1)
	v_lshlrev_b32_e32 v4, 2, v1
	buffer_gl0_inv
	s_mul_i32 s0, s14, s9
	s_mul_i32 s2, s15, s10
	s_lshl_b32 s0, s0, 1
	s_add_i32 s2, s2, s0
	v_cmp_eq_u32_e64 s0, 0, v1
	s_ashr_i32 s3, s2, 31
	s_delay_alu instid0(SALU_CYCLE_1) | instskip(NEXT) | instid1(SALU_CYCLE_1)
	s_lshl_b64 s[10:11], s[2:3], 2
	s_add_u32 s3, s4, s10
	s_addc_u32 s4, s5, s11
	s_lshl_b32 s5, s8, 8
	s_branch .LBB10_4
.LBB10_3:                               ;   in Loop: Header=BB10_4 Depth=1
	s_or_b32 exec_lo, exec_lo, s10
	s_waitcnt lgkmcnt(0)
	s_barrier
	buffer_gl0_inv
	ds_load_b32 v1, v4
	s_waitcnt lgkmcnt(0)
	s_barrier
	buffer_gl0_inv
	;;#ASMSTART
	;;#ASMEND
	v_cmp_ne_u32_e32 vcc_lo, 0, v1
	s_cmp_lg_u32 vcc_lo, exec_lo
	s_cselect_b32 s8, -1, 0
	s_delay_alu instid0(SALU_CYCLE_1)
	s_and_b32 vcc_lo, exec_lo, s8
	s_cbranch_vccnz .LBB10_12
.LBB10_4:                               ; =>This Inner Loop Header: Depth=1
	s_mov_b32 s2, s5
	s_addk_i32 s5, 0xff00
	s_delay_alu instid0(SALU_CYCLE_1)
	s_cmp_lt_i32 s5, 0
	s_cbranch_scc1 .LBB10_11
; %bb.5:                                ;   in Loop: Header=BB10_4 Depth=1
	s_lshr_b32 s8, s5, 1
	s_mov_b32 s10, 0
	v_add_nc_u32_e32 v1, s8, v0
	s_delay_alu instid0(VALU_DEP_1) | instskip(NEXT) | instid1(VALU_DEP_1)
	v_lshlrev_b64 v[5:6], 2, v[1:2]
	v_add_co_u32 v5, vcc_lo, s3, v5
	s_delay_alu instid0(VALU_DEP_2) | instskip(SKIP_4) | instid1(VALU_DEP_2)
	v_add_co_ci_u32_e32 v6, vcc_lo, s4, v6, vcc_lo
	global_load_b32 v5, v[5:6], off
	s_waitcnt vmcnt(0)
	v_lshrrev_b32_e32 v6, 16, v5
	v_cmp_class_f16_e64 s8, v5, 0x204
	v_and_b32_e32 v6, 0x7fff, v6
	s_delay_alu instid0(VALU_DEP_1) | instskip(NEXT) | instid1(VALU_DEP_3)
	v_cmp_eq_f16_e32 vcc_lo, 0x7c00, v6
	s_and_b32 s11, s8, vcc_lo
	s_delay_alu instid0(SALU_CYCLE_1)
	s_and_saveexec_b32 s8, s11
	s_cbranch_execz .LBB10_9
; %bb.6:                                ;   in Loop: Header=BB10_4 Depth=1
	v_add_nc_u32_e32 v5, s9, v1
	s_delay_alu instid0(VALU_DEP_1) | instskip(NEXT) | instid1(VALU_DEP_1)
	v_ashrrev_i32_e32 v6, 31, v5
	v_lshlrev_b64 v[5:6], 2, v[5:6]
	s_delay_alu instid0(VALU_DEP_1) | instskip(NEXT) | instid1(VALU_DEP_2)
	v_add_co_u32 v5, vcc_lo, s3, v5
	v_add_co_ci_u32_e32 v6, vcc_lo, s4, v6, vcc_lo
	global_load_b32 v1, v[5:6], off
	s_waitcnt vmcnt(0)
	v_cmp_class_f16_e64 s12, v1, 0x204
	s_delay_alu instid0(VALU_DEP_1)
	s_and_saveexec_b32 s11, s12
; %bb.7:                                ;   in Loop: Header=BB10_4 Depth=1
	v_lshrrev_b32_e32 v1, 16, v1
	s_delay_alu instid0(VALU_DEP_1) | instskip(NEXT) | instid1(VALU_DEP_1)
	v_cmp_class_f16_e64 s10, v1, 0x204
	s_and_b32 s10, s10, exec_lo
; %bb.8:                                ;   in Loop: Header=BB10_4 Depth=1
	s_or_b32 exec_lo, exec_lo, s11
	s_delay_alu instid0(SALU_CYCLE_1)
	s_and_b32 s10, s10, exec_lo
.LBB10_9:                               ;   in Loop: Header=BB10_4 Depth=1
	s_or_b32 exec_lo, exec_lo, s8
	v_cndmask_b32_e64 v1, 0, 1, s10
	;;#ASMSTART
	;;#ASMEND
	s_delay_alu instid0(VALU_DEP_1)
	v_cmp_ne_u32_e32 vcc_lo, 0, v1
	s_mov_b32 s8, exec_lo
	s_and_saveexec_b32 s10, s0
	s_cbranch_execz .LBB10_3
; %bb.10:                               ;   in Loop: Header=BB10_4 Depth=1
	s_cmp_eq_u32 vcc_lo, s8
	s_cselect_b32 s8, -1, 0
	s_delay_alu instid0(SALU_CYCLE_1)
	v_cndmask_b32_e64 v1, 0, 1, s8
	ds_store_b32 v3, v1
	s_branch .LBB10_3
.LBB10_11:                              ;   in Loop: Header=BB10_4 Depth=1
                                        ; implicit-def: $sgpr5
	s_cbranch_execz .LBB10_4
.LBB10_12:
	s_mov_b32 s0, exec_lo
	v_cmpx_eq_u32_e32 0, v0
	s_cbranch_execz .LBB10_14
; %bb.13:
	s_mul_i32 s0, s1, s15
	v_dual_mov_b32 v0, 0 :: v_dual_mov_b32 v1, s2
	s_add_i32 s0, s0, s14
	s_delay_alu instid0(SALU_CYCLE_1) | instskip(NEXT) | instid1(SALU_CYCLE_1)
	s_ashr_i32 s1, s0, 31
	s_lshl_b64 s[0:1], s[0:1], 2
	s_delay_alu instid0(SALU_CYCLE_1)
	s_add_u32 s0, s6, s0
	s_addc_u32 s1, s7, s1
	global_store_b32 v0, v1, s[0:1]
.LBB10_14:
	s_nop 0
	s_sendmsg sendmsg(MSG_DEALLOC_VGPRS)
	s_endpgm
	.section	.rodata,"a",@progbits
	.p2align	6, 0x0
	.amdhsa_kernel _ZL25flash_attn_mask_to_KV_maxILi2EEvPK7__half2Piiii
		.amdhsa_group_segment_fixed_size 128
		.amdhsa_private_segment_fixed_size 0
		.amdhsa_kernarg_size 288
		.amdhsa_user_sgpr_count 14
		.amdhsa_user_sgpr_dispatch_ptr 0
		.amdhsa_user_sgpr_queue_ptr 0
		.amdhsa_user_sgpr_kernarg_segment_ptr 1
		.amdhsa_user_sgpr_dispatch_id 0
		.amdhsa_user_sgpr_private_segment_size 0
		.amdhsa_wavefront_size32 1
		.amdhsa_uses_dynamic_stack 0
		.amdhsa_enable_private_segment 0
		.amdhsa_system_sgpr_workgroup_id_x 1
		.amdhsa_system_sgpr_workgroup_id_y 1
		.amdhsa_system_sgpr_workgroup_id_z 0
		.amdhsa_system_sgpr_workgroup_info 0
		.amdhsa_system_vgpr_workitem_id 0
		.amdhsa_next_free_vgpr 7
		.amdhsa_next_free_sgpr 16
		.amdhsa_reserve_vcc 1
		.amdhsa_float_round_mode_32 0
		.amdhsa_float_round_mode_16_64 0
		.amdhsa_float_denorm_mode_32 3
		.amdhsa_float_denorm_mode_16_64 3
		.amdhsa_dx10_clamp 1
		.amdhsa_ieee_mode 1
		.amdhsa_fp16_overflow 0
		.amdhsa_workgroup_processor_mode 1
		.amdhsa_memory_ordered 1
		.amdhsa_forward_progress 0
		.amdhsa_shared_vgpr_count 0
		.amdhsa_exception_fp_ieee_invalid_op 0
		.amdhsa_exception_fp_denorm_src 0
		.amdhsa_exception_fp_ieee_div_zero 0
		.amdhsa_exception_fp_ieee_overflow 0
		.amdhsa_exception_fp_ieee_underflow 0
		.amdhsa_exception_fp_ieee_inexact 0
		.amdhsa_exception_int_div_zero 0
	.end_amdhsa_kernel
	.section	.text._ZL25flash_attn_mask_to_KV_maxILi2EEvPK7__half2Piiii,"axG",@progbits,_ZL25flash_attn_mask_to_KV_maxILi2EEvPK7__half2Piiii,comdat
.Lfunc_end10:
	.size	_ZL25flash_attn_mask_to_KV_maxILi2EEvPK7__half2Piiii, .Lfunc_end10-_ZL25flash_attn_mask_to_KV_maxILi2EEvPK7__half2Piiii
                                        ; -- End function
	.section	.AMDGPU.csdata,"",@progbits
; Kernel info:
; codeLenInByte = 584
; NumSgprs: 18
; NumVgprs: 7
; ScratchSize: 0
; MemoryBound: 0
; FloatMode: 240
; IeeeMode: 1
; LDSByteSize: 128 bytes/workgroup (compile time only)
; SGPRBlocks: 2
; VGPRBlocks: 0
; NumSGPRsForWavesPerEU: 18
; NumVGPRsForWavesPerEU: 7
; Occupancy: 16
; WaveLimiterHint : 0
; COMPUTE_PGM_RSRC2:SCRATCH_EN: 0
; COMPUTE_PGM_RSRC2:USER_SGPR: 14
; COMPUTE_PGM_RSRC2:TRAP_HANDLER: 0
; COMPUTE_PGM_RSRC2:TGID_X_EN: 1
; COMPUTE_PGM_RSRC2:TGID_Y_EN: 1
; COMPUTE_PGM_RSRC2:TGID_Z_EN: 0
; COMPUTE_PGM_RSRC2:TIDIG_COMP_CNT: 0
	.section	.text._ZL33flash_attn_stream_k_fixup_uniformILi64ELi2ELi1EEvPfPK15HIP_vector_typeIfLj2EEiiiiiiS1_IjLj3EES5_S5_,"axG",@progbits,_ZL33flash_attn_stream_k_fixup_uniformILi64ELi2ELi1EEvPfPK15HIP_vector_typeIfLj2EEiiiiiiS1_IjLj3EES5_S5_,comdat
	.globl	_ZL33flash_attn_stream_k_fixup_uniformILi64ELi2ELi1EEvPfPK15HIP_vector_typeIfLj2EEiiiiiiS1_IjLj3EES5_S5_ ; -- Begin function _ZL33flash_attn_stream_k_fixup_uniformILi64ELi2ELi1EEvPfPK15HIP_vector_typeIfLj2EEiiiiiiS1_IjLj3EES5_S5_
	.p2align	8
	.type	_ZL33flash_attn_stream_k_fixup_uniformILi64ELi2ELi1EEvPfPK15HIP_vector_typeIfLj2EEiiiiiiS1_IjLj3EES5_S5_,@function
_ZL33flash_attn_stream_k_fixup_uniformILi64ELi2ELi1EEvPfPK15HIP_vector_typeIfLj2EEiiiiiiS1_IjLj3EES5_S5_: ; @_ZL33flash_attn_stream_k_fixup_uniformILi64ELi2ELi1EEvPfPK15HIP_vector_typeIfLj2EEiiiiiiS1_IjLj3EES5_S5_
; %bb.0:
	s_clause 0x1
	s_load_b256 s[4:11], s[0:1], 0x1c
	s_load_b128 s[16:19], s[0:1], 0x3c
	s_waitcnt lgkmcnt(0)
	s_mul_hi_u32 s2, s7, s13
	s_delay_alu instid0(SALU_CYCLE_1) | instskip(NEXT) | instid1(SALU_CYCLE_1)
	s_add_i32 s2, s13, s2
	s_lshr_b32 s2, s2, s8
	s_delay_alu instid0(SALU_CYCLE_1) | instskip(SKIP_2) | instid1(SALU_CYCLE_1)
	s_mul_i32 s3, s2, s9
	s_load_b64 s[8:9], s[0:1], 0x10
	s_sub_i32 s7, s13, s3
	s_mul_hi_u32 s3, s7, s10
	s_delay_alu instid0(SALU_CYCLE_1) | instskip(NEXT) | instid1(SALU_CYCLE_1)
	s_add_i32 s3, s7, s3
	s_lshr_b32 s3, s3, s11
	s_delay_alu instid0(SALU_CYCLE_1) | instskip(NEXT) | instid1(SALU_CYCLE_1)
	s_mul_i32 s10, s3, s16
	s_sub_i32 s10, s7, s10
	s_delay_alu instid0(SALU_CYCLE_1) | instskip(NEXT) | instid1(SALU_CYCLE_1)
	s_mul_hi_u32 s7, s10, s17
	s_add_i32 s7, s10, s7
	s_delay_alu instid0(SALU_CYCLE_1) | instskip(NEXT) | instid1(SALU_CYCLE_1)
	s_lshr_b32 s7, s7, s18
	s_mul_i32 s11, s7, s19
	s_delay_alu instid0(SALU_CYCLE_1) | instskip(NEXT) | instid1(SALU_CYCLE_1)
	s_sub_i32 s10, s10, s11
	s_lshl_b32 s11, s10, 1
	s_delay_alu instid0(SALU_CYCLE_1) | instskip(SKIP_4) | instid1(SALU_CYCLE_1)
	s_add_i32 s11, s11, s14
	s_waitcnt lgkmcnt(0)
	s_cmp_lt_i32 s11, s8
	s_cselect_b32 s11, -1, 0
	s_add_i32 s12, s7, s15
	s_cmp_lt_i32 s12, s5
	s_cselect_b32 s12, -1, 0
	s_delay_alu instid0(SALU_CYCLE_1) | instskip(NEXT) | instid1(SALU_CYCLE_1)
	s_and_b32 s11, s11, s12
	s_and_not1_b32 vcc_lo, exec_lo, s11
	s_cbranch_vccnz .LBB11_6
; %bb.1:
	s_mul_i32 s2, s2, s8
	s_mul_i32 s5, s3, s5
	s_add_i32 s2, s2, s14
	s_delay_alu instid0(SALU_CYCLE_1) | instskip(NEXT) | instid1(SALU_CYCLE_1)
	s_mul_i32 s2, s2, s9
	s_add_i32 s8, s2, s15
	s_load_b128 s[0:3], s[0:1], 0x0
	s_add_i32 s5, s8, s5
	s_mul_i32 s8, s9, s10
	s_add_i32 s5, s5, s7
	s_lshl_b32 s7, s8, 7
	s_lshl_b32 s5, s5, 6
	s_add_i32 s10, s14, s15
	s_add_i32 s7, s7, s5
	s_mul_i32 s5, s13, s6
	v_or_b32_e32 v1, s7, v0
	s_add_i32 s9, s5, s6
	s_delay_alu instid0(VALU_DEP_1) | instskip(NEXT) | instid1(VALU_DEP_1)
	v_ashrrev_i32_e32 v2, 31, v1
	v_lshlrev_b64 v[1:2], 2, v[1:2]
	s_waitcnt lgkmcnt(0)
	s_delay_alu instid0(VALU_DEP_1) | instskip(NEXT) | instid1(VALU_DEP_2)
	v_add_co_u32 v1, vcc_lo, s0, v1
	v_add_co_ci_u32_e32 v2, vcc_lo, s1, v2, vcc_lo
	s_lshl_b32 s0, s9, 1
	s_delay_alu instid0(SALU_CYCLE_1) | instskip(SKIP_2) | instid1(SALU_CYCLE_1)
	s_add_i32 s0, s10, s0
	global_load_b32 v5, v[1:2], off
	s_add_i32 s0, s0, -2
	s_ashr_i32 s1, s0, 31
	s_delay_alu instid0(SALU_CYCLE_1) | instskip(NEXT) | instid1(SALU_CYCLE_1)
	s_lshl_b64 s[0:1], s[0:1], 3
	s_add_u32 s0, s2, s0
	s_addc_u32 s1, s3, s1
	s_add_i32 s7, s9, -2
	s_load_b32 s11, s[0:1], 0x4
	s_cmp_lt_i32 s7, s5
	s_cbranch_scc1 .LBB11_4
; %bb.2:
	s_lshl_b32 s14, s4, 3
	s_load_b32 s12, s[0:1], 0x0
	s_ashr_i32 s15, s14, 31
	s_delay_alu instid0(SALU_CYCLE_1) | instskip(NEXT) | instid1(SALU_CYCLE_1)
	s_lshl_b64 s[0:1], s[14:15], 2
	s_add_u32 s7, s2, s0
	s_addc_u32 s8, s3, s1
	s_add_i32 s13, s13, 1
	s_lshl_b32 s1, s10, 6
	s_mul_i32 s0, s6, s13
	s_delay_alu instid0(SALU_CYCLE_1)
	s_lshl_b32 s6, s0, 7
	s_lshl_b32 s0, s0, 1
	s_add_i32 s1, s1, s6
	s_add_i32 s0, s10, s0
	v_or_b32_e32 v0, s1, v0
	s_lshl_b32 s1, s4, 1
	s_waitcnt lgkmcnt(0)
	v_mov_b32_e32 v6, s11
	s_add_i32 s0, s0, s1
	s_add_i32 s4, s9, -1
	v_dual_mov_b32 v0, s12 :: v_dual_add_nc_u32 v3, 0xffffff00, v0
	s_add_i32 s0, s0, -4
.LBB11_3:                               ; =>This Inner Loop Header: Depth=1
	s_delay_alu instid0(VALU_DEP_1) | instskip(SKIP_1) | instid1(SALU_CYCLE_1)
	v_ashrrev_i32_e32 v4, 31, v3
	s_ashr_i32 s1, s0, 31
	s_lshl_b64 s[10:11], s[0:1], 3
	s_delay_alu instid0(SALU_CYCLE_1) | instskip(NEXT) | instid1(VALU_DEP_1)
	s_add_u32 s10, s2, s10
	v_lshlrev_b64 v[7:8], 2, v[3:4]
	s_addc_u32 s11, s3, s11
	s_add_i32 s4, s4, -1
	s_add_i32 s0, s0, -2
	s_cmp_le_i32 s4, s5
	s_load_b64 s[10:11], s[10:11], 0x0
	v_add_co_u32 v7, vcc_lo, s7, v7
	v_add_co_ci_u32_e32 v8, vcc_lo, s8, v8, vcc_lo
	global_load_b32 v4, v[7:8], off
	v_max_f32_e32 v7, v0, v0
	s_waitcnt lgkmcnt(0)
	v_max_f32_e64 v8, s10, s10
	s_delay_alu instid0(VALU_DEP_1) | instskip(NEXT) | instid1(VALU_DEP_1)
	v_max_f32_e32 v7, v7, v8
	v_sub_f32_e32 v8, s10, v7
	s_delay_alu instid0(VALU_DEP_1) | instskip(NEXT) | instid1(VALU_DEP_1)
	v_dual_sub_f32 v0, v0, v7 :: v_dual_mul_f32 v9, 0x3fb8aa3b, v8
	v_fma_f32 v10, 0x3fb8aa3b, v8, -v9
	v_rndne_f32_e32 v11, v9
	s_delay_alu instid0(VALU_DEP_3) | instskip(NEXT) | instid1(VALU_DEP_2)
	v_mul_f32_e32 v12, 0x3fb8aa3b, v0
	v_dual_fmac_f32 v10, 0x32a5705f, v8 :: v_dual_sub_f32 v9, v9, v11
	v_cvt_i32_f32_e32 v11, v11
	s_delay_alu instid0(VALU_DEP_3) | instskip(SKIP_1) | instid1(VALU_DEP_4)
	v_fma_f32 v13, 0x3fb8aa3b, v0, -v12
	v_rndne_f32_e32 v14, v12
	v_add_f32_e32 v9, v9, v10
	v_cmp_ngt_f32_e32 vcc_lo, 0xc2ce8ed0, v8
	s_delay_alu instid0(VALU_DEP_3) | instskip(NEXT) | instid1(VALU_DEP_3)
	v_sub_f32_e32 v10, v12, v14
	v_exp_f32_e32 v9, v9
	s_waitcnt_depctr 0xfff
	v_ldexp_f32 v9, v9, v11
	v_cvt_i32_f32_e32 v11, v14
	s_delay_alu instid0(VALU_DEP_2) | instskip(SKIP_1) | instid1(VALU_DEP_2)
	v_cndmask_b32_e32 v9, 0, v9, vcc_lo
	v_cmp_nlt_f32_e32 vcc_lo, 0x42b17218, v8
	v_cndmask_b32_e32 v9, 0x7f800000, v9, vcc_lo
	v_cmp_ngt_f32_e32 vcc_lo, 0xc2ce8ed0, v0
	v_fmac_f32_e32 v13, 0x32a5705f, v0
	s_delay_alu instid0(VALU_DEP_1) | instskip(NEXT) | instid1(VALU_DEP_1)
	v_add_f32_e32 v10, v10, v13
	v_exp_f32_e32 v10, v10
	s_waitcnt_depctr 0xfff
	v_ldexp_f32 v10, v10, v11
	s_delay_alu instid0(VALU_DEP_1)
	v_dual_mov_b32 v11, v6 :: v_dual_cndmask_b32 v10, 0, v10
	v_cmp_le_f32_e32 vcc_lo, 0xc1a00000, v8
	s_waitcnt vmcnt(1)
	v_dual_cndmask_b32 v8, 0, v9 :: v_dual_mov_b32 v9, v5
	v_cmp_nlt_f32_e32 vcc_lo, 0x42b17218, v0
	v_cndmask_b32_e32 v5, 0x7f800000, v10, vcc_lo
	s_delay_alu instid0(VALU_DEP_3) | instskip(SKIP_2) | instid1(VALU_DEP_3)
	v_mul_f32_e32 v10, s11, v8
	v_cmp_le_f32_e32 vcc_lo, 0xc1a00000, v0
	v_mov_b32_e32 v0, v7
	v_mov_b32_e32 v6, v10
	s_waitcnt vmcnt(0)
	v_dual_cndmask_b32 v12, 0, v5 :: v_dual_mul_f32 v5, v4, v8
	s_delay_alu instid0(VALU_DEP_1) | instskip(NEXT) | instid1(VALU_DEP_2)
	v_dual_fmac_f32 v6, v11, v12 :: v_dual_add_nc_u32 v3, 0xffffff80, v3
	v_fmac_f32_e32 v5, v9, v12
	s_cbranch_scc0 .LBB11_3
	s_branch .LBB11_5
.LBB11_4:
	s_waitcnt lgkmcnt(0)
	v_mov_b32_e32 v6, s11
.LBB11_5:
	s_waitcnt vmcnt(0)
	s_delay_alu instid0(VALU_DEP_1) | instskip(NEXT) | instid1(VALU_DEP_1)
	v_div_scale_f32 v0, null, v6, v6, v5
	v_rcp_f32_e32 v3, v0
	s_waitcnt_depctr 0xfff
	v_fma_f32 v4, -v0, v3, 1.0
	s_delay_alu instid0(VALU_DEP_1) | instskip(SKIP_1) | instid1(VALU_DEP_1)
	v_fmac_f32_e32 v3, v4, v3
	v_div_scale_f32 v4, vcc_lo, v5, v6, v5
	v_mul_f32_e32 v7, v4, v3
	s_delay_alu instid0(VALU_DEP_1) | instskip(NEXT) | instid1(VALU_DEP_1)
	v_fma_f32 v8, -v0, v7, v4
	v_fmac_f32_e32 v7, v8, v3
	s_delay_alu instid0(VALU_DEP_1) | instskip(NEXT) | instid1(VALU_DEP_1)
	v_fma_f32 v0, -v0, v7, v4
	v_div_fmas_f32 v0, v0, v3, v7
	s_delay_alu instid0(VALU_DEP_1)
	v_div_fixup_f32 v0, v0, v6, v5
	global_store_b32 v[1:2], v0, off
.LBB11_6:
	s_nop 0
	s_sendmsg sendmsg(MSG_DEALLOC_VGPRS)
	s_endpgm
	.section	.rodata,"a",@progbits
	.p2align	6, 0x0
	.amdhsa_kernel _ZL33flash_attn_stream_k_fixup_uniformILi64ELi2ELi1EEvPfPK15HIP_vector_typeIfLj2EEiiiiiiS1_IjLj3EES5_S5_
		.amdhsa_group_segment_fixed_size 0
		.amdhsa_private_segment_fixed_size 0
		.amdhsa_kernarg_size 76
		.amdhsa_user_sgpr_count 13
		.amdhsa_user_sgpr_dispatch_ptr 0
		.amdhsa_user_sgpr_queue_ptr 0
		.amdhsa_user_sgpr_kernarg_segment_ptr 1
		.amdhsa_user_sgpr_dispatch_id 0
		.amdhsa_user_sgpr_private_segment_size 0
		.amdhsa_wavefront_size32 1
		.amdhsa_uses_dynamic_stack 0
		.amdhsa_enable_private_segment 0
		.amdhsa_system_sgpr_workgroup_id_x 1
		.amdhsa_system_sgpr_workgroup_id_y 1
		.amdhsa_system_sgpr_workgroup_id_z 1
		.amdhsa_system_sgpr_workgroup_info 0
		.amdhsa_system_vgpr_workitem_id 0
		.amdhsa_next_free_vgpr 15
		.amdhsa_next_free_sgpr 20
		.amdhsa_reserve_vcc 1
		.amdhsa_float_round_mode_32 0
		.amdhsa_float_round_mode_16_64 0
		.amdhsa_float_denorm_mode_32 3
		.amdhsa_float_denorm_mode_16_64 3
		.amdhsa_dx10_clamp 1
		.amdhsa_ieee_mode 1
		.amdhsa_fp16_overflow 0
		.amdhsa_workgroup_processor_mode 1
		.amdhsa_memory_ordered 1
		.amdhsa_forward_progress 0
		.amdhsa_shared_vgpr_count 0
		.amdhsa_exception_fp_ieee_invalid_op 0
		.amdhsa_exception_fp_denorm_src 0
		.amdhsa_exception_fp_ieee_div_zero 0
		.amdhsa_exception_fp_ieee_overflow 0
		.amdhsa_exception_fp_ieee_underflow 0
		.amdhsa_exception_fp_ieee_inexact 0
		.amdhsa_exception_int_div_zero 0
	.end_amdhsa_kernel
	.section	.text._ZL33flash_attn_stream_k_fixup_uniformILi64ELi2ELi1EEvPfPK15HIP_vector_typeIfLj2EEiiiiiiS1_IjLj3EES5_S5_,"axG",@progbits,_ZL33flash_attn_stream_k_fixup_uniformILi64ELi2ELi1EEvPfPK15HIP_vector_typeIfLj2EEiiiiiiS1_IjLj3EES5_S5_,comdat
.Lfunc_end11:
	.size	_ZL33flash_attn_stream_k_fixup_uniformILi64ELi2ELi1EEvPfPK15HIP_vector_typeIfLj2EEiiiiiiS1_IjLj3EES5_S5_, .Lfunc_end11-_ZL33flash_attn_stream_k_fixup_uniformILi64ELi2ELi1EEvPfPK15HIP_vector_typeIfLj2EEiiiiiiS1_IjLj3EES5_S5_
                                        ; -- End function
	.section	.AMDGPU.csdata,"",@progbits
; Kernel info:
; codeLenInByte = 976
; NumSgprs: 22
; NumVgprs: 15
; ScratchSize: 0
; MemoryBound: 0
; FloatMode: 240
; IeeeMode: 1
; LDSByteSize: 0 bytes/workgroup (compile time only)
; SGPRBlocks: 2
; VGPRBlocks: 1
; NumSGPRsForWavesPerEU: 22
; NumVGPRsForWavesPerEU: 15
; Occupancy: 16
; WaveLimiterHint : 0
; COMPUTE_PGM_RSRC2:SCRATCH_EN: 0
; COMPUTE_PGM_RSRC2:USER_SGPR: 13
; COMPUTE_PGM_RSRC2:TRAP_HANDLER: 0
; COMPUTE_PGM_RSRC2:TGID_X_EN: 1
; COMPUTE_PGM_RSRC2:TGID_Y_EN: 1
; COMPUTE_PGM_RSRC2:TGID_Z_EN: 1
; COMPUTE_PGM_RSRC2:TIDIG_COMP_CNT: 0
	.section	.text._ZL33flash_attn_stream_k_fixup_generalILi64ELi2ELi1EEvPfPK15HIP_vector_typeIfLj2EEiiiiS1_IjLj3EES5_S5_S5_,"axG",@progbits,_ZL33flash_attn_stream_k_fixup_generalILi64ELi2ELi1EEvPfPK15HIP_vector_typeIfLj2EEiiiiS1_IjLj3EES5_S5_S5_,comdat
	.globl	_ZL33flash_attn_stream_k_fixup_generalILi64ELi2ELi1EEvPfPK15HIP_vector_typeIfLj2EEiiiiS1_IjLj3EES5_S5_S5_ ; -- Begin function _ZL33flash_attn_stream_k_fixup_generalILi64ELi2ELi1EEvPfPK15HIP_vector_typeIfLj2EEiiiiS1_IjLj3EES5_S5_S5_
	.p2align	8
	.type	_ZL33flash_attn_stream_k_fixup_generalILi64ELi2ELi1EEvPfPK15HIP_vector_typeIfLj2EEiiiiS1_IjLj3EES5_S5_S5_,@function
_ZL33flash_attn_stream_k_fixup_generalILi64ELi2ELi1EEvPfPK15HIP_vector_typeIfLj2EEiiiiS1_IjLj3EES5_S5_S5_: ; @_ZL33flash_attn_stream_k_fixup_generalILi64ELi2ELi1EEvPfPK15HIP_vector_typeIfLj2EEiiiiS1_IjLj3EES5_S5_S5_
; %bb.0:
	s_clause 0x1
	s_load_b128 s[4:7], s[0:1], 0x10
	s_load_b32 s20, s[0:1], 0x50
	s_mov_b32 s2, 0
	s_waitcnt lgkmcnt(0)
	s_mul_hi_i32 s3, s7, s13
	s_mul_i32 s12, s7, s13
	s_cmp_lg_u64 s[2:3], 0
	s_cbranch_scc0 .LBB12_21
; %bb.1:
	v_cvt_f32_ubyte0_e32 v1, 0
	v_cvt_f32_u32_e32 v2, s20
	s_sub_u32 s10, 0, s20
	s_subb_u32 s11, 0, 0
	s_delay_alu instid0(VALU_DEP_1) | instskip(NEXT) | instid1(VALU_DEP_1)
	v_fmamk_f32 v1, v1, 0x4f800000, v2
	v_rcp_f32_e32 v1, v1
	s_waitcnt_depctr 0xfff
	v_mul_f32_e32 v1, 0x5f7ffffc, v1
	s_delay_alu instid0(VALU_DEP_1) | instskip(NEXT) | instid1(VALU_DEP_1)
	v_mul_f32_e32 v2, 0x2f800000, v1
	v_trunc_f32_e32 v2, v2
	s_delay_alu instid0(VALU_DEP_1) | instskip(SKIP_1) | instid1(VALU_DEP_2)
	v_fmamk_f32 v1, v2, 0xcf800000, v1
	v_cvt_u32_f32_e32 v2, v2
	v_cvt_u32_f32_e32 v1, v1
	s_delay_alu instid0(VALU_DEP_2) | instskip(NEXT) | instid1(VALU_DEP_2)
	v_readfirstlane_b32 s8, v2
	v_readfirstlane_b32 s9, v1
	s_delay_alu instid0(VALU_DEP_2) | instskip(NEXT) | instid1(VALU_DEP_1)
	s_mul_i32 s16, s10, s8
	s_mul_hi_u32 s18, s10, s9
	s_mul_i32 s17, s11, s9
	s_add_i32 s16, s18, s16
	s_mul_i32 s19, s10, s9
	s_add_i32 s16, s16, s17
	s_mul_hi_u32 s18, s9, s19
	s_mul_hi_u32 s21, s8, s19
	s_mul_i32 s17, s8, s19
	s_mul_hi_u32 s19, s9, s16
	s_mul_i32 s9, s9, s16
	s_mul_hi_u32 s22, s8, s16
	s_add_u32 s9, s18, s9
	s_addc_u32 s18, 0, s19
	s_add_u32 s9, s9, s17
	s_mul_i32 s16, s8, s16
	s_addc_u32 s9, s18, s21
	s_addc_u32 s17, s22, 0
	s_add_u32 s9, s9, s16
	s_addc_u32 s16, 0, s17
	v_add_co_u32 v1, s9, v1, s9
	s_delay_alu instid0(VALU_DEP_1) | instskip(SKIP_1) | instid1(VALU_DEP_1)
	s_cmp_lg_u32 s9, 0
	s_addc_u32 s8, s8, s16
	v_readfirstlane_b32 s9, v1
	s_mul_i32 s16, s10, s8
	s_delay_alu instid0(VALU_DEP_1)
	s_mul_hi_u32 s17, s10, s9
	s_mul_i32 s11, s11, s9
	s_add_i32 s16, s17, s16
	s_mul_i32 s10, s10, s9
	s_add_i32 s16, s16, s11
	s_mul_hi_u32 s17, s8, s10
	s_mul_i32 s18, s8, s10
	s_mul_hi_u32 s10, s9, s10
	s_mul_hi_u32 s19, s9, s16
	s_mul_i32 s9, s9, s16
	s_mul_hi_u32 s11, s8, s16
	s_add_u32 s9, s10, s9
	s_addc_u32 s10, 0, s19
	s_add_u32 s9, s9, s18
	s_mul_i32 s16, s8, s16
	s_addc_u32 s9, s10, s17
	s_addc_u32 s10, s11, 0
	s_add_u32 s9, s9, s16
	s_addc_u32 s10, 0, s10
	v_add_co_u32 v1, s9, v1, s9
	s_delay_alu instid0(VALU_DEP_1) | instskip(SKIP_2) | instid1(SALU_CYCLE_1)
	s_cmp_lg_u32 s9, 0
	s_addc_u32 s16, s8, s10
	s_ashr_i32 s8, s3, 31
	s_add_u32 s10, s12, s8
	s_addc_u32 s11, s3, s8
	v_readfirstlane_b32 s3, v1
	s_mov_b32 s9, s8
	s_delay_alu instid0(SALU_CYCLE_1) | instskip(NEXT) | instid1(SALU_CYCLE_1)
	s_xor_b64 s[10:11], s[10:11], s[8:9]
	s_mul_i32 s18, s10, s16
	s_delay_alu instid0(VALU_DEP_1)
	s_mul_hi_u32 s19, s10, s3
	s_mul_hi_u32 s17, s10, s16
	;; [unrolled: 1-line block ×3, first 2 shown]
	s_mul_i32 s3, s11, s3
	s_add_u32 s18, s19, s18
	s_addc_u32 s17, 0, s17
	s_mul_hi_u32 s21, s11, s16
	s_add_u32 s3, s18, s3
	s_mul_i32 s16, s11, s16
	s_addc_u32 s3, s17, s22
	s_addc_u32 s17, s21, 0
	s_add_u32 s3, s3, s16
	s_addc_u32 s16, 0, s17
	s_mul_i32 s18, s20, s3
	s_add_u32 s17, s3, 1
	v_sub_co_u32 v1, s10, s10, s18
	s_mul_hi_u32 s18, s20, s3
	s_addc_u32 s19, s16, 0
	s_mul_i32 s21, s20, s16
	s_delay_alu instid0(VALU_DEP_1)
	v_sub_co_u32 v2, s22, v1, s20
	s_add_u32 s23, s3, 2
	s_addc_u32 s24, s16, 0
	s_add_i32 s18, s18, s21
	s_cmp_lg_u32 s10, 0
	v_readfirstlane_b32 s10, v2
	s_subb_u32 s11, s11, s18
	s_cmp_lg_u32 s22, 0
	s_subb_u32 s18, s11, 0
	s_delay_alu instid0(VALU_DEP_1) | instskip(SKIP_4) | instid1(SALU_CYCLE_1)
	s_cmp_ge_u32 s10, s20
	s_cselect_b32 s10, -1, 0
	s_cmp_eq_u32 s18, 0
	v_readfirstlane_b32 s18, v1
	s_cselect_b32 s10, s10, -1
	s_cmp_lg_u32 s10, 0
	s_cselect_b32 s10, s23, s17
	s_cselect_b32 s17, s24, s19
	s_cmp_ge_u32 s18, s20
	s_cselect_b32 s18, -1, 0
	s_cmp_eq_u32 s11, 0
	s_cselect_b32 s11, s18, -1
	s_delay_alu instid0(SALU_CYCLE_1) | instskip(SKIP_2) | instid1(SALU_CYCLE_1)
	s_cmp_lg_u32 s11, 0
	s_cselect_b32 s11, s17, s16
	s_cselect_b32 s10, s10, s3
	s_xor_b64 s[10:11], s[10:11], s[8:9]
	s_delay_alu instid0(SALU_CYCLE_1)
	s_sub_u32 s16, s10, s8
	s_load_b128 s[8:11], s[0:1], 0x44
	s_and_not1_b32 vcc_lo, exec_lo, s2
	s_cbranch_vccnz .LBB12_3
.LBB12_2:
	v_cvt_f32_u32_e32 v1, s20
	s_sub_i32 s3, 0, s20
	s_delay_alu instid0(VALU_DEP_1) | instskip(SKIP_2) | instid1(VALU_DEP_1)
	v_rcp_iflag_f32_e32 v1, v1
	s_waitcnt_depctr 0xfff
	v_mul_f32_e32 v1, 0x4f7ffffe, v1
	v_cvt_u32_f32_e32 v1, v1
	s_delay_alu instid0(VALU_DEP_1) | instskip(NEXT) | instid1(VALU_DEP_1)
	v_readfirstlane_b32 s2, v1
	s_mul_i32 s3, s3, s2
	s_delay_alu instid0(SALU_CYCLE_1) | instskip(NEXT) | instid1(SALU_CYCLE_1)
	s_mul_hi_u32 s3, s2, s3
	s_add_i32 s2, s2, s3
	s_delay_alu instid0(SALU_CYCLE_1) | instskip(NEXT) | instid1(SALU_CYCLE_1)
	s_mul_hi_u32 s2, s12, s2
	s_mul_i32 s3, s2, s20
	s_waitcnt lgkmcnt(0)
	s_add_i32 s11, s2, 1
	s_sub_i32 s3, s12, s3
	s_delay_alu instid0(SALU_CYCLE_1)
	s_sub_i32 s12, s3, s20
	s_cmp_ge_u32 s3, s20
	s_cselect_b32 s2, s11, s2
	s_cselect_b32 s3, s12, s3
	s_add_i32 s11, s2, 1
	s_cmp_ge_u32 s3, s20
	s_cselect_b32 s16, s11, s2
.LBB12_3:
	s_waitcnt lgkmcnt(0)
	s_add_i32 s11, s13, 1
	s_mov_b32 s2, 0
	s_mul_hi_i32 s3, s7, s11
	s_mul_i32 s11, s7, s11
	s_cmp_lg_u64 s[2:3], 0
	s_cbranch_scc0 .LBB12_22
; %bb.4:
	v_cvt_f32_ubyte0_e32 v1, 0
	v_cvt_f32_u32_e32 v2, s20
	s_sub_u32 s18, 0, s20
	s_subb_u32 s19, 0, 0
	s_delay_alu instid0(VALU_DEP_1) | instskip(NEXT) | instid1(VALU_DEP_1)
	v_fmamk_f32 v1, v1, 0x4f800000, v2
	v_rcp_f32_e32 v1, v1
	s_waitcnt_depctr 0xfff
	v_mul_f32_e32 v1, 0x5f7ffffc, v1
	s_delay_alu instid0(VALU_DEP_1) | instskip(NEXT) | instid1(VALU_DEP_1)
	v_mul_f32_e32 v2, 0x2f800000, v1
	v_trunc_f32_e32 v2, v2
	s_delay_alu instid0(VALU_DEP_1) | instskip(SKIP_1) | instid1(VALU_DEP_2)
	v_fmamk_f32 v1, v2, 0xcf800000, v1
	v_cvt_u32_f32_e32 v2, v2
	v_cvt_u32_f32_e32 v1, v1
	s_delay_alu instid0(VALU_DEP_2) | instskip(NEXT) | instid1(VALU_DEP_2)
	v_readfirstlane_b32 s12, v2
	v_readfirstlane_b32 s17, v1
	s_delay_alu instid0(VALU_DEP_2) | instskip(NEXT) | instid1(VALU_DEP_1)
	s_mul_i32 s21, s18, s12
	s_mul_hi_u32 s23, s18, s17
	s_mul_i32 s22, s19, s17
	s_add_i32 s21, s23, s21
	s_mul_i32 s24, s18, s17
	s_add_i32 s21, s21, s22
	s_mul_hi_u32 s23, s17, s24
	s_mul_hi_u32 s25, s12, s24
	s_mul_i32 s22, s12, s24
	s_mul_hi_u32 s24, s17, s21
	s_mul_i32 s17, s17, s21
	s_mul_hi_u32 s26, s12, s21
	s_add_u32 s17, s23, s17
	s_addc_u32 s23, 0, s24
	s_add_u32 s17, s17, s22
	s_mul_i32 s21, s12, s21
	s_addc_u32 s17, s23, s25
	s_addc_u32 s22, s26, 0
	s_add_u32 s17, s17, s21
	s_addc_u32 s21, 0, s22
	v_add_co_u32 v1, s17, v1, s17
	s_delay_alu instid0(VALU_DEP_1) | instskip(SKIP_1) | instid1(VALU_DEP_1)
	s_cmp_lg_u32 s17, 0
	s_addc_u32 s12, s12, s21
	v_readfirstlane_b32 s17, v1
	s_mul_i32 s21, s18, s12
	s_delay_alu instid0(VALU_DEP_1)
	s_mul_hi_u32 s22, s18, s17
	s_mul_i32 s19, s19, s17
	s_add_i32 s21, s22, s21
	s_mul_i32 s18, s18, s17
	s_add_i32 s21, s21, s19
	s_mul_hi_u32 s22, s12, s18
	s_mul_i32 s23, s12, s18
	s_mul_hi_u32 s18, s17, s18
	s_mul_hi_u32 s24, s17, s21
	s_mul_i32 s17, s17, s21
	s_mul_hi_u32 s19, s12, s21
	s_add_u32 s17, s18, s17
	s_addc_u32 s18, 0, s24
	s_add_u32 s17, s17, s23
	s_mul_i32 s21, s12, s21
	s_addc_u32 s17, s18, s22
	s_addc_u32 s18, s19, 0
	s_add_u32 s17, s17, s21
	s_addc_u32 s18, 0, s18
	v_add_co_u32 v1, s17, v1, s17
	s_delay_alu instid0(VALU_DEP_1) | instskip(SKIP_2) | instid1(SALU_CYCLE_1)
	s_cmp_lg_u32 s17, 0
	s_addc_u32 s12, s12, s18
	s_ashr_i32 s18, s3, 31
	s_add_u32 s22, s11, s18
	s_addc_u32 s23, s3, s18
	v_readfirstlane_b32 s3, v1
	s_mov_b32 s19, s18
	s_delay_alu instid0(SALU_CYCLE_1) | instskip(NEXT) | instid1(SALU_CYCLE_1)
	s_xor_b64 s[22:23], s[22:23], s[18:19]
	s_mul_i32 s21, s22, s12
	s_delay_alu instid0(VALU_DEP_1)
	s_mul_hi_u32 s24, s22, s3
	s_mul_hi_u32 s17, s22, s12
	s_mul_hi_u32 s26, s23, s3
	s_mul_i32 s3, s23, s3
	s_add_u32 s21, s24, s21
	s_addc_u32 s17, 0, s17
	s_mul_hi_u32 s25, s23, s12
	s_add_u32 s3, s21, s3
	s_mul_i32 s12, s23, s12
	s_addc_u32 s3, s17, s26
	s_addc_u32 s17, s25, 0
	s_add_u32 s3, s3, s12
	s_addc_u32 s12, 0, s17
	s_mul_i32 s21, s20, s3
	s_add_u32 s17, s3, 1
	v_sub_co_u32 v1, s21, s22, s21
	s_mul_hi_u32 s22, s20, s3
	s_addc_u32 s24, s12, 0
	s_mul_i32 s25, s20, s12
	s_delay_alu instid0(VALU_DEP_1)
	v_sub_co_u32 v2, s26, v1, s20
	s_add_u32 s27, s3, 2
	s_addc_u32 s28, s12, 0
	s_add_i32 s22, s22, s25
	s_cmp_lg_u32 s21, 0
	v_readfirstlane_b32 s21, v2
	s_subb_u32 s22, s23, s22
	s_cmp_lg_u32 s26, 0
	s_subb_u32 s23, s22, 0
	s_delay_alu instid0(VALU_DEP_1) | instskip(SKIP_4) | instid1(SALU_CYCLE_1)
	s_cmp_ge_u32 s21, s20
	s_cselect_b32 s21, -1, 0
	s_cmp_eq_u32 s23, 0
	v_readfirstlane_b32 s23, v1
	s_cselect_b32 s21, s21, -1
	s_cmp_lg_u32 s21, 0
	s_cselect_b32 s17, s27, s17
	s_cselect_b32 s21, s28, s24
	s_cmp_ge_u32 s23, s20
	s_cselect_b32 s23, -1, 0
	s_cmp_eq_u32 s22, 0
	s_cselect_b32 s22, s23, -1
	s_delay_alu instid0(SALU_CYCLE_1) | instskip(SKIP_2) | instid1(SALU_CYCLE_1)
	s_cmp_lg_u32 s22, 0
	s_cselect_b32 s23, s21, s12
	s_cselect_b32 s22, s17, s3
	s_xor_b64 s[22:23], s[22:23], s[18:19]
	s_delay_alu instid0(SALU_CYCLE_1)
	s_sub_u32 s18, s22, s18
	s_and_not1_b32 vcc_lo, exec_lo, s2
	s_cbranch_vccnz .LBB12_6
.LBB12_5:
	v_cvt_f32_u32_e32 v1, s20
	s_sub_i32 s3, 0, s20
	s_delay_alu instid0(VALU_DEP_1) | instskip(SKIP_2) | instid1(VALU_DEP_1)
	v_rcp_iflag_f32_e32 v1, v1
	s_waitcnt_depctr 0xfff
	v_mul_f32_e32 v1, 0x4f7ffffe, v1
	v_cvt_u32_f32_e32 v1, v1
	s_delay_alu instid0(VALU_DEP_1) | instskip(NEXT) | instid1(VALU_DEP_1)
	v_readfirstlane_b32 s2, v1
	s_mul_i32 s3, s3, s2
	s_delay_alu instid0(SALU_CYCLE_1) | instskip(NEXT) | instid1(SALU_CYCLE_1)
	s_mul_hi_u32 s3, s2, s3
	s_add_i32 s2, s2, s3
	s_delay_alu instid0(SALU_CYCLE_1) | instskip(NEXT) | instid1(SALU_CYCLE_1)
	s_mul_hi_u32 s2, s11, s2
	s_mul_i32 s3, s2, s20
	s_delay_alu instid0(SALU_CYCLE_1)
	s_sub_i32 s3, s11, s3
	s_add_i32 s11, s2, 1
	s_sub_i32 s12, s3, s20
	s_cmp_ge_u32 s3, s20
	s_cselect_b32 s2, s11, s2
	s_cselect_b32 s3, s12, s3
	s_add_i32 s11, s2, 1
	s_cmp_ge_u32 s3, s20
	s_cselect_b32 s18, s11, s2
.LBB12_6:
	s_delay_alu instid0(SALU_CYCLE_1) | instskip(SKIP_3) | instid1(SALU_CYCLE_1)
	s_cmp_eq_u32 s16, s18
	s_mul_hi_u32 s2, s16, s8
	s_cselect_b32 s3, -1, 0
	s_add_i32 s2, s2, s16
	s_lshr_b32 s11, s2, s9
	s_delay_alu instid0(SALU_CYCLE_1) | instskip(NEXT) | instid1(SALU_CYCLE_1)
	s_mul_i32 s2, s11, s10
	s_cmp_eq_u32 s2, s16
	s_mul_hi_u32 s2, s18, s8
	s_cselect_b32 s12, -1, 0
	s_add_i32 s2, s2, s18
	s_delay_alu instid0(SALU_CYCLE_1) | instskip(NEXT) | instid1(SALU_CYCLE_1)
	s_lshr_b32 s2, s2, s9
	s_cmp_eq_u32 s11, s2
	s_mul_i32 s2, s2, s10
	s_cselect_b32 s17, -1, 0
	s_cmp_lg_u32 s2, s18
	s_cselect_b32 s2, -1, 0
	s_or_b32 s3, s3, s12
	s_and_b32 s2, s17, s2
	s_delay_alu instid0(SALU_CYCLE_1) | instskip(NEXT) | instid1(SALU_CYCLE_1)
	s_or_b32 s2, s3, s2
	s_and_b32 vcc_lo, exec_lo, s2
	s_cbranch_vccnz .LBB12_24
; %bb.7:
	s_load_b256 s[24:31], s[0:1], 0x20
	s_waitcnt lgkmcnt(0)
	s_mul_hi_u32 s2, s16, s24
	s_delay_alu instid0(SALU_CYCLE_1) | instskip(NEXT) | instid1(SALU_CYCLE_1)
	s_add_i32 s2, s2, s16
	s_lshr_b32 s18, s2, s25
	s_load_b32 s2, s[0:1], 0x40
	s_mul_i32 s3, s18, s26
	s_delay_alu instid0(SALU_CYCLE_1) | instskip(NEXT) | instid1(SALU_CYCLE_1)
	s_sub_i32 s3, s16, s3
	s_mul_hi_u32 s12, s3, s27
	s_delay_alu instid0(SALU_CYCLE_1) | instskip(NEXT) | instid1(SALU_CYCLE_1)
	s_add_i32 s12, s3, s12
	s_lshr_b32 s21, s12, s28
	s_delay_alu instid0(SALU_CYCLE_1) | instskip(NEXT) | instid1(SALU_CYCLE_1)
	s_mul_i32 s12, s21, s29
	s_sub_i32 s3, s3, s12
	s_delay_alu instid0(SALU_CYCLE_1) | instskip(NEXT) | instid1(SALU_CYCLE_1)
	s_mul_hi_u32 s12, s3, s30
	s_add_i32 s12, s3, s12
	s_delay_alu instid0(SALU_CYCLE_1) | instskip(SKIP_3) | instid1(SALU_CYCLE_1)
	s_lshr_b32 s22, s12, s31
	s_mov_b32 s12, 0
	s_waitcnt lgkmcnt(0)
	s_mul_i32 s2, s22, s2
	s_sub_i32 s2, s3, s2
	s_delay_alu instid0(SALU_CYCLE_1) | instskip(NEXT) | instid1(SALU_CYCLE_1)
	s_mul_hi_u32 s3, s2, s8
	s_add_i32 s2, s2, s3
	s_delay_alu instid0(SALU_CYCLE_1) | instskip(NEXT) | instid1(SALU_CYCLE_1)
	s_lshr_b32 s23, s2, s9
	s_lshl_b32 s2, s23, 1
	s_delay_alu instid0(SALU_CYCLE_1) | instskip(NEXT) | instid1(SALU_CYCLE_1)
	s_add_i32 s2, s2, s14
	s_cmp_lt_i32 s2, s4
	s_cselect_b32 s2, -1, 0
	s_add_i32 s3, s22, s15
	s_delay_alu instid0(SALU_CYCLE_1) | instskip(SKIP_1) | instid1(SALU_CYCLE_1)
	s_cmp_lt_i32 s3, s6
	s_cselect_b32 s3, -1, 0
	s_and_b32 s2, s2, s3
	s_delay_alu instid0(SALU_CYCLE_1)
	s_and_not1_b32 vcc_lo, exec_lo, s2
	s_cbranch_vccnz .LBB12_24
; %bb.8:
	s_load_b128 s[0:3], s[0:1], 0x0
	s_lshl_b32 s24, s20, 3
	s_mov_b32 s25, s12
	s_add_i32 s17, s14, s15
	s_lshl_b64 s[24:25], s[24:25], 2
	s_mul_i32 s4, s18, s4
	s_mul_i32 s21, s21, s6
	v_cvt_f32_ubyte0_e32 v4, 0
	v_cvt_f32_u32_e32 v5, s20
	s_waitcnt lgkmcnt(0)
	s_add_u32 s18, s2, s24
	s_addc_u32 s19, s3, s25
	s_add_i32 s4, s4, s14
	s_delay_alu instid0(SALU_CYCLE_1) | instskip(SKIP_4) | instid1(SALU_CYCLE_1)
	s_mul_i32 s4, s4, s5
	s_mul_i32 s5, s5, s23
	s_add_i32 s4, s4, s15
	s_lshl_b32 s5, s5, 7
	s_add_i32 s4, s4, s21
	s_add_i32 s4, s4, s22
	s_delay_alu instid0(SALU_CYCLE_1) | instskip(NEXT) | instid1(SALU_CYCLE_1)
	s_lshl_b32 s4, s4, 6
	s_add_i32 s5, s5, s4
	s_delay_alu instid0(SALU_CYCLE_1) | instskip(SKIP_1) | instid1(VALU_DEP_2)
	v_or_b32_e32 v1, s5, v0
	v_lshl_or_b32 v0, s17, 6, v0
	v_ashrrev_i32_e32 v2, 31, v1
	s_delay_alu instid0(VALU_DEP_1) | instskip(NEXT) | instid1(VALU_DEP_1)
	v_lshlrev_b64 v[1:2], 2, v[1:2]
	v_add_co_u32 v1, vcc_lo, s0, v1
	s_delay_alu instid0(VALU_DEP_2) | instskip(SKIP_1) | instid1(SALU_CYCLE_1)
	v_add_co_ci_u32_e32 v2, vcc_lo, s1, v2, vcc_lo
	s_lshl_b32 s0, s13, 1
	s_add_i32 s0, s0, s17
	global_load_b32 v3, v[1:2], off
	s_ashr_i32 s1, s0, 31
	s_delay_alu instid0(SALU_CYCLE_1) | instskip(NEXT) | instid1(SALU_CYCLE_1)
	s_lshl_b64 s[0:1], s[0:1], 3
	s_add_u32 s0, s2, s0
	s_addc_u32 s1, s3, s1
	s_add_i32 s14, s13, -1
	s_load_b64 s[0:1], s[0:1], 0x0
	v_fmac_f32_e32 v5, 0x4f800000, v4
	s_sub_i32 s6, 0, s20
	s_waitcnt lgkmcnt(0)
	v_mov_b32_e32 v8, s0
	s_delay_alu instid0(VALU_DEP_2) | instskip(SKIP_2) | instid1(VALU_DEP_2)
	v_rcp_f32_e32 v4, v5
	v_cvt_f32_u32_e32 v5, s20
	v_mov_b32_e32 v7, s1
	v_rcp_iflag_f32_e32 v5, v5
	s_waitcnt_depctr 0xfff
	v_mul_f32_e32 v4, 0x5f7ffffc, v4
	s_delay_alu instid0(VALU_DEP_1) | instskip(SKIP_1) | instid1(VALU_DEP_2)
	v_mul_f32_e32 v6, 0x2f800000, v4
	v_mul_f32_e32 v9, 0x4f7ffffe, v5
	v_trunc_f32_e32 v6, v6
	s_delay_alu instid0(VALU_DEP_1) | instskip(SKIP_1) | instid1(VALU_DEP_4)
	v_fmac_f32_e32 v4, 0xcf800000, v6
	v_cvt_u32_f32_e32 v5, v6
	v_cvt_u32_f32_e32 v6, v9
	s_delay_alu instid0(VALU_DEP_3)
	v_cvt_u32_f32_e32 v4, v4
.LBB12_9:                               ; =>This Inner Loop Header: Depth=1
	s_mul_hi_i32 s13, s14, s7
	s_mul_i32 s4, s14, s7
	s_cmp_lg_u64 s[12:13], 0
	s_mov_b32 s5, -1
                                        ; implicit-def: $sgpr0_sgpr1
	s_cbranch_scc0 .LBB12_11
; %bb.10:                               ;   in Loop: Header=BB12_9 Depth=1
	v_readfirstlane_b32 s0, v4
	v_readfirstlane_b32 s1, v5
	s_sub_u32 s5, 0, s20
	s_subb_u32 s15, 0, 0
	s_delay_alu instid0(VALU_DEP_2) | instskip(NEXT) | instid1(VALU_DEP_1)
	s_mul_hi_u32 s21, s5, s0
	s_mul_i32 s22, s5, s1
	s_mul_i32 s23, s15, s0
	s_add_i32 s21, s21, s22
	s_mul_i32 s22, s5, s0
	s_add_i32 s21, s21, s23
	s_mul_hi_u32 s23, s0, s22
	s_mul_i32 s24, s0, s21
	s_mul_hi_u32 s0, s0, s21
	s_add_u32 s23, s23, s24
	s_mul_i32 s25, s1, s22
	s_addc_u32 s0, 0, s0
	s_mul_hi_u32 s22, s1, s22
	s_mul_hi_u32 s24, s1, s21
	s_add_u32 s23, s23, s25
	s_addc_u32 s0, s0, s22
	s_mul_i32 s21, s1, s21
	s_addc_u32 s22, s24, 0
	s_add_u32 s0, s0, s21
	s_addc_u32 s21, 0, s22
	v_add_co_u32 v9, s0, v4, s0
	s_delay_alu instid0(VALU_DEP_1) | instskip(SKIP_1) | instid1(VALU_DEP_1)
	s_cmp_lg_u32 s0, 0
	s_addc_u32 s1, s1, s21
	v_readfirstlane_b32 s0, v9
	s_mul_i32 s21, s5, s1
	s_delay_alu instid0(VALU_DEP_1)
	s_mul_hi_u32 s22, s5, s0
	s_mul_i32 s15, s15, s0
	s_add_i32 s21, s22, s21
	s_mul_i32 s5, s5, s0
	s_add_i32 s21, s21, s15
	s_mul_hi_u32 s15, s1, s5
	s_mul_i32 s23, s1, s5
	s_mul_i32 s24, s0, s21
	s_mul_hi_u32 s5, s0, s5
	s_mul_hi_u32 s0, s0, s21
	s_add_u32 s5, s5, s24
	s_addc_u32 s0, 0, s0
	s_mul_hi_u32 s22, s1, s21
	s_add_u32 s5, s5, s23
	s_addc_u32 s0, s0, s15
	s_mul_i32 s5, s1, s21
	s_addc_u32 s15, s22, 0
	s_add_u32 s0, s0, s5
	s_addc_u32 s5, 0, s15
	v_add_co_u32 v9, s0, v9, s0
	s_delay_alu instid0(VALU_DEP_1) | instskip(SKIP_2) | instid1(SALU_CYCLE_1)
	s_cmp_lg_u32 s0, 0
	s_addc_u32 s5, s1, s5
	s_ashr_i32 s0, s13, 31
	s_add_u32 s22, s4, s0
	s_addc_u32 s23, s13, s0
	v_readfirstlane_b32 s13, v9
	s_mov_b32 s1, s0
	s_delay_alu instid0(SALU_CYCLE_1) | instskip(NEXT) | instid1(SALU_CYCLE_1)
	s_xor_b64 s[22:23], s[22:23], s[0:1]
	s_mul_i32 s15, s22, s5
	s_delay_alu instid0(VALU_DEP_1)
	s_mul_hi_u32 s21, s22, s13
	s_mul_hi_u32 s24, s22, s5
	s_add_u32 s15, s21, s15
	s_mul_i32 s25, s23, s13
	s_addc_u32 s21, 0, s24
	s_mul_hi_u32 s13, s23, s13
	s_mul_hi_u32 s24, s23, s5
	s_add_u32 s15, s15, s25
	s_addc_u32 s13, s21, s13
	s_mul_i32 s5, s23, s5
	s_addc_u32 s15, s24, 0
	s_add_u32 s5, s13, s5
	s_addc_u32 s13, 0, s15
	s_mul_i32 s21, s20, s5
	s_add_u32 s15, s5, 1
	v_sub_co_u32 v9, s21, s22, s21
	s_addc_u32 s22, s13, 0
	s_mul_i32 s25, s20, s13
	s_mul_hi_u32 s27, s20, s5
	s_delay_alu instid0(VALU_DEP_1)
	v_sub_co_u32 v10, s26, v9, s20
	s_add_u32 s24, s5, 2
	s_addc_u32 s28, s13, 0
	s_add_i32 s27, s27, s25
	s_cmp_lg_u32 s21, 0
	v_readfirstlane_b32 s21, v10
	s_subb_u32 s23, s23, s27
	s_cmp_lg_u32 s26, 0
	s_subb_u32 s25, s23, 0
	s_delay_alu instid0(VALU_DEP_1) | instskip(SKIP_4) | instid1(SALU_CYCLE_1)
	s_cmp_ge_u32 s21, s20
	s_cselect_b32 s21, -1, 0
	s_cmp_eq_u32 s25, 0
	v_readfirstlane_b32 s25, v9
	s_cselect_b32 s21, s21, -1
	s_cmp_lg_u32 s21, 0
	s_cselect_b32 s15, s24, s15
	s_cselect_b32 s21, s28, s22
	s_cmp_ge_u32 s25, s20
	s_cselect_b32 s22, -1, 0
	s_cmp_eq_u32 s23, 0
	s_cselect_b32 s22, s22, -1
	s_delay_alu instid0(SALU_CYCLE_1) | instskip(SKIP_4) | instid1(SALU_CYCLE_1)
	s_cmp_lg_u32 s22, 0
	s_cselect_b32 s23, s21, s13
	s_cselect_b32 s22, s15, s5
	s_mov_b32 s5, 0
	s_xor_b64 s[22:23], s[22:23], s[0:1]
	s_sub_u32 s0, s22, s0
.LBB12_11:                              ;   in Loop: Header=BB12_9 Depth=1
	s_and_not1_b32 vcc_lo, exec_lo, s5
	s_cbranch_vccnz .LBB12_13
; %bb.12:                               ;   in Loop: Header=BB12_9 Depth=1
	v_readfirstlane_b32 s0, v6
	s_delay_alu instid0(VALU_DEP_1) | instskip(NEXT) | instid1(SALU_CYCLE_1)
	s_mul_i32 s1, s6, s0
	s_mul_hi_u32 s1, s0, s1
	s_delay_alu instid0(SALU_CYCLE_1) | instskip(NEXT) | instid1(SALU_CYCLE_1)
	s_add_i32 s0, s0, s1
	s_mul_hi_u32 s0, s4, s0
	s_delay_alu instid0(SALU_CYCLE_1) | instskip(NEXT) | instid1(SALU_CYCLE_1)
	s_mul_i32 s1, s0, s20
	s_sub_i32 s1, s4, s1
	s_add_i32 s4, s0, 1
	s_sub_i32 s5, s1, s20
	s_cmp_ge_u32 s1, s20
	s_cselect_b32 s0, s4, s0
	s_cselect_b32 s1, s5, s1
	s_add_i32 s4, s0, 1
	s_cmp_ge_u32 s1, s20
	s_cselect_b32 s0, s4, s0
.LBB12_13:                              ;   in Loop: Header=BB12_9 Depth=1
	s_delay_alu instid0(SALU_CYCLE_1)
	s_cmp_lg_u32 s16, s0
	s_cbranch_scc0 .LBB12_17
; %bb.14:                               ;   in Loop: Header=BB12_9 Depth=1
	s_add_i32 s1, s14, s20
	s_mov_b32 s5, s12
	s_lshl_b32 s1, s1, 1
	s_mov_b32 s15, s16
	s_add_i32 s4, s1, s17
	s_mul_hi_u32 s1, s0, s8
	s_lshl_b64 s[4:5], s[4:5], 3
	s_delay_alu instid0(SALU_CYCLE_1) | instskip(SKIP_2) | instid1(SALU_CYCLE_1)
	s_add_u32 s4, s2, s4
	s_addc_u32 s5, s3, s5
	s_add_i32 s1, s1, s0
	s_lshr_b32 s1, s1, s9
	s_delay_alu instid0(SALU_CYCLE_1) | instskip(NEXT) | instid1(SALU_CYCLE_1)
	s_mul_i32 s13, s1, s10
	s_cmp_eq_u32 s13, s0
	s_cselect_b32 s13, -1, 0
	s_cmp_lt_u32 s1, s11
	s_cselect_b32 s1, -1, 0
	s_delay_alu instid0(SALU_CYCLE_1)
	s_or_b32 s1, s1, s13
	s_mov_b32 s13, -1
	s_and_b32 vcc_lo, exec_lo, s1
	s_mov_b32 s1, s14
	s_cbranch_vccnz .LBB12_16
; %bb.15:                               ;   in Loop: Header=BB12_9 Depth=1
	s_add_i32 s1, s14, -1
	s_mov_b32 s13, 0
	s_mov_b32 s15, s0
.LBB12_16:                              ;   in Loop: Header=BB12_9 Depth=1
	v_lshl_add_u32 v9, s14, 7, v0
	s_load_b64 s[4:5], s[4:5], 0x0
	s_delay_alu instid0(VALU_DEP_1) | instskip(NEXT) | instid1(VALU_DEP_1)
	v_ashrrev_i32_e32 v10, 31, v9
	v_lshlrev_b64 v[9:10], 2, v[9:10]
	s_delay_alu instid0(VALU_DEP_1) | instskip(NEXT) | instid1(VALU_DEP_2)
	v_add_co_u32 v9, vcc_lo, s18, v9
	v_add_co_ci_u32_e32 v10, vcc_lo, s19, v10, vcc_lo
	s_waitcnt lgkmcnt(0)
	v_max_f32_e64 v11, s4, s4
	global_load_b32 v10, v[9:10], off
	v_max_f32_e32 v9, v8, v8
	s_delay_alu instid0(VALU_DEP_1) | instskip(NEXT) | instid1(VALU_DEP_1)
	v_max_f32_e32 v9, v9, v11
	v_sub_f32_e32 v12, v8, v9
	s_delay_alu instid0(VALU_DEP_1) | instskip(NEXT) | instid1(VALU_DEP_1)
	v_dual_mul_f32 v14, 0x3fb8aa3b, v12 :: v_dual_sub_f32 v11, s4, v9
	v_rndne_f32_e32 v18, v14
	s_delay_alu instid0(VALU_DEP_2) | instskip(SKIP_2) | instid1(VALU_DEP_4)
	v_mul_f32_e32 v13, 0x3fb8aa3b, v11
	v_fma_f32 v17, 0x3fb8aa3b, v12, -v14
	v_cmp_ngt_f32_e32 vcc_lo, 0xc2ce8ed0, v11
	v_sub_f32_e32 v14, v14, v18
	s_delay_alu instid0(VALU_DEP_4) | instskip(SKIP_2) | instid1(VALU_DEP_3)
	v_fma_f32 v15, 0x3fb8aa3b, v11, -v13
	v_rndne_f32_e32 v16, v13
	v_fmac_f32_e32 v17, 0x32a5705f, v12
	v_fmac_f32_e32 v15, 0x32a5705f, v11
	s_delay_alu instid0(VALU_DEP_2) | instskip(NEXT) | instid1(VALU_DEP_1)
	v_dual_sub_f32 v13, v13, v16 :: v_dual_add_f32 v14, v14, v17
	v_add_f32_e32 v13, v13, v15
	s_delay_alu instid0(VALU_DEP_2) | instskip(SKIP_2) | instid1(VALU_DEP_3)
	v_exp_f32_e32 v14, v14
	v_cvt_i32_f32_e32 v15, v16
	v_cvt_i32_f32_e32 v16, v18
	v_exp_f32_e32 v13, v13
	s_waitcnt_depctr 0xfff
	v_ldexp_f32 v14, v14, v16
	v_ldexp_f32 v13, v13, v15
	s_delay_alu instid0(VALU_DEP_1) | instskip(SKIP_1) | instid1(VALU_DEP_4)
	v_cndmask_b32_e32 v13, 0, v13, vcc_lo
	v_cmp_ngt_f32_e32 vcc_lo, 0xc2ce8ed0, v12
	v_cndmask_b32_e32 v14, 0, v14, vcc_lo
	v_cmp_nlt_f32_e32 vcc_lo, 0x42b17218, v11
	s_delay_alu instid0(VALU_DEP_4) | instskip(SKIP_1) | instid1(VALU_DEP_4)
	v_cndmask_b32_e32 v13, 0x7f800000, v13, vcc_lo
	v_cmp_nlt_f32_e32 vcc_lo, 0x42b17218, v12
	v_cndmask_b32_e32 v14, 0x7f800000, v14, vcc_lo
	v_cmp_le_f32_e32 vcc_lo, 0xc1a00000, v11
	s_delay_alu instid0(VALU_DEP_4) | instskip(SKIP_1) | instid1(VALU_DEP_4)
	v_cndmask_b32_e32 v11, 0, v13, vcc_lo
	v_cmp_le_f32_e32 vcc_lo, 0xc1a00000, v12
	v_cndmask_b32_e32 v12, 0, v14, vcc_lo
	s_waitcnt vmcnt(0)
	s_delay_alu instid0(VALU_DEP_3) | instskip(NEXT) | instid1(VALU_DEP_1)
	v_mul_f32_e32 v10, v10, v11
	v_dual_mul_f32 v11, s5, v11 :: v_dual_fmac_f32 v10, v3, v12
	s_delay_alu instid0(VALU_DEP_1)
	v_fmac_f32_e32 v11, v7, v12
	s_cbranch_execz .LBB12_18
	s_branch .LBB12_19
.LBB12_17:                              ;   in Loop: Header=BB12_9 Depth=1
                                        ; implicit-def: $sgpr13
                                        ; implicit-def: $vgpr10
                                        ; implicit-def: $vgpr9
                                        ; implicit-def: $vgpr11
                                        ; implicit-def: $sgpr1
                                        ; implicit-def: $sgpr15
.LBB12_18:                              ;   in Loop: Header=BB12_9 Depth=1
	v_mov_b32_e32 v11, v7
	s_waitcnt vmcnt(0)
	v_dual_mov_b32 v9, v8 :: v_dual_mov_b32 v10, v3
	s_add_i32 s1, s14, -1
	s_mov_b32 s13, 0
	s_mov_b32 s15, s16
.LBB12_19:                              ;   in Loop: Header=BB12_9 Depth=1
	s_and_not1_b32 vcc_lo, exec_lo, s13
	s_cbranch_vccz .LBB12_23
; %bb.20:                               ;   in Loop: Header=BB12_9 Depth=1
	v_dual_mov_b32 v7, v11 :: v_dual_mov_b32 v8, v9
	s_waitcnt vmcnt(0)
	v_mov_b32_e32 v3, v10
	s_mov_b32 s16, s15
	s_mov_b32 s14, s1
	s_branch .LBB12_9
.LBB12_21:
                                        ; implicit-def: $sgpr16_sgpr17
	s_load_b128 s[8:11], s[0:1], 0x44
	s_branch .LBB12_2
.LBB12_22:
                                        ; implicit-def: $sgpr18_sgpr19
	s_branch .LBB12_5
.LBB12_23:
	v_div_scale_f32 v0, null, v11, v11, v10
	s_waitcnt vmcnt(0)
	s_delay_alu instid0(VALU_DEP_1) | instskip(SKIP_2) | instid1(VALU_DEP_1)
	v_rcp_f32_e32 v3, v0
	s_waitcnt_depctr 0xfff
	v_fma_f32 v4, -v0, v3, 1.0
	v_fmac_f32_e32 v3, v4, v3
	v_div_scale_f32 v4, vcc_lo, v10, v11, v10
	s_delay_alu instid0(VALU_DEP_1) | instskip(NEXT) | instid1(VALU_DEP_1)
	v_mul_f32_e32 v5, v4, v3
	v_fma_f32 v6, -v0, v5, v4
	s_delay_alu instid0(VALU_DEP_1) | instskip(NEXT) | instid1(VALU_DEP_1)
	v_fmac_f32_e32 v5, v6, v3
	v_fma_f32 v0, -v0, v5, v4
	s_delay_alu instid0(VALU_DEP_1) | instskip(NEXT) | instid1(VALU_DEP_1)
	v_div_fmas_f32 v0, v0, v3, v5
	v_div_fixup_f32 v0, v0, v11, v10
	global_store_b32 v[1:2], v0, off
.LBB12_24:
	s_nop 0
	s_sendmsg sendmsg(MSG_DEALLOC_VGPRS)
	s_endpgm
	.section	.rodata,"a",@progbits
	.p2align	6, 0x0
	.amdhsa_kernel _ZL33flash_attn_stream_k_fixup_generalILi64ELi2ELi1EEvPfPK15HIP_vector_typeIfLj2EEiiiiS1_IjLj3EES5_S5_S5_
		.amdhsa_group_segment_fixed_size 0
		.amdhsa_private_segment_fixed_size 0
		.amdhsa_kernarg_size 336
		.amdhsa_user_sgpr_count 13
		.amdhsa_user_sgpr_dispatch_ptr 0
		.amdhsa_user_sgpr_queue_ptr 0
		.amdhsa_user_sgpr_kernarg_segment_ptr 1
		.amdhsa_user_sgpr_dispatch_id 0
		.amdhsa_user_sgpr_private_segment_size 0
		.amdhsa_wavefront_size32 1
		.amdhsa_uses_dynamic_stack 0
		.amdhsa_enable_private_segment 0
		.amdhsa_system_sgpr_workgroup_id_x 1
		.amdhsa_system_sgpr_workgroup_id_y 1
		.amdhsa_system_sgpr_workgroup_id_z 1
		.amdhsa_system_sgpr_workgroup_info 0
		.amdhsa_system_vgpr_workitem_id 0
		.amdhsa_next_free_vgpr 19
		.amdhsa_next_free_sgpr 32
		.amdhsa_reserve_vcc 1
		.amdhsa_float_round_mode_32 0
		.amdhsa_float_round_mode_16_64 0
		.amdhsa_float_denorm_mode_32 3
		.amdhsa_float_denorm_mode_16_64 3
		.amdhsa_dx10_clamp 1
		.amdhsa_ieee_mode 1
		.amdhsa_fp16_overflow 0
		.amdhsa_workgroup_processor_mode 1
		.amdhsa_memory_ordered 1
		.amdhsa_forward_progress 0
		.amdhsa_shared_vgpr_count 0
		.amdhsa_exception_fp_ieee_invalid_op 0
		.amdhsa_exception_fp_denorm_src 0
		.amdhsa_exception_fp_ieee_div_zero 0
		.amdhsa_exception_fp_ieee_overflow 0
		.amdhsa_exception_fp_ieee_underflow 0
		.amdhsa_exception_fp_ieee_inexact 0
		.amdhsa_exception_int_div_zero 0
	.end_amdhsa_kernel
	.section	.text._ZL33flash_attn_stream_k_fixup_generalILi64ELi2ELi1EEvPfPK15HIP_vector_typeIfLj2EEiiiiS1_IjLj3EES5_S5_S5_,"axG",@progbits,_ZL33flash_attn_stream_k_fixup_generalILi64ELi2ELi1EEvPfPK15HIP_vector_typeIfLj2EEiiiiS1_IjLj3EES5_S5_S5_,comdat
.Lfunc_end12:
	.size	_ZL33flash_attn_stream_k_fixup_generalILi64ELi2ELi1EEvPfPK15HIP_vector_typeIfLj2EEiiiiS1_IjLj3EES5_S5_S5_, .Lfunc_end12-_ZL33flash_attn_stream_k_fixup_generalILi64ELi2ELi1EEvPfPK15HIP_vector_typeIfLj2EEiiiiS1_IjLj3EES5_S5_S5_
                                        ; -- End function
	.section	.AMDGPU.csdata,"",@progbits
; Kernel info:
; codeLenInByte = 3220
; NumSgprs: 34
; NumVgprs: 19
; ScratchSize: 0
; MemoryBound: 0
; FloatMode: 240
; IeeeMode: 1
; LDSByteSize: 0 bytes/workgroup (compile time only)
; SGPRBlocks: 4
; VGPRBlocks: 2
; NumSGPRsForWavesPerEU: 34
; NumVGPRsForWavesPerEU: 19
; Occupancy: 16
; WaveLimiterHint : 0
; COMPUTE_PGM_RSRC2:SCRATCH_EN: 0
; COMPUTE_PGM_RSRC2:USER_SGPR: 13
; COMPUTE_PGM_RSRC2:TRAP_HANDLER: 0
; COMPUTE_PGM_RSRC2:TGID_X_EN: 1
; COMPUTE_PGM_RSRC2:TGID_Y_EN: 1
; COMPUTE_PGM_RSRC2:TGID_Z_EN: 1
; COMPUTE_PGM_RSRC2:TIDIG_COMP_CNT: 0
	.section	.text._ZL18flash_attn_ext_vecILi64ELi2EL9ggml_type3ELS0_3ELb1EEvPKcS2_S2_S2_S2_PKiPfP15HIP_vector_typeIfLj2EEffffjfiS6_IjLj3EEiiiiiiiiiiiliiliiiiil,"axG",@progbits,_ZL18flash_attn_ext_vecILi64ELi2EL9ggml_type3ELS0_3ELb1EEvPKcS2_S2_S2_S2_PKiPfP15HIP_vector_typeIfLj2EEffffjfiS6_IjLj3EEiiiiiiiiiiiliiliiiiil,comdat
	.globl	_ZL18flash_attn_ext_vecILi64ELi2EL9ggml_type3ELS0_3ELb1EEvPKcS2_S2_S2_S2_PKiPfP15HIP_vector_typeIfLj2EEffffjfiS6_IjLj3EEiiiiiiiiiiiliiliiiiil ; -- Begin function _ZL18flash_attn_ext_vecILi64ELi2EL9ggml_type3ELS0_3ELb1EEvPKcS2_S2_S2_S2_PKiPfP15HIP_vector_typeIfLj2EEffffjfiS6_IjLj3EEiiiiiiiiiiiliiliiiiil
	.p2align	8
	.type	_ZL18flash_attn_ext_vecILi64ELi2EL9ggml_type3ELS0_3ELb1EEvPKcS2_S2_S2_S2_PKiPfP15HIP_vector_typeIfLj2EEffffjfiS6_IjLj3EEiiiiiiiiiiiliiliiiiil,@function
_ZL18flash_attn_ext_vecILi64ELi2EL9ggml_type3ELS0_3ELb1EEvPKcS2_S2_S2_S2_PKiPfP15HIP_vector_typeIfLj2EEffffjfiS6_IjLj3EEiiiiiiiiiiiliiliiiiil: ; @_ZL18flash_attn_ext_vecILi64ELi2EL9ggml_type3ELS0_3ELb1EEvPKcS2_S2_S2_S2_PKiPfP15HIP_vector_typeIfLj2EEffffjfiS6_IjLj3EEiiiiiiiiiiiliiliiiiil
; %bb.0:
	s_add_u32 s8, s0, 0xd0
	s_addc_u32 s9, s1, 0
	s_mov_b32 s32, 0
	s_getpc_b64 s[0:1]
	s_add_u32 s0, s0, _ZL14no_device_codePKciS0_iS0_@rel32@lo+4
	s_addc_u32 s1, s1, _ZL14no_device_codePKciS0_iS0_@rel32@hi+12
	s_delay_alu instid0(SALU_CYCLE_1)
	s_swappc_b64 s[30:31], s[0:1]
	.section	.rodata,"a",@progbits
	.p2align	6, 0x0
	.amdhsa_kernel _ZL18flash_attn_ext_vecILi64ELi2EL9ggml_type3ELS0_3ELb1EEvPKcS2_S2_S2_S2_PKiPfP15HIP_vector_typeIfLj2EEffffjfiS6_IjLj3EEiiiiiiiiiiiliiliiiiil
		.amdhsa_group_segment_fixed_size 0
		.amdhsa_private_segment_fixed_size 16
		.amdhsa_kernarg_size 464
		.amdhsa_user_sgpr_count 15
		.amdhsa_user_sgpr_dispatch_ptr 0
		.amdhsa_user_sgpr_queue_ptr 0
		.amdhsa_user_sgpr_kernarg_segment_ptr 1
		.amdhsa_user_sgpr_dispatch_id 0
		.amdhsa_user_sgpr_private_segment_size 0
		.amdhsa_wavefront_size32 1
		.amdhsa_uses_dynamic_stack 0
		.amdhsa_enable_private_segment 1
		.amdhsa_system_sgpr_workgroup_id_x 1
		.amdhsa_system_sgpr_workgroup_id_y 0
		.amdhsa_system_sgpr_workgroup_id_z 0
		.amdhsa_system_sgpr_workgroup_info 0
		.amdhsa_system_vgpr_workitem_id 0
		.amdhsa_next_free_vgpr 37
		.amdhsa_next_free_sgpr 34
		.amdhsa_reserve_vcc 1
		.amdhsa_float_round_mode_32 0
		.amdhsa_float_round_mode_16_64 0
		.amdhsa_float_denorm_mode_32 3
		.amdhsa_float_denorm_mode_16_64 3
		.amdhsa_dx10_clamp 1
		.amdhsa_ieee_mode 1
		.amdhsa_fp16_overflow 0
		.amdhsa_workgroup_processor_mode 1
		.amdhsa_memory_ordered 1
		.amdhsa_forward_progress 0
		.amdhsa_shared_vgpr_count 0
		.amdhsa_exception_fp_ieee_invalid_op 0
		.amdhsa_exception_fp_denorm_src 0
		.amdhsa_exception_fp_ieee_div_zero 0
		.amdhsa_exception_fp_ieee_overflow 0
		.amdhsa_exception_fp_ieee_underflow 0
		.amdhsa_exception_fp_ieee_inexact 0
		.amdhsa_exception_int_div_zero 0
	.end_amdhsa_kernel
	.section	.text._ZL18flash_attn_ext_vecILi64ELi2EL9ggml_type3ELS0_3ELb1EEvPKcS2_S2_S2_S2_PKiPfP15HIP_vector_typeIfLj2EEffffjfiS6_IjLj3EEiiiiiiiiiiiliiliiiiil,"axG",@progbits,_ZL18flash_attn_ext_vecILi64ELi2EL9ggml_type3ELS0_3ELb1EEvPKcS2_S2_S2_S2_PKiPfP15HIP_vector_typeIfLj2EEffffjfiS6_IjLj3EEiiiiiiiiiiiliiliiiiil,comdat
.Lfunc_end13:
	.size	_ZL18flash_attn_ext_vecILi64ELi2EL9ggml_type3ELS0_3ELb1EEvPKcS2_S2_S2_S2_PKiPfP15HIP_vector_typeIfLj2EEffffjfiS6_IjLj3EEiiiiiiiiiiiliiliiiiil, .Lfunc_end13-_ZL18flash_attn_ext_vecILi64ELi2EL9ggml_type3ELS0_3ELb1EEvPKcS2_S2_S2_S2_PKiPfP15HIP_vector_typeIfLj2EEffffjfiS6_IjLj3EEiiiiiiiiiiiliiliiiiil
                                        ; -- End function
	.section	.AMDGPU.csdata,"",@progbits
; Kernel info:
; codeLenInByte = 44
; NumSgprs: 36
; NumVgprs: 37
; ScratchSize: 16
; MemoryBound: 0
; FloatMode: 240
; IeeeMode: 1
; LDSByteSize: 0 bytes/workgroup (compile time only)
; SGPRBlocks: 4
; VGPRBlocks: 4
; NumSGPRsForWavesPerEU: 36
; NumVGPRsForWavesPerEU: 37
; Occupancy: 16
; WaveLimiterHint : 1
; COMPUTE_PGM_RSRC2:SCRATCH_EN: 1
; COMPUTE_PGM_RSRC2:USER_SGPR: 15
; COMPUTE_PGM_RSRC2:TRAP_HANDLER: 0
; COMPUTE_PGM_RSRC2:TGID_X_EN: 1
; COMPUTE_PGM_RSRC2:TGID_Y_EN: 0
; COMPUTE_PGM_RSRC2:TGID_Z_EN: 0
; COMPUTE_PGM_RSRC2:TIDIG_COMP_CNT: 0
	.section	.text._ZL18flash_attn_ext_vecILi128ELi1EL9ggml_type3ELS0_3ELb0EEvPKcS2_S2_S2_S2_PKiPfP15HIP_vector_typeIfLj2EEffffjfiS6_IjLj3EEiiiiiiiiiiiliiliiiiil,"axG",@progbits,_ZL18flash_attn_ext_vecILi128ELi1EL9ggml_type3ELS0_3ELb0EEvPKcS2_S2_S2_S2_PKiPfP15HIP_vector_typeIfLj2EEffffjfiS6_IjLj3EEiiiiiiiiiiiliiliiiiil,comdat
	.globl	_ZL18flash_attn_ext_vecILi128ELi1EL9ggml_type3ELS0_3ELb0EEvPKcS2_S2_S2_S2_PKiPfP15HIP_vector_typeIfLj2EEffffjfiS6_IjLj3EEiiiiiiiiiiiliiliiiiil ; -- Begin function _ZL18flash_attn_ext_vecILi128ELi1EL9ggml_type3ELS0_3ELb0EEvPKcS2_S2_S2_S2_PKiPfP15HIP_vector_typeIfLj2EEffffjfiS6_IjLj3EEiiiiiiiiiiiliiliiiiil
	.p2align	8
	.type	_ZL18flash_attn_ext_vecILi128ELi1EL9ggml_type3ELS0_3ELb0EEvPKcS2_S2_S2_S2_PKiPfP15HIP_vector_typeIfLj2EEffffjfiS6_IjLj3EEiiiiiiiiiiiliiliiiiil,@function
_ZL18flash_attn_ext_vecILi128ELi1EL9ggml_type3ELS0_3ELb0EEvPKcS2_S2_S2_S2_PKiPfP15HIP_vector_typeIfLj2EEffffjfiS6_IjLj3EEiiiiiiiiiiiliiliiiiil: ; @_ZL18flash_attn_ext_vecILi128ELi1EL9ggml_type3ELS0_3ELb0EEvPKcS2_S2_S2_S2_PKiPfP15HIP_vector_typeIfLj2EEffffjfiS6_IjLj3EEiiiiiiiiiiiliiliiiiil
; %bb.0:
	s_clause 0x3
	s_load_b64 s[34:35], s[0:1], 0x64
	s_load_b64 s[38:39], s[0:1], 0x80
	;; [unrolled: 1-line block ×3, first 2 shown]
	s_load_b128 s[8:11], s[0:1], 0x40
	v_mov_b32_e32 v45, 1.0
	s_waitcnt lgkmcnt(0)
	v_cvt_f32_u32_e32 v1, s35
	s_sub_i32 s3, 0, s35
	s_delay_alu instid0(VALU_DEP_1) | instskip(SKIP_2) | instid1(VALU_DEP_1)
	v_rcp_iflag_f32_e32 v1, v1
	s_waitcnt_depctr 0xfff
	v_mul_f32_e32 v1, 0x4f7ffffe, v1
	v_cvt_u32_f32_e32 v1, v1
	s_delay_alu instid0(VALU_DEP_1) | instskip(NEXT) | instid1(VALU_DEP_1)
	v_readfirstlane_b32 s2, v1
	s_mul_i32 s3, s3, s2
	s_delay_alu instid0(SALU_CYCLE_1) | instskip(NEXT) | instid1(SALU_CYCLE_1)
	s_mul_hi_u32 s3, s2, s3
	s_add_i32 s2, s2, s3
	s_delay_alu instid0(SALU_CYCLE_1) | instskip(NEXT) | instid1(SALU_CYCLE_1)
	s_mul_hi_u32 s2, s15, s2
	s_mul_i32 s3, s2, s35
	s_add_i32 s4, s2, 1
	s_sub_i32 s3, s15, s3
	s_delay_alu instid0(SALU_CYCLE_1)
	s_sub_i32 s5, s3, s35
	s_cmp_ge_u32 s3, s35
	s_cselect_b32 s2, s4, s2
	s_cselect_b32 s3, s5, s3
	s_add_i32 s4, s2, 1
	s_cmp_ge_u32 s3, s35
	s_cselect_b32 s12, s4, s2
	s_abs_i32 s2, s39
	s_abs_i32 s6, s35
	v_cvt_f32_u32_e32 v1, s2
	s_sub_i32 s4, 0, s2
	s_xor_b32 s5, s35, s39
	s_delay_alu instid0(SALU_CYCLE_1) | instskip(NEXT) | instid1(VALU_DEP_1)
	s_ashr_i32 s5, s5, 31
	v_rcp_iflag_f32_e32 v1, v1
	s_waitcnt_depctr 0xfff
	v_mul_f32_e32 v1, 0x4f7ffffe, v1
	s_delay_alu instid0(VALU_DEP_1) | instskip(NEXT) | instid1(VALU_DEP_1)
	v_cvt_u32_f32_e32 v1, v1
	v_readfirstlane_b32 s3, v1
	s_delay_alu instid0(VALU_DEP_1) | instskip(NEXT) | instid1(SALU_CYCLE_1)
	s_mul_i32 s4, s4, s3
	s_mul_hi_u32 s4, s3, s4
	s_delay_alu instid0(SALU_CYCLE_1) | instskip(SKIP_4) | instid1(SALU_CYCLE_1)
	s_add_i32 s3, s3, s4
	s_mul_i32 s4, s12, s35
	s_mul_hi_u32 s3, s6, s3
	s_sub_i32 s36, s15, s4
	s_mul_i32 s7, s3, s2
	s_sub_i32 s4, s6, s7
	s_add_i32 s6, s3, 1
	s_sub_i32 s7, s4, s2
	s_cmp_ge_u32 s4, s2
	s_cselect_b32 s3, s6, s3
	s_cselect_b32 s4, s7, s4
	s_add_i32 s6, s3, 1
	s_cmp_ge_u32 s4, s2
	s_cselect_b32 s2, s6, s3
	s_abs_i32 s15, s40
	s_xor_b32 s2, s2, s5
	v_cvt_f32_u32_e32 v1, s15
	s_sub_i32 s6, s2, s5
	s_load_b32 s2, s[0:1], 0x50
	s_abs_i32 s33, s6
	v_cmp_le_f32_e64 s3, s9, 0
	v_cvt_f32_u32_e32 v2, s33
	v_rcp_iflag_f32_e32 v1, v1
	s_sub_i32 s4, 0, s33
	s_abs_i32 s40, s36
	s_and_b32 vcc_lo, exec_lo, s3
	v_rcp_iflag_f32_e32 v2, v2
	s_sub_i32 s3, 0, s15
	s_abs_i32 s39, s12
	s_waitcnt_depctr 0xfff
	v_dual_mul_f32 v1, 0x4f7ffffe, v1 :: v_dual_mul_f32 v2, 0x4f7ffffe, v2
	s_delay_alu instid0(VALU_DEP_1) | instskip(NEXT) | instid1(VALU_DEP_2)
	v_cvt_u32_f32_e32 v1, v1
	v_cvt_u32_f32_e32 v2, v2
	s_delay_alu instid0(VALU_DEP_2) | instskip(NEXT) | instid1(VALU_DEP_2)
	v_readfirstlane_b32 s5, v1
	v_readfirstlane_b32 s7, v2
	s_delay_alu instid0(VALU_DEP_2) | instskip(NEXT) | instid1(SALU_CYCLE_1)
	s_mul_i32 s3, s3, s5
	s_mul_hi_u32 s3, s5, s3
	s_delay_alu instid0(VALU_DEP_1) | instskip(SKIP_2) | instid1(SALU_CYCLE_1)
	s_mul_i32 s4, s4, s7
	s_add_i32 s5, s5, s3
	s_mul_hi_u32 s4, s7, s4
	s_add_i32 s7, s7, s4
	s_cbranch_vccnz .LBB14_2
; %bb.1:
	s_waitcnt lgkmcnt(0)
	s_sub_i32 s3, s36, s2
	s_add_i32 s4, s36, 1
	s_lshl_b32 s3, s3, 1
	v_mov_b32_e32 v1, s10
	s_or_b32 s3, s3, 1
	s_cmp_lt_u32 s36, s2
	s_cselect_b32 vcc_lo, -1, 0
	s_delay_alu instid0(VALU_DEP_1)
	v_cndmask_b32_e32 v3, s11, v1, vcc_lo
	s_and_b32 s2, vcc_lo, exec_lo
	s_cselect_b32 s2, s4, s3
	s_mov_b32 s3, 0x3e76c4e1
	v_cvt_f32_i32_e32 v1, s2
	v_cmp_neq_f32_e32 vcc_lo, 1.0, v3
	s_delay_alu instid0(VALU_DEP_2) | instskip(NEXT) | instid1(VALU_DEP_1)
	v_cndmask_b32_e32 v4, 1.0, v1, vcc_lo
	v_cmp_eq_f32_e32 vcc_lo, 0, v4
	v_cndmask_b32_e64 v5, |v3|, 1.0, vcc_lo
	s_delay_alu instid0(VALU_DEP_1) | instskip(NEXT) | instid1(VALU_DEP_1)
	v_frexp_mant_f32_e32 v1, v5
	v_cmp_gt_f32_e64 s2, 0x3f2aaaab, v1
	s_delay_alu instid0(VALU_DEP_1) | instskip(NEXT) | instid1(VALU_DEP_1)
	v_cndmask_b32_e64 v2, 1.0, 2.0, s2
	v_mul_f32_e32 v1, v1, v2
	s_delay_alu instid0(VALU_DEP_1) | instskip(SKIP_1) | instid1(VALU_DEP_2)
	v_add_f32_e32 v2, 1.0, v1
	v_add_f32_e32 v7, -1.0, v1
	v_rcp_f32_e32 v6, v2
	s_waitcnt_depctr 0xfff
	v_mul_f32_e32 v8, v7, v6
	s_delay_alu instid0(VALU_DEP_1) | instskip(NEXT) | instid1(VALU_DEP_1)
	v_dual_add_f32 v9, -1.0, v2 :: v_dual_mul_f32 v10, v2, v8
	v_sub_f32_e32 v1, v1, v9
	v_cndmask_b32_e64 v3, v3, 1.0, vcc_lo
	s_delay_alu instid0(VALU_DEP_3) | instskip(NEXT) | instid1(VALU_DEP_2)
	v_fma_f32 v2, v8, v2, -v10
	v_cmp_eq_f32_e64 s4, 0, v3
	s_delay_alu instid0(VALU_DEP_2) | instskip(NEXT) | instid1(VALU_DEP_1)
	v_fmac_f32_e32 v2, v8, v1
	v_add_f32_e32 v1, v10, v2
	s_delay_alu instid0(VALU_DEP_1) | instskip(NEXT) | instid1(VALU_DEP_1)
	v_dual_sub_f32 v10, v1, v10 :: v_dual_sub_f32 v9, v7, v1
	v_dual_sub_f32 v2, v10, v2 :: v_dual_sub_f32 v7, v7, v9
	s_delay_alu instid0(VALU_DEP_1) | instskip(NEXT) | instid1(VALU_DEP_1)
	v_sub_f32_e32 v1, v7, v1
	v_add_f32_e32 v1, v2, v1
	s_delay_alu instid0(VALU_DEP_1) | instskip(NEXT) | instid1(VALU_DEP_1)
	v_add_f32_e32 v1, v9, v1
	v_mul_f32_e32 v1, v6, v1
	s_delay_alu instid0(VALU_DEP_1) | instskip(NEXT) | instid1(VALU_DEP_1)
	v_add_f32_e32 v6, v8, v1
	v_sub_f32_e32 v2, v6, v8
	v_mul_f32_e32 v7, v6, v6
	s_delay_alu instid0(VALU_DEP_2) | instskip(NEXT) | instid1(VALU_DEP_2)
	v_sub_f32_e32 v8, v1, v2
	v_fma_f32 v9, v6, v6, -v7
	s_delay_alu instid0(VALU_DEP_2) | instskip(NEXT) | instid1(VALU_DEP_1)
	v_add_f32_e32 v1, v8, v8
	v_fmac_f32_e32 v9, v6, v1
	v_cvt_f64_f32_e32 v[1:2], v5
	s_delay_alu instid0(VALU_DEP_2) | instskip(NEXT) | instid1(VALU_DEP_1)
	v_add_f32_e32 v10, v7, v9
	v_fmaak_f32 v11, s3, v10, 0x3e91f4c4
	v_sub_f32_e32 v7, v10, v7
	v_mul_f32_e32 v14, v6, v10
	s_delay_alu instid0(VALU_DEP_3) | instskip(NEXT) | instid1(VALU_DEP_3)
	v_fmaak_f32 v11, v10, v11, 0x3ecccdef
	v_sub_f32_e32 v7, v9, v7
	s_delay_alu instid0(VALU_DEP_2) | instskip(NEXT) | instid1(VALU_DEP_1)
	v_mul_f32_e32 v12, v10, v11
	v_fma_f32 v9, v10, v11, -v12
	s_delay_alu instid0(VALU_DEP_1) | instskip(NEXT) | instid1(VALU_DEP_1)
	v_fmac_f32_e32 v9, v7, v11
	v_add_f32_e32 v11, v12, v9
	v_frexp_exp_i32_f64_e32 v1, v[1:2]
	s_delay_alu instid0(VALU_DEP_2) | instskip(NEXT) | instid1(VALU_DEP_1)
	v_sub_f32_e32 v12, v11, v12
	v_sub_f32_e32 v2, v9, v12
	v_fma_f32 v12, v10, v6, -v14
	s_delay_alu instid0(VALU_DEP_2) | instskip(NEXT) | instid1(VALU_DEP_2)
	v_add_f32_e32 v2, 0x31739010, v2
	v_dual_add_f32 v13, 0x3f2aaaaa, v11 :: v_dual_fmac_f32 v12, v10, v8
	v_ldexp_f32 v8, v8, 1
	s_delay_alu instid0(VALU_DEP_2) | instskip(NEXT) | instid1(VALU_DEP_1)
	v_dual_add_f32 v9, 0xbf2aaaaa, v13 :: v_dual_fmac_f32 v12, v7, v6
	v_sub_f32_e32 v9, v11, v9
	s_delay_alu instid0(VALU_DEP_1) | instskip(NEXT) | instid1(VALU_DEP_3)
	v_add_f32_e32 v2, v2, v9
	v_add_f32_e32 v9, v14, v12
	s_delay_alu instid0(VALU_DEP_2) | instskip(NEXT) | instid1(VALU_DEP_1)
	v_add_f32_e32 v7, v13, v2
	v_sub_f32_e32 v10, v13, v7
	s_delay_alu instid0(VALU_DEP_3) | instskip(SKIP_2) | instid1(VALU_DEP_4)
	v_mul_f32_e32 v11, v9, v7
	v_sub_f32_e32 v13, v9, v14
	v_subrev_co_ci_u32_e64 v1, s2, 0, v1, s2
	v_add_f32_e32 v2, v2, v10
	s_delay_alu instid0(VALU_DEP_4) | instskip(NEXT) | instid1(VALU_DEP_4)
	v_fma_f32 v10, v9, v7, -v11
	v_sub_f32_e32 v12, v12, v13
	s_delay_alu instid0(VALU_DEP_4) | instskip(NEXT) | instid1(VALU_DEP_3)
	v_cvt_f32_i32_e32 v1, v1
	v_fmac_f32_e32 v10, v9, v2
	v_ldexp_f32 v2, v6, 1
	s_delay_alu instid0(VALU_DEP_2) | instskip(NEXT) | instid1(VALU_DEP_1)
	v_fmac_f32_e32 v10, v12, v7
	v_add_f32_e32 v6, v11, v10
	s_delay_alu instid0(VALU_DEP_1) | instskip(NEXT) | instid1(VALU_DEP_1)
	v_add_f32_e32 v7, v2, v6
	v_dual_sub_f32 v2, v7, v2 :: v_dual_sub_f32 v9, v6, v11
	s_delay_alu instid0(VALU_DEP_1) | instskip(NEXT) | instid1(VALU_DEP_2)
	v_sub_f32_e32 v2, v6, v2
	v_sub_f32_e32 v9, v10, v9
	s_delay_alu instid0(VALU_DEP_1) | instskip(NEXT) | instid1(VALU_DEP_1)
	v_add_f32_e32 v6, v8, v9
	v_dual_mul_f32 v11, 0x3f317218, v1 :: v_dual_add_f32 v2, v6, v2
	s_delay_alu instid0(VALU_DEP_1) | instskip(NEXT) | instid1(VALU_DEP_2)
	v_fma_f32 v10, 0x3f317218, v1, -v11
	v_add_f32_e32 v8, v7, v2
	s_delay_alu instid0(VALU_DEP_1) | instskip(NEXT) | instid1(VALU_DEP_1)
	v_sub_f32_e32 v7, v8, v7
	v_dual_fmamk_f32 v1, v1, 0xb102e308, v10 :: v_dual_sub_f32 v2, v2, v7
	s_delay_alu instid0(VALU_DEP_1) | instskip(NEXT) | instid1(VALU_DEP_1)
	v_add_f32_e32 v6, v11, v1
	v_add_f32_e32 v9, v6, v8
	s_delay_alu instid0(VALU_DEP_1) | instskip(NEXT) | instid1(VALU_DEP_1)
	v_dual_sub_f32 v11, v6, v11 :: v_dual_sub_f32 v10, v9, v6
	v_sub_f32_e32 v12, v9, v10
	s_delay_alu instid0(VALU_DEP_2) | instskip(NEXT) | instid1(VALU_DEP_2)
	v_sub_f32_e32 v1, v1, v11
	v_dual_sub_f32 v7, v8, v10 :: v_dual_sub_f32 v6, v6, v12
	s_delay_alu instid0(VALU_DEP_2) | instskip(NEXT) | instid1(VALU_DEP_2)
	v_add_f32_e32 v8, v1, v2
	v_add_f32_e32 v6, v7, v6
	s_delay_alu instid0(VALU_DEP_1) | instskip(NEXT) | instid1(VALU_DEP_1)
	v_add_f32_e32 v6, v8, v6
	v_dual_sub_f32 v7, v8, v1 :: v_dual_add_f32 v10, v9, v6
	s_delay_alu instid0(VALU_DEP_1) | instskip(SKIP_1) | instid1(VALU_DEP_3)
	v_sub_f32_e32 v8, v8, v7
	v_sub_f32_e32 v2, v2, v7
	v_sub_f32_e32 v7, v10, v9
	s_delay_alu instid0(VALU_DEP_3) | instskip(NEXT) | instid1(VALU_DEP_1)
	v_sub_f32_e32 v1, v1, v8
	v_add_f32_e32 v1, v2, v1
	s_delay_alu instid0(VALU_DEP_3) | instskip(NEXT) | instid1(VALU_DEP_1)
	v_sub_f32_e32 v2, v6, v7
	v_add_f32_e32 v1, v1, v2
	s_delay_alu instid0(VALU_DEP_1) | instskip(NEXT) | instid1(VALU_DEP_1)
	v_add_f32_e32 v2, v10, v1
	v_mul_f32_e32 v7, v4, v2
	v_sub_f32_e32 v6, v2, v10
	s_delay_alu instid0(VALU_DEP_2) | instskip(NEXT) | instid1(VALU_DEP_2)
	v_fma_f32 v2, v4, v2, -v7
	v_sub_f32_e32 v1, v1, v6
	v_cmp_class_f32_e64 s2, v7, 0x204
	s_delay_alu instid0(VALU_DEP_2) | instskip(NEXT) | instid1(VALU_DEP_1)
	v_fmac_f32_e32 v2, v4, v1
	v_add_f32_e32 v1, v7, v2
	s_delay_alu instid0(VALU_DEP_1) | instskip(NEXT) | instid1(VALU_DEP_1)
	v_cndmask_b32_e64 v6, v1, v7, s2
	v_cmp_eq_f32_e64 s2, 0x42b17218, v6
	s_delay_alu instid0(VALU_DEP_1) | instskip(SKIP_1) | instid1(VALU_DEP_2)
	v_cndmask_b32_e64 v8, 0, 0x37000000, s2
	v_cmp_neq_f32_e64 s2, 0x7f800000, |v6|
	v_sub_f32_e32 v9, v6, v8
	v_trunc_f32_e32 v6, v4
	s_delay_alu instid0(VALU_DEP_2) | instskip(NEXT) | instid1(VALU_DEP_1)
	v_mul_f32_e32 v10, 0x3fb8aa3b, v9
	v_fma_f32 v11, 0x3fb8aa3b, v9, -v10
	v_rndne_f32_e32 v12, v10
	s_delay_alu instid0(VALU_DEP_1) | instskip(NEXT) | instid1(VALU_DEP_1)
	v_dual_fmamk_f32 v11, v9, 0x32a5705f, v11 :: v_dual_sub_f32 v10, v10, v12
	v_add_f32_e32 v10, v10, v11
	v_sub_f32_e32 v1, v1, v7
	v_cvt_i32_f32_e32 v7, v12
	s_delay_alu instid0(VALU_DEP_3) | instskip(NEXT) | instid1(VALU_DEP_2)
	v_exp_f32_e32 v10, v10
	v_sub_f32_e32 v1, v2, v1
	s_delay_alu instid0(VALU_DEP_1)
	v_cndmask_b32_e64 v1, 0, v1, s2
	v_cmp_ngt_f32_e64 s2, 0xc2ce8ed0, v9
	s_waitcnt_depctr 0xfff
	v_ldexp_f32 v2, v10, v7
	v_mul_f32_e32 v7, 0.5, v4
	v_add_f32_e32 v1, v8, v1
	s_delay_alu instid0(VALU_DEP_3) | instskip(NEXT) | instid1(VALU_DEP_3)
	v_cndmask_b32_e64 v2, 0, v2, s2
	v_trunc_f32_e32 v10, v7
	v_cmp_nlt_f32_e64 s2, 0x42b17218, v9
	s_delay_alu instid0(VALU_DEP_2) | instskip(NEXT) | instid1(VALU_DEP_2)
	v_cmp_neq_f32_e64 s3, v10, v7
	v_cndmask_b32_e64 v2, 0x7f800000, v2, s2
	v_cmp_eq_f32_e64 s2, v6, v4
	s_delay_alu instid0(VALU_DEP_2) | instskip(NEXT) | instid1(VALU_DEP_2)
	v_fma_f32 v1, v2, v1, v2
	s_and_b32 vcc_lo, s2, s3
	v_cmp_class_f32_e64 s3, v2, 0x204
	v_cndmask_b32_e32 v6, 1.0, v3, vcc_lo
	s_delay_alu instid0(VALU_DEP_2) | instskip(SKIP_1) | instid1(VALU_DEP_2)
	v_cndmask_b32_e64 v1, v1, v2, s3
	v_cmp_gt_f32_e64 s3, 0, v4
	v_bfi_b32 v1, 0x7fffffff, v1, v6
	v_cndmask_b32_e32 v6, 0, v3, vcc_lo
	s_delay_alu instid0(VALU_DEP_3)
	s_xor_b32 s3, s3, s4
	v_cmp_eq_f32_e32 vcc_lo, 0x7f800000, v5
	v_cndmask_b32_e64 v2, 0x7f800000, 0, s3
	v_cndmask_b32_e64 v4, 0x7fc00000, v1, s2
	v_cmp_gt_f32_e64 s2, 0, v3
	s_or_b32 vcc_lo, vcc_lo, s4
	s_delay_alu instid0(VALU_DEP_3) | instskip(NEXT) | instid1(VALU_DEP_2)
	v_bfi_b32 v2, 0x7fffffff, v2, v6
	v_cndmask_b32_e64 v1, v1, v4, s2
	s_delay_alu instid0(VALU_DEP_1) | instskip(SKIP_1) | instid1(VALU_DEP_2)
	v_cndmask_b32_e32 v1, v1, v2, vcc_lo
	v_cmp_o_f32_e32 vcc_lo, v3, v3
	v_cndmask_b32_e32 v45, 0x7fc00000, v1, vcc_lo
.LBB14_2:
	s_load_b512 s[16:31], s[0:1], 0x0
	v_bfe_u32 v42, v0, 10, 10
	v_and_b32_e32 v43, 0x3ff, v0
	v_mbcnt_lo_u32_b32 v44, -1, 0
	s_mul_hi_u32 s42, s40, s7
	s_mul_hi_u32 s10, s39, s5
	s_waitcnt lgkmcnt(0)
	v_cmp_eq_u32_e64 s2, 0, v42
	s_delay_alu instid0(VALU_DEP_1)
	s_and_saveexec_b32 s7, s2
	s_cbranch_execz .LBB14_7
; %bb.3:
	s_load_b128 s[44:47], s[0:1], 0x70
	v_lshlrev_b32_e32 v0, 4, v43
	v_xor_b32_e32 v10, 2, v44
	v_xor_b32_e32 v11, 1, v44
	s_waitcnt lgkmcnt(0)
	s_mul_i32 s3, s12, s46
	s_mul_i32 s4, s13, s44
	;; [unrolled: 1-line block ×3, first 2 shown]
	s_add_i32 s3, s3, s4
	s_delay_alu instid0(SALU_CYCLE_1) | instskip(NEXT) | instid1(SALU_CYCLE_1)
	s_add_i32 s3, s3, s5
	s_ashr_i32 s5, s3, 31
	s_add_u32 s4, s16, s3
	s_addc_u32 s5, s17, s5
	global_load_b128 v[6:9], v0, s[4:5]
	v_xor_b32_e32 v0, 4, v44
	s_delay_alu instid0(VALU_DEP_1) | instskip(SKIP_4) | instid1(VALU_DEP_4)
	v_cmp_gt_i32_e32 vcc_lo, 32, v0
	v_cndmask_b32_e32 v0, v44, v0, vcc_lo
	v_cmp_gt_i32_e32 vcc_lo, 32, v10
	v_cndmask_b32_e32 v10, v44, v10, vcc_lo
	v_cmp_gt_i32_e32 vcc_lo, 32, v11
	v_dual_cndmask_b32 v11, v44, v11 :: v_dual_lshlrev_b32 v0, 2, v0
	s_delay_alu instid0(VALU_DEP_1) | instskip(SKIP_4) | instid1(VALU_DEP_3)
	v_lshlrev_b32_e32 v11, 2, v11
	s_waitcnt vmcnt(0)
	v_mul_f32_e32 v1, s8, v6
	v_dual_mul_f32 v3, s8, v7 :: v_dual_mul_f32 v6, s8, v8
	v_mul_f32_e32 v5, s8, v9
	v_max_f32_e64 v2, |v1|, |v1|
	v_fma_f32 v7, s8, v7, v1
	v_lshlrev_b32_e32 v10, 2, v10
	s_delay_alu instid0(VALU_DEP_3) | instskip(NEXT) | instid1(VALU_DEP_3)
	v_max_f32_e64 v2, v2, |v3|
	v_fmac_f32_e32 v7, s8, v8
	s_delay_alu instid0(VALU_DEP_2) | instskip(NEXT) | instid1(VALU_DEP_2)
	v_max3_f32 v2, v2, |v6|, |v5|
	v_fmac_f32_e32 v7, s8, v9
	s_mov_b32 s8, exec_lo
	ds_bpermute_b32 v4, v0, v2
	ds_bpermute_b32 v0, v0, v7
	s_waitcnt lgkmcnt(1)
	v_max_f32_e32 v4, v4, v4
	s_waitcnt lgkmcnt(0)
	v_add_f32_e32 v0, v7, v0
	s_delay_alu instid0(VALU_DEP_2) | instskip(SKIP_4) | instid1(VALU_DEP_1)
	v_max_f32_e32 v2, v2, v4
	ds_bpermute_b32 v7, v10, v0
	ds_bpermute_b32 v4, v10, v2
	s_waitcnt lgkmcnt(0)
	v_max_f32_e32 v4, v4, v4
	v_max_f32_e32 v2, v2, v4
	ds_bpermute_b32 v4, v11, v2
	s_waitcnt lgkmcnt(0)
	v_max_f32_e32 v4, v4, v4
	s_delay_alu instid0(VALU_DEP_1) | instskip(NEXT) | instid1(VALU_DEP_1)
	v_max_f32_e32 v8, v2, v4
	v_div_scale_f32 v4, null, 0x42fe0000, 0x42fe0000, v8
	v_div_scale_f32 v10, vcc_lo, v8, 0x42fe0000, v8
	s_delay_alu instid0(VALU_DEP_2) | instskip(SKIP_2) | instid1(VALU_DEP_1)
	v_rcp_f32_e32 v9, v4
	s_waitcnt_depctr 0xfff
	v_fma_f32 v2, -v4, v9, 1.0
	v_fmac_f32_e32 v9, v2, v9
	s_delay_alu instid0(VALU_DEP_1) | instskip(NEXT) | instid1(VALU_DEP_1)
	v_mul_f32_e32 v12, v10, v9
	v_fma_f32 v2, -v4, v12, v10
	s_delay_alu instid0(VALU_DEP_1) | instskip(SKIP_1) | instid1(VALU_DEP_2)
	v_fmac_f32_e32 v12, v2, v9
	v_dual_add_f32 v2, v0, v7 :: v_dual_mov_b32 v7, 0
	v_fma_f32 v0, -v4, v12, v10
	ds_bpermute_b32 v4, v11, v2
	v_div_fmas_f32 v0, v0, v9, v12
	s_delay_alu instid0(VALU_DEP_1) | instskip(NEXT) | instid1(VALU_DEP_1)
	v_div_fixup_f32 v0, v0, 0x42fe0000, v8
	v_cmpx_neq_f32_e32 0, v0
	s_cbranch_execz .LBB14_5
; %bb.4:
	v_div_scale_f32 v7, null, v0, v0, v1
	v_div_scale_f32 v8, null, v0, v0, v3
	;; [unrolled: 1-line block ×3, first 2 shown]
	s_delay_alu instid0(VALU_DEP_3) | instskip(SKIP_1) | instid1(VALU_DEP_3)
	v_rcp_f32_e32 v9, v7
	v_div_scale_f32 v11, null, v0, v0, v5
	v_rcp_f32_e32 v12, v8
	s_delay_alu instid0(VALU_DEP_2) | instskip(SKIP_1) | instid1(VALU_DEP_2)
	v_rcp_f32_e32 v13, v10
	v_div_scale_f32 v17, vcc_lo, v1, v0, v1
	v_rcp_f32_e32 v14, v11
	v_fma_f32 v15, -v7, v9, 1.0
	s_delay_alu instid0(TRANS32_DEP_3)
	v_fma_f32 v16, -v8, v12, 1.0
	s_waitcnt_depctr 0xfff
	v_fma_f32 v18, -v10, v13, 1.0
	v_fmac_f32_e32 v9, v15, v9
	v_div_scale_f32 v15, s3, v3, v0, v3
	v_fmac_f32_e32 v12, v16, v12
	v_fma_f32 v19, -v11, v14, 1.0
	v_fmac_f32_e32 v13, v18, v13
	v_div_scale_f32 v16, s4, v6, v0, v6
	s_delay_alu instid0(VALU_DEP_4) | instskip(NEXT) | instid1(VALU_DEP_4)
	v_mul_f32_e32 v20, v15, v12
	v_dual_fmac_f32 v14, v19, v14 :: v_dual_mul_f32 v19, v17, v9
	v_div_scale_f32 v18, s5, v5, v0, v5
	s_delay_alu instid0(VALU_DEP_4) | instskip(NEXT) | instid1(VALU_DEP_4)
	v_mul_f32_e32 v21, v16, v13
	v_fma_f32 v24, -v8, v20, v15
	s_delay_alu instid0(VALU_DEP_4) | instskip(NEXT) | instid1(VALU_DEP_4)
	v_fma_f32 v23, -v7, v19, v17
	v_mul_f32_e32 v22, v18, v14
	s_delay_alu instid0(VALU_DEP_4) | instskip(NEXT) | instid1(VALU_DEP_3)
	v_fma_f32 v25, -v10, v21, v16
	v_dual_fmac_f32 v20, v24, v12 :: v_dual_fmac_f32 v19, v23, v9
	s_delay_alu instid0(VALU_DEP_3) | instskip(NEXT) | instid1(VALU_DEP_3)
	v_fma_f32 v26, -v11, v22, v18
	v_fmac_f32_e32 v21, v25, v13
	s_delay_alu instid0(VALU_DEP_3) | instskip(NEXT) | instid1(VALU_DEP_4)
	v_fma_f32 v8, -v8, v20, v15
	v_fma_f32 v7, -v7, v19, v17
	s_delay_alu instid0(VALU_DEP_4) | instskip(NEXT) | instid1(VALU_DEP_4)
	v_fmac_f32_e32 v22, v26, v14
	v_fma_f32 v10, -v10, v21, v16
	s_delay_alu instid0(VALU_DEP_3) | instskip(SKIP_3) | instid1(VALU_DEP_2)
	v_div_fmas_f32 v7, v7, v9, v19
	s_mov_b32 vcc_lo, s3
	v_div_fmas_f32 v8, v8, v12, v20
	s_mov_b32 vcc_lo, s4
	v_div_fixup_f32 v1, v7, v0, v1
	v_div_fmas_f32 v9, v10, v13, v21
	v_fma_f32 v10, -v11, v22, v18
	s_mov_b32 vcc_lo, s5
	v_div_fixup_f32 v3, v8, v0, v3
	v_trunc_f32_e32 v12, v1
	v_div_fixup_f32 v6, v9, v0, v6
	v_div_fmas_f32 v9, v10, v14, v22
	s_delay_alu instid0(VALU_DEP_2) | instskip(NEXT) | instid1(VALU_DEP_2)
	v_trunc_f32_e32 v8, v6
	v_div_fixup_f32 v5, v9, v0, v5
	v_trunc_f32_e32 v9, v3
	s_delay_alu instid0(VALU_DEP_3) | instskip(NEXT) | instid1(VALU_DEP_3)
	v_sub_f32_e32 v10, v6, v8
	v_trunc_f32_e32 v7, v5
	s_delay_alu instid0(VALU_DEP_3) | instskip(NEXT) | instid1(VALU_DEP_3)
	v_sub_f32_e32 v11, v3, v9
	v_cmp_ge_f32_e64 s3, |v10|, 0.5
	s_delay_alu instid0(VALU_DEP_1) | instskip(NEXT) | instid1(VALU_DEP_3)
	v_cndmask_b32_e64 v10, 0, 1.0, s3
	v_cmp_ge_f32_e64 s3, |v11|, 0.5
	s_delay_alu instid0(VALU_DEP_2) | instskip(SKIP_1) | instid1(VALU_DEP_3)
	v_bfi_b32 v6, 0x7fffffff, v10, v6
	v_sub_f32_e32 v13, v5, v7
	v_cndmask_b32_e64 v11, 0, 1.0, s3
	s_delay_alu instid0(VALU_DEP_3) | instskip(NEXT) | instid1(VALU_DEP_3)
	v_add_f32_e32 v6, v8, v6
	v_cmp_ge_f32_e64 s3, |v13|, 0.5
	s_delay_alu instid0(VALU_DEP_3) | instskip(NEXT) | instid1(VALU_DEP_3)
	v_bfi_b32 v3, 0x7fffffff, v11, v3
	v_cvt_i32_f32_e32 v6, v6
	s_delay_alu instid0(VALU_DEP_3) | instskip(NEXT) | instid1(VALU_DEP_2)
	v_cndmask_b32_e64 v13, 0, 1.0, s3
	v_dual_add_f32 v3, v9, v3 :: v_dual_and_b32 v6, 0xff, v6
	s_delay_alu instid0(VALU_DEP_2) | instskip(SKIP_1) | instid1(VALU_DEP_3)
	v_bfi_b32 v5, 0x7fffffff, v13, v5
	v_sub_f32_e32 v10, v1, v12
	v_cvt_i32_f32_e32 v3, v3
	s_delay_alu instid0(VALU_DEP_3) | instskip(NEXT) | instid1(VALU_DEP_3)
	v_dual_add_f32 v5, v7, v5 :: v_dual_lshlrev_b32 v6, 16, v6
	v_cmp_ge_f32_e64 s3, |v10|, 0.5
	s_delay_alu instid0(VALU_DEP_3) | instskip(NEXT) | instid1(VALU_DEP_3)
	v_and_b32_e32 v3, 0xff, v3
	v_cvt_i32_f32_e32 v5, v5
	s_delay_alu instid0(VALU_DEP_3) | instskip(NEXT) | instid1(VALU_DEP_3)
	v_cndmask_b32_e64 v8, 0, 1.0, s3
	v_lshlrev_b32_e32 v3, 8, v3
	s_delay_alu instid0(VALU_DEP_3) | instskip(NEXT) | instid1(VALU_DEP_3)
	v_lshl_or_b32 v5, v5, 24, v6
	v_bfi_b32 v1, 0x7fffffff, v8, v1
	s_delay_alu instid0(VALU_DEP_1) | instskip(NEXT) | instid1(VALU_DEP_1)
	v_add_f32_e32 v1, v12, v1
	v_cvt_i32_f32_e32 v1, v1
	s_delay_alu instid0(VALU_DEP_1) | instskip(NEXT) | instid1(VALU_DEP_1)
	v_and_b32_e32 v1, 0xff, v1
	v_or3_b32 v7, v5, v3, v1
.LBB14_5:
	s_or_b32 exec_lo, exec_lo, s8
	v_and_b32_e32 v1, 7, v43
	v_lshlrev_b32_e32 v3, 2, v43
	s_delay_alu instid0(VALU_DEP_2)
	v_cmp_eq_u32_e32 vcc_lo, 0, v1
	ds_store_b32 v3, v7
	s_and_b32 exec_lo, exec_lo, vcc_lo
	s_cbranch_execz .LBB14_7
; %bb.6:
	s_waitcnt lgkmcnt(1)
	v_add_f32_e32 v1, v2, v4
	ds_store_b64 v43, v[0:1] offset:128
.LBB14_7:
	s_or_b32 exec_lo, exec_lo, s7
	v_dual_mov_b32 v193, 0 :: v_dual_and_b32 v10, 1, v43
	s_waitcnt lgkmcnt(0)
	s_barrier
	buffer_gl0_inv
	v_lshlrev_b32_e32 v8, 2, v10
	s_ashr_i32 s37, s36, 31
	s_ashr_i32 s3, s6, 31
	;; [unrolled: 1-line block ×3, first 2 shown]
	s_cmp_eq_u64 s[26:27], 0
	ds_load_2addr_b32 v[24:25], v8 offset1:2
	ds_load_2addr_b32 v[26:27], v8 offset0:4 offset1:6
	ds_load_2addr_b32 v[28:29], v8 offset0:8 offset1:10
	;; [unrolled: 1-line block ×3, first 2 shown]
	ds_load_b128 v[0:3], v193 offset:128
	ds_load_b128 v[4:7], v193 offset:144
	ds_load_2addr_b32 v[32:33], v8 offset0:16 offset1:18
	ds_load_2addr_b32 v[34:35], v8 offset0:20 offset1:22
	ds_load_2addr_b32 v[36:37], v8 offset0:24 offset1:26
	ds_load_2addr_b32 v[38:39], v8 offset0:28 offset1:30
	s_waitcnt lgkmcnt(0)
	s_barrier
	buffer_gl0_inv
	s_cbranch_scc1 .LBB14_9
; %bb.8:
	s_load_b32 s4, s[0:1], 0xd0
	s_mov_b32 s5, 0
	s_waitcnt lgkmcnt(0)
	s_mul_i32 s4, s4, s12
	s_delay_alu instid0(SALU_CYCLE_1) | instskip(NEXT) | instid1(SALU_CYCLE_1)
	s_add_i32 s4, s4, s13
	s_lshl_b64 s[4:5], s[4:5], 2
	s_delay_alu instid0(SALU_CYCLE_1)
	s_add_u32 s4, s26, s4
	s_addc_u32 s5, s27, s5
	s_load_b32 s38, s[4:5], 0x0
.LBB14_9:
	v_dual_mov_b32 v194, 0xfeffffff :: v_dual_lshlrev_b32 v9, 5, v42
	v_lshlrev_b32_e32 v48, 2, v43
	s_lshl_b32 s8, s14, 7
	s_mov_b32 s9, 0
	s_delay_alu instid0(VALU_DEP_2) | instskip(SKIP_2) | instid1(VALU_DEP_1)
	v_dual_mov_b32 v197, 0 :: v_dual_add_nc_u32 v46, v9, v43
	s_waitcnt lgkmcnt(0)
	s_cmp_ge_i32 s8, s38
	v_dual_mov_b32 v196, 0 :: v_dual_lshlrev_b32 v47, 1, v46
	s_cbranch_scc1 .LBB14_17
; %bb.10:
	s_clause 0x1
	s_load_b128 s[4:7], s[0:1], 0x98
	s_load_b64 s[16:17], s[0:1], 0x8c
	s_xor_b32 s27, s37, s3
	s_mul_i32 s3, s42, s33
	s_add_i32 s46, s42, 1
	s_sub_i32 s40, s40, s3
	s_mul_i32 s47, s10, s15
	s_sub_i32 s49, s40, s33
	s_mul_i32 s48, s13, s41
	s_clause 0x2
	s_load_b64 s[44:45], s[0:1], 0xa8
	s_load_b64 s[10:11], s[0:1], 0xc8
	s_load_b32 s41, s[0:1], 0xd4
	v_bfe_u32 v12, v43, 3, 27
	v_and_b32_e32 v11, 0x7e, v43
	v_cmp_eq_u32_e64 s3, 0, v10
	v_and_b32_e32 v20, 12, v48
	v_add_nc_u32_e32 v75, 31, v9
	v_mul_hi_u32_u24_e32 v13, 20, v12
	v_mul_u32_u24_e32 v12, 20, v12
	v_add_nc_u32_e32 v10, v9, v11
	v_add_nc_u32_e32 v74, 29, v9
	;; [unrolled: 1-line block ×3, first 2 shown]
	s_waitcnt lgkmcnt(0)
	s_mul_i32 s5, s12, s5
	s_mul_hi_u32 s26, s12, s4
	s_mul_i32 s50, s43, s4
	s_add_i32 s26, s26, s5
	v_mul_lo_u32 v21, v9, s6
	s_add_i32 s26, s26, s50
	s_cmp_ge_u32 s40, s33
	v_mad_u64_u32 v[17:18], null, s12, s44, v[12:13]
	s_cselect_b32 s5, s46, s42
	s_cselect_b32 s40, s49, s40
	s_add_i32 s42, s5, 1
	s_cmp_ge_u32 s40, s33
	s_mul_i32 s40, s12, s45
	s_cselect_b32 s5, s42, s5
	s_sub_i32 s42, s39, s47
	s_xor_b32 s5, s5, s27
	v_lshlrev_b32_e32 v40, 1, v10
	s_sub_i32 s33, s5, s27
	s_sub_i32 s5, s42, s15
	s_mul_i32 s17, s33, s17
	s_mul_i32 s33, s33, s7
	s_ashr_i32 s27, s17, 31
	s_ashr_i32 s39, s33, 31
	s_cmp_ge_u32 s42, s15
	s_mul_i32 s7, s43, s44
	s_cselect_b32 s5, s5, s42
	v_add3_u32 v18, s40, s7, v18
	s_sub_i32 s42, s5, s15
	s_cmp_ge_u32 s5, s15
	v_ashrrev_i32_e32 v69, 31, v21
	s_cselect_b32 s5, s42, s5
	s_ashr_i32 s15, s48, 31
	s_xor_b32 s5, s5, s43
	v_add_co_u32 v12, vcc_lo, v17, v21
	s_sub_i32 s5, s5, s43
	v_add_co_ci_u32_e32 v13, vcc_lo, v18, v69, vcc_lo
	s_mul_i32 s7, s5, s11
	s_mul_hi_u32 s11, s5, s10
	s_ashr_i32 s40, s5, 31
	s_add_i32 s7, s11, s7
	s_mul_i32 s40, s40, s10
	s_mul_i32 s5, s5, s10
	s_add_i32 s11, s7, s40
	s_cmp_lg_u64 s[22:23], 0
	v_add_nc_u32_e32 v68, s6, v21
	s_cselect_b32 s7, -1, 0
	s_lshl_b32 s10, s41, 7
	s_add_u32 s40, s18, s17
	s_addc_u32 s41, s19, s27
	s_lshl_b64 s[42:43], s[8:9], 1
	v_ashrrev_i32_e32 v73, 31, v68
	s_add_u32 s5, s5, s42
	s_addc_u32 s11, s11, s43
	s_add_u32 s22, s22, s48
	s_addc_u32 s15, s23, s15
	;; [unrolled: 2-line block ×3, first 2 shown]
	v_add_co_u32 v40, s5, s5, v40
	s_delay_alu instid0(VALU_DEP_1) | instskip(SKIP_1) | instid1(VALU_DEP_3)
	v_add_co_ci_u32_e64 v41, null, s11, 0, s5
	v_mul_lo_u32 v75, s6, v75
	v_add_co_u32 v40, vcc_lo, v40, 2
	s_delay_alu instid0(VALU_DEP_3) | instskip(SKIP_4) | instid1(VALU_DEP_4)
	v_add_co_ci_u32_e32 v41, vcc_lo, 0, v41, vcc_lo
	v_add_co_u32 v71, vcc_lo, v17, v20
	v_add_co_ci_u32_e32 v72, vcc_lo, 0, v18, vcc_lo
	v_add_co_u32 v55, vcc_lo, v17, s33
	;; [unrolled: 2-line block ×3, first 2 shown]
	s_delay_alu instid0(VALU_DEP_4) | instskip(NEXT) | instid1(VALU_DEP_4)
	v_add_co_ci_u32_e32 v21, vcc_lo, v72, v69, vcc_lo
	v_add_co_u32 v17, vcc_lo, v55, v68
	v_add_nc_u32_e32 v11, s6, v68
	v_add_nc_u32_e32 v69, 30, v9
	v_add_co_ci_u32_e32 v18, vcc_lo, v56, v73, vcc_lo
	v_add_co_u32 v71, vcc_lo, v71, s33
	v_add_co_ci_u32_e32 v72, vcc_lo, s39, v72, vcc_lo
	v_add_nc_u32_e32 v14, s6, v11
	v_mul_lo_u32 v76, s6, v69
	s_delay_alu instid0(VALU_DEP_4)
	v_add_co_u32 v68, vcc_lo, v71, v68
	v_ashrrev_i32_e32 v106, 31, v75
	v_add_nc_u32_e32 v78, 27, v9
	v_add_co_ci_u32_e32 v69, vcc_lo, v72, v73, vcc_lo
	v_add_nc_u32_e32 v15, s6, v14
	v_add_co_u32 v108, vcc_lo, v71, v75
	v_mul_lo_u32 v74, s6, v74
	v_add_co_ci_u32_e32 v109, vcc_lo, v72, v106, vcc_lo
	v_mul_lo_u32 v73, s6, v77
	v_mul_lo_u32 v77, s6, v78
	v_ashrrev_i32_e32 v78, 31, v76
	v_add_co_u32 v75, vcc_lo, v55, v75
	v_add_nc_u32_e32 v16, s6, v15
	v_add_co_ci_u32_e32 v106, vcc_lo, v56, v106, vcc_lo
	v_add_co_u32 v110, vcc_lo, v71, v76
	v_add_co_ci_u32_e32 v111, vcc_lo, v72, v78, vcc_lo
	v_ashrrev_i32_e32 v79, 31, v74
	v_add_co_u32 v112, vcc_lo, v55, v76
	v_add_nc_u32_e32 v19, s6, v16
	v_add_co_ci_u32_e32 v78, vcc_lo, v56, v78, vcc_lo
	v_add_co_u32 v113, vcc_lo, v71, v74
	v_add_nc_u32_e32 v80, 26, v9
	v_add_co_ci_u32_e32 v114, vcc_lo, v72, v79, vcc_lo
	v_add_nc_u32_e32 v22, s6, v19
	v_ashrrev_i32_e32 v83, 31, v73
	v_add_co_u32 v115, vcc_lo, v55, v74
	v_add_co_ci_u32_e32 v116, vcc_lo, v56, v79, vcc_lo
	v_add_co_u32 v117, vcc_lo, v71, v73
	v_mul_lo_u32 v80, s6, v80
	v_add_nc_u32_e32 v23, s6, v22
	v_add_nc_u32_e32 v81, 25, v9
	v_add_co_ci_u32_e32 v118, vcc_lo, v72, v83, vcc_lo
	v_ashrrev_i32_e32 v84, 31, v77
	v_add_co_u32 v119, vcc_lo, v55, v73
	v_add_co_ci_u32_e32 v120, vcc_lo, v56, v83, vcc_lo
	v_add_co_u32 v121, vcc_lo, v71, v77
	v_add_nc_u32_e32 v49, s6, v23
	v_mul_lo_u32 v81, s6, v81
	v_add_nc_u32_e32 v82, 24, v9
	v_add_co_ci_u32_e32 v122, vcc_lo, v72, v84, vcc_lo
	v_ashrrev_i32_e32 v90, 31, v80
	v_add_co_u32 v123, vcc_lo, v55, v77
	v_add_co_ci_u32_e32 v124, vcc_lo, v56, v84, vcc_lo
	v_add_nc_u32_e32 v50, s6, v49
	v_add_co_u32 v125, vcc_lo, v71, v80
	v_mul_lo_u32 v82, s6, v82
	v_add_nc_u32_e32 v85, 23, v9
	v_add_co_ci_u32_e32 v126, vcc_lo, v72, v90, vcc_lo
	v_ashrrev_i32_e32 v91, 31, v81
	v_add_co_u32 v127, vcc_lo, v55, v80
	v_add_nc_u32_e32 v51, s6, v50
	v_add_co_ci_u32_e32 v128, vcc_lo, v56, v90, vcc_lo
	v_add_co_u32 v129, vcc_lo, v71, v81
	v_mul_lo_u32 v85, s6, v85
	v_add_nc_u32_e32 v86, 22, v9
	v_add_co_ci_u32_e32 v130, vcc_lo, v72, v91, vcc_lo
	v_ashrrev_i32_e32 v92, 31, v82
	v_add_co_u32 v131, vcc_lo, v55, v81
	v_add_nc_u32_e32 v52, s6, v51
	v_add_co_ci_u32_e32 v132, vcc_lo, v56, v91, vcc_lo
	v_add_co_u32 v133, vcc_lo, v71, v82
	v_mul_lo_u32 v86, s6, v86
	v_add_nc_u32_e32 v87, 21, v9
	v_add_co_ci_u32_e32 v134, vcc_lo, v72, v92, vcc_lo
	v_add_nc_u32_e32 v53, s6, v52
	v_ashrrev_i32_e32 v93, 31, v85
	v_add_co_u32 v135, vcc_lo, v55, v82
	v_add_co_ci_u32_e32 v136, vcc_lo, v56, v92, vcc_lo
	v_add_co_u32 v137, vcc_lo, v71, v85
	v_mul_lo_u32 v87, s6, v87
	v_add_nc_u32_e32 v58, s6, v53
	v_add_nc_u32_e32 v88, 20, v9
	v_add_co_ci_u32_e32 v138, vcc_lo, v72, v93, vcc_lo
	v_ashrrev_i32_e32 v94, 31, v86
	v_add_co_u32 v139, vcc_lo, v55, v85
	v_add_co_ci_u32_e32 v140, vcc_lo, v56, v93, vcc_lo
	v_add_co_u32 v141, vcc_lo, v71, v86
	v_add_nc_u32_e32 v60, s6, v58
	v_mul_lo_u32 v88, s6, v88
	v_add_nc_u32_e32 v89, 19, v9
	v_add_co_ci_u32_e32 v142, vcc_lo, v72, v94, vcc_lo
	v_ashrrev_i32_e32 v95, 31, v87
	v_add_co_u32 v143, vcc_lo, v55, v86
	v_add_co_ci_u32_e32 v144, vcc_lo, v56, v94, vcc_lo
	v_add_nc_u32_e32 v63, s6, v60
	v_add_co_u32 v145, vcc_lo, v71, v87
	v_mul_lo_u32 v89, s6, v89
	v_add_co_ci_u32_e32 v146, vcc_lo, v72, v95, vcc_lo
	v_ashrrev_i32_e32 v96, 31, v88
	v_add_co_u32 v147, vcc_lo, v55, v87
	v_add_nc_u32_e32 v66, s6, v63
	v_add_co_ci_u32_e32 v148, vcc_lo, v56, v95, vcc_lo
	v_add_co_u32 v149, vcc_lo, v71, v88
	v_add_co_ci_u32_e32 v150, vcc_lo, v72, v96, vcc_lo
	v_ashrrev_i32_e32 v97, 31, v89
	v_add_co_u32 v151, vcc_lo, v55, v88
	v_add_nc_u32_e32 v70, s6, v66
	v_add_co_ci_u32_e32 v152, vcc_lo, v56, v96, vcc_lo
	v_add_co_u32 v153, vcc_lo, v71, v89
	v_add_co_ci_u32_e32 v154, vcc_lo, v72, v97, vcc_lo
	s_delay_alu instid0(VALU_DEP_4) | instskip(SKIP_3) | instid1(VALU_DEP_4)
	v_ashrrev_i32_e32 v98, 31, v70
	v_add_co_u32 v155, vcc_lo, v55, v89
	v_add_co_ci_u32_e32 v156, vcc_lo, v56, v97, vcc_lo
	v_add_co_u32 v157, vcc_lo, v71, v70
	v_add_co_ci_u32_e32 v158, vcc_lo, v72, v98, vcc_lo
	v_ashrrev_i32_e32 v67, 31, v66
	v_add_co_u32 v159, vcc_lo, v55, v70
	v_add_co_ci_u32_e32 v160, vcc_lo, v56, v98, vcc_lo
	v_add_co_u32 v161, vcc_lo, v71, v66
	s_delay_alu instid0(VALU_DEP_4) | instskip(SKIP_4) | instid1(VALU_DEP_4)
	v_add_co_ci_u32_e32 v162, vcc_lo, v72, v67, vcc_lo
	v_ashrrev_i32_e32 v65, 31, v63
	v_add_co_u32 v163, vcc_lo, v55, v66
	v_add_co_ci_u32_e32 v164, vcc_lo, v56, v67, vcc_lo
	v_add_co_u32 v165, vcc_lo, v71, v63
	v_add_co_ci_u32_e32 v166, vcc_lo, v72, v65, vcc_lo
	v_ashrrev_i32_e32 v64, 31, v60
	v_add_co_u32 v167, vcc_lo, v55, v63
	v_add_co_ci_u32_e32 v168, vcc_lo, v56, v65, vcc_lo
	v_add_co_u32 v169, vcc_lo, v71, v60
	s_delay_alu instid0(VALU_DEP_4) | instskip(SKIP_4) | instid1(VALU_DEP_4)
	v_add_co_ci_u32_e32 v170, vcc_lo, v72, v64, vcc_lo
	;; [unrolled: 11-line block ×7, first 2 shown]
	v_ashrrev_i32_e32 v104, 31, v15
	v_add_co_u32 v16, vcc_lo, v55, v16
	v_add_co_ci_u32_e32 v208, vcc_lo, v56, v103, vcc_lo
	v_add_co_u32 v209, vcc_lo, v71, v15
	v_add_co_ci_u32_e32 v210, vcc_lo, v72, v104, vcc_lo
	v_ashrrev_i32_e32 v105, 31, v14
	v_add_co_u32 v15, vcc_lo, v55, v15
	v_add_co_ci_u32_e32 v211, vcc_lo, v56, v104, vcc_lo
	v_and_b32_e32 v49, 30, v44
	v_add_co_u32 v212, vcc_lo, v71, v14
	v_add_co_ci_u32_e32 v213, vcc_lo, v72, v105, vcc_lo
	v_ashrrev_i32_e32 v107, 31, v11
	v_add_co_u32 v14, vcc_lo, v55, v14
	v_add_nc_u32_e32 v49, 2, v49
	v_xor_b32_e32 v50, 1, v44
	v_add_co_ci_u32_e32 v214, vcc_lo, v56, v105, vcc_lo
	v_add_co_u32 v215, vcc_lo, v71, v11
	v_add_co_ci_u32_e32 v216, vcc_lo, v72, v107, vcc_lo
	s_delay_alu instid0(VALU_DEP_4)
	v_cmp_lt_i32_e32 vcc_lo, v50, v49
	v_xor_b32_e32 v51, 4, v44
	v_xor_b32_e32 v52, 8, v44
	;; [unrolled: 1-line block ×3, first 2 shown]
	s_mul_i32 s22, s12, s4
	v_cndmask_b32_e32 v49, v44, v50, vcc_lo
	v_xor_b32_e32 v50, 2, v44
	v_add_co_u32 v11, vcc_lo, v55, v11
	v_add_co_ci_u32_e32 v217, vcc_lo, v56, v107, vcc_lo
	s_delay_alu instid0(VALU_DEP_3) | instskip(SKIP_1) | instid1(VALU_DEP_1)
	v_cmp_gt_i32_e32 vcc_lo, 32, v50
	v_add_co_u32 v8, s4, s22, v8
	v_add_co_ci_u32_e64 v61, null, s26, 0, s4
	v_cndmask_b32_e32 v50, v44, v50, vcc_lo
	v_cmp_gt_i32_e32 vcc_lo, 32, v51
	s_mov_b32 s11, s9
	v_lshlrev_b32_e32 v54, 1, v9
	s_lshl_b64 s[4:5], s[10:11], 1
	s_add_u32 s9, s20, s33
	v_cndmask_b32_e32 v51, v44, v51, vcc_lo
	v_cmp_gt_i32_e32 vcc_lo, 32, v52
	s_addc_u32 s11, s21, s39
	s_add_u32 s23, s40, s22
	s_addc_u32 s33, s41, s26
	v_dual_cndmask_b32 v52, v44, v52 :: v_dual_lshlrev_b32 v49, 2, v49
	v_cmp_gt_i32_e32 vcc_lo, 32, v53
	v_lshlrev_b32_e32 v50, 2, v50
	v_lshlrev_b32_e32 v51, 2, v51
	s_mul_i32 s15, s8, s6
	v_dual_cndmask_b32 v53, v44, v53 :: v_dual_lshlrev_b32 v52, 2, v52
	v_mul_lo_u32 v10, v10, s16
	s_mul_i32 s6, s10, s6
	s_delay_alu instid0(VALU_DEP_2) | instskip(NEXT) | instid1(VALU_DEP_2)
	v_lshlrev_b32_e32 v53, 2, v53
	v_add_nc_u32_e32 v59, s16, v10
	s_delay_alu instid0(VALU_DEP_1) | instskip(SKIP_1) | instid1(VALU_DEP_2)
	v_ashrrev_i32_e32 v60, 31, v59
	v_add_co_u32 v55, vcc_lo, v8, v59
	v_add_co_ci_u32_e32 v56, vcc_lo, v61, v60, vcc_lo
	s_delay_alu instid0(VALU_DEP_2) | instskip(NEXT) | instid1(VALU_DEP_2)
	v_add_co_u32 v55, vcc_lo, s40, v55
	v_add_co_ci_u32_e32 v56, vcc_lo, s41, v56, vcc_lo
	v_add_co_u32 v57, vcc_lo, s9, v12
	v_add_co_ci_u32_e32 v58, vcc_lo, s11, v13, vcc_lo
	;; [unrolled: 2-line block ×3, first 2 shown]
	v_ashrrev_i32_e32 v12, 31, v10
	v_add_co_u32 v59, vcc_lo, s23, v59
	v_add_co_ci_u32_e32 v60, vcc_lo, s33, v60, vcc_lo
	v_add_co_u32 v8, vcc_lo, v8, v10
	s_delay_alu instid0(VALU_DEP_4) | instskip(SKIP_2) | instid1(VALU_DEP_4)
	v_add_co_ci_u32_e32 v9, vcc_lo, v9, v12, vcc_lo
	v_add_co_u32 v13, vcc_lo, s9, v20
	v_add_co_ci_u32_e32 v20, vcc_lo, s11, v21, vcc_lo
	v_add_co_u32 v61, vcc_lo, s18, v8
	s_delay_alu instid0(VALU_DEP_4) | instskip(NEXT) | instid1(VALU_DEP_4)
	v_add_co_ci_u32_e32 v62, vcc_lo, s19, v9, vcc_lo
	v_add_co_u32 v63, vcc_lo, v13, 4
	s_delay_alu instid0(VALU_DEP_4)
	v_add_co_ci_u32_e32 v64, vcc_lo, 0, v20, vcc_lo
	v_add_co_u32 v8, vcc_lo, v68, s20
	v_add_co_ci_u32_e32 v9, vcc_lo, s21, v69, vcc_lo
	v_add_co_u32 v65, vcc_lo, s20, v17
	v_add_co_ci_u32_e32 v66, vcc_lo, s21, v18, vcc_lo
	s_add_u32 s9, s22, s17
	v_add_co_u32 v67, vcc_lo, v8, 4
	s_addc_u32 s11, s26, s27
	s_add_u32 s9, s18, s9
	v_add_co_ci_u32_e32 v68, vcc_lo, 0, v9, vcc_lo
	s_addc_u32 s11, s19, s11
	v_add_co_u32 v8, vcc_lo, s9, v10
	v_add_co_ci_u32_e32 v9, vcc_lo, s11, v12, vcc_lo
	v_add_co_u32 v10, vcc_lo, v108, s20
	v_add_co_ci_u32_e32 v12, vcc_lo, s21, v109, vcc_lo
	s_delay_alu instid0(VALU_DEP_4) | instskip(NEXT) | instid1(VALU_DEP_4)
	v_add_co_u32 v69, vcc_lo, v8, 60
	v_add_co_ci_u32_e32 v70, vcc_lo, 0, v9, vcc_lo
	s_delay_alu instid0(VALU_DEP_4) | instskip(NEXT) | instid1(VALU_DEP_4)
	v_add_co_u32 v71, vcc_lo, v10, 4
	v_add_co_ci_u32_e32 v72, vcc_lo, 0, v12, vcc_lo
	v_add_co_u32 v8, vcc_lo, v110, s20
	v_add_co_ci_u32_e32 v9, vcc_lo, s21, v111, vcc_lo
	v_add_co_u32 v73, vcc_lo, s20, v75
	v_add_co_ci_u32_e32 v74, vcc_lo, s21, v106, vcc_lo
	s_delay_alu instid0(VALU_DEP_4) | instskip(NEXT) | instid1(VALU_DEP_4)
	v_add_co_u32 v75, vcc_lo, v8, 4
	v_add_co_ci_u32_e32 v76, vcc_lo, 0, v9, vcc_lo
	v_add_co_u32 v8, vcc_lo, v113, s20
	v_add_co_ci_u32_e32 v9, vcc_lo, s21, v114, vcc_lo
	;; [unrolled: 7-line block ×22, first 2 shown]
	v_add_co_u32 v157, vcc_lo, s20, v191
	v_add_co_ci_u32_e32 v158, vcc_lo, s21, v192, vcc_lo
	v_mov_b32_e32 v192, 0
	v_add_co_u32 v159, vcc_lo, v8, 4
	v_add_co_ci_u32_e32 v160, vcc_lo, 0, v9, vcc_lo
	v_add_co_u32 v8, vcc_lo, v197, s20
	v_add_co_ci_u32_e32 v9, vcc_lo, s21, v198, vcc_lo
	v_add_co_u32 v161, vcc_lo, s20, v195
	v_add_co_ci_u32_e32 v162, vcc_lo, s21, v196, vcc_lo
	s_delay_alu instid0(VALU_DEP_4) | instskip(NEXT) | instid1(VALU_DEP_4)
	v_add_co_u32 v163, vcc_lo, v8, 4
	v_add_co_ci_u32_e32 v164, vcc_lo, 0, v9, vcc_lo
	v_add_co_u32 v8, vcc_lo, v200, s20
	v_add_co_ci_u32_e32 v9, vcc_lo, s21, v201, vcc_lo
	v_add_co_u32 v165, vcc_lo, s20, v23
	v_add_co_ci_u32_e32 v166, vcc_lo, s21, v199, vcc_lo
	s_delay_alu instid0(VALU_DEP_4) | instskip(NEXT) | instid1(VALU_DEP_4)
	;; [unrolled: 7-line block ×7, first 2 shown]
	v_add_co_u32 v187, vcc_lo, v8, 4
	v_add_co_ci_u32_e32 v188, vcc_lo, 0, v9, vcc_lo
	v_add_co_u32 v189, vcc_lo, s20, v11
	v_add_co_ci_u32_e32 v190, vcc_lo, s21, v217, vcc_lo
	v_dual_mov_b32 v196, 0 :: v_dual_and_b32 v191, 4, v43
	v_dual_mov_b32 v8, 0xfeffffff :: v_dual_mov_b32 v197, 0
	s_mul_i32 s9, s8, s16
	s_mul_i32 s11, s10, s16
.LBB14_11:                              ; =>This Inner Loop Header: Depth=1
	v_add_co_u32 v9, vcc_lo, v69, s9
	v_add_co_ci_u32_e32 v10, vcc_lo, 0, v70, vcc_lo
	v_add_co_u32 v11, vcc_lo, v61, s9
	v_add_co_ci_u32_e32 v12, vcc_lo, 0, v62, vcc_lo
	global_load_b32 v15, v[9:10], off offset:-60
	s_and_b32 vcc_lo, exec_lo, s7
	s_clause 0x1
	global_load_b32 v13, v[11:12], off offset:4
	global_load_b32 v17, v[11:12], off offset:12
	s_waitcnt vmcnt(2)
	v_cvt_f32_f16_e32 v16, v15
	v_lshrrev_b32_e32 v15, 16, v15
	s_delay_alu instid0(VALU_DEP_1) | instskip(SKIP_3) | instid1(VALU_DEP_3)
	v_cvt_f32_f16_e32 v15, v15
	s_waitcnt vmcnt(1)
	v_and_b32_e32 v14, 0xf0f0f0f, v13
	v_lshrrev_b32_e32 v13, 4, v13
	v_mul_f32_e32 v15, v1, v15
	s_delay_alu instid0(VALU_DEP_3) | instskip(NEXT) | instid1(VALU_DEP_3)
	v_dot4_i32_iu8 v14, v14, v24, 0 neg_lo:[1,1,0]
	v_dual_mul_f32 v16, v0, v16 :: v_dual_and_b32 v13, 0xf0f0f0f, v13
	s_delay_alu instid0(VALU_DEP_3) | instskip(NEXT) | instid1(VALU_DEP_3)
	v_mul_f32_e32 v15, 0x3e000000, v15
	v_cvt_f32_i32_e32 v14, v14
	s_waitcnt vmcnt(0)
	v_and_b32_e32 v18, 0xf0f0f0f, v17
	v_dot4_i32_iu8 v13, v13, v26, 0 neg_lo:[1,1,0]
	s_delay_alu instid0(VALU_DEP_3) | instskip(NEXT) | instid1(VALU_DEP_3)
	v_fma_f32 v14, v16, v14, v15
	v_dot4_i32_iu8 v18, v18, v25, 0 neg_lo:[1,1,0]
	s_delay_alu instid0(VALU_DEP_3) | instskip(NEXT) | instid1(VALU_DEP_3)
	v_cvt_f32_i32_e32 v13, v13
	v_add_f32_e32 v14, 0, v14
	s_delay_alu instid0(VALU_DEP_3) | instskip(NEXT) | instid1(VALU_DEP_3)
	v_cvt_f32_i32_e32 v18, v18
	v_fma_f32 v13, v16, v13, v15
	s_delay_alu instid0(VALU_DEP_2) | instskip(NEXT) | instid1(VALU_DEP_1)
	v_fma_f32 v18, v16, v18, v15
	v_add_f32_e32 v14, v14, v18
	s_delay_alu instid0(VALU_DEP_1) | instskip(SKIP_1) | instid1(VALU_DEP_1)
	v_add_f32_e32 v13, v14, v13
	v_lshrrev_b32_e32 v14, 4, v17
	v_and_b32_e32 v14, 0xf0f0f0f, v14
	s_delay_alu instid0(VALU_DEP_1) | instskip(NEXT) | instid1(VALU_DEP_1)
	v_dot4_i32_iu8 v14, v14, v27, 0 neg_lo:[1,1,0]
	v_cvt_f32_i32_e32 v14, v14
	s_delay_alu instid0(VALU_DEP_1)
	v_fmac_f32_e32 v15, v16, v14
	global_load_b32 v16, v[9:10], off offset:-40
	global_load_b32 v14, v[11:12], off offset:24
	v_add_f32_e32 v13, v13, v15
	s_waitcnt vmcnt(1)
	v_cvt_f32_f16_e32 v17, v16
	v_lshrrev_b32_e32 v16, 16, v16
	s_delay_alu instid0(VALU_DEP_1) | instskip(SKIP_3) | instid1(VALU_DEP_3)
	v_cvt_f32_f16_e32 v16, v16
	s_waitcnt vmcnt(0)
	v_and_b32_e32 v15, 0xf0f0f0f, v14
	v_lshrrev_b32_e32 v14, 4, v14
	v_mul_f32_e32 v16, v3, v16
	s_delay_alu instid0(VALU_DEP_3) | instskip(NEXT) | instid1(VALU_DEP_3)
	v_dot4_i32_iu8 v15, v15, v28, 0 neg_lo:[1,1,0]
	v_dual_mul_f32 v17, v2, v17 :: v_dual_and_b32 v14, 0xf0f0f0f, v14
	s_delay_alu instid0(VALU_DEP_3) | instskip(NEXT) | instid1(VALU_DEP_3)
	v_mul_f32_e32 v16, 0x3e000000, v16
	v_cvt_f32_i32_e32 v15, v15
	s_delay_alu instid0(VALU_DEP_3) | instskip(NEXT) | instid1(VALU_DEP_2)
	v_dot4_i32_iu8 v14, v14, v30, 0 neg_lo:[1,1,0]
	v_fma_f32 v15, v17, v15, v16
	s_delay_alu instid0(VALU_DEP_2) | instskip(NEXT) | instid1(VALU_DEP_2)
	v_cvt_f32_i32_e32 v14, v14
	v_add_f32_e32 v13, v13, v15
	global_load_b32 v15, v[11:12], off offset:32
	v_fma_f32 v14, v17, v14, v16
	s_waitcnt vmcnt(0)
	v_and_b32_e32 v18, 0xf0f0f0f, v15
	s_delay_alu instid0(VALU_DEP_1) | instskip(NEXT) | instid1(VALU_DEP_1)
	v_dot4_i32_iu8 v18, v18, v29, 0 neg_lo:[1,1,0]
	v_cvt_f32_i32_e32 v18, v18
	s_delay_alu instid0(VALU_DEP_1) | instskip(NEXT) | instid1(VALU_DEP_1)
	v_fma_f32 v18, v17, v18, v16
	v_add_f32_e32 v13, v13, v18
	s_delay_alu instid0(VALU_DEP_1) | instskip(SKIP_1) | instid1(VALU_DEP_1)
	v_add_f32_e32 v13, v13, v14
	v_lshrrev_b32_e32 v14, 4, v15
	v_and_b32_e32 v14, 0xf0f0f0f, v14
	s_delay_alu instid0(VALU_DEP_1) | instskip(NEXT) | instid1(VALU_DEP_1)
	v_dot4_i32_iu8 v14, v14, v31, 0 neg_lo:[1,1,0]
	v_cvt_f32_i32_e32 v14, v14
	s_delay_alu instid0(VALU_DEP_1)
	v_fmac_f32_e32 v16, v17, v14
	global_load_b32 v14, v[11:12], off offset:44
	v_add_f32_e32 v13, v13, v16
	s_clause 0x1
	global_load_b32 v16, v[9:10], off offset:-20
	global_load_b32 v9, v[9:10], off
	s_waitcnt vmcnt(1)
	v_cvt_f32_f16_e32 v17, v16
	v_lshrrev_b32_e32 v16, 16, v16
	s_waitcnt vmcnt(0)
	v_cvt_f32_f16_e32 v10, v9
	v_lshrrev_b32_e32 v9, 16, v9
	v_mul_f32_e32 v17, v4, v17
	v_cvt_f32_f16_e32 v16, v16
	v_and_b32_e32 v15, 0xf0f0f0f, v14
	v_lshrrev_b32_e32 v14, 4, v14
	v_cvt_f32_f16_e32 v9, v9
	s_delay_alu instid0(VALU_DEP_4) | instskip(NEXT) | instid1(VALU_DEP_4)
	v_mul_f32_e32 v16, v5, v16
	v_dot4_i32_iu8 v15, v15, v32, 0 neg_lo:[1,1,0]
	s_delay_alu instid0(VALU_DEP_3) | instskip(SKIP_1) | instid1(VALU_DEP_4)
	v_dual_mul_f32 v9, v7, v9 :: v_dual_and_b32 v14, 0xf0f0f0f, v14
	v_mul_f32_e32 v10, v6, v10
	v_mul_f32_e32 v16, 0x3e000000, v16
	s_delay_alu instid0(VALU_DEP_4) | instskip(NEXT) | instid1(VALU_DEP_4)
	v_cvt_f32_i32_e32 v15, v15
	v_dot4_i32_iu8 v14, v14, v34, 0 neg_lo:[1,1,0]
	v_mul_f32_e32 v9, 0x3e000000, v9
	s_delay_alu instid0(VALU_DEP_3) | instskip(NEXT) | instid1(VALU_DEP_3)
	v_fma_f32 v15, v17, v15, v16
	v_cvt_f32_i32_e32 v14, v14
	s_delay_alu instid0(VALU_DEP_2) | instskip(SKIP_4) | instid1(VALU_DEP_1)
	v_add_f32_e32 v13, v13, v15
	global_load_b32 v15, v[11:12], off offset:52
	v_fma_f32 v14, v17, v14, v16
	s_waitcnt vmcnt(0)
	v_and_b32_e32 v18, 0xf0f0f0f, v15
	v_dot4_i32_iu8 v18, v18, v33, 0 neg_lo:[1,1,0]
	s_delay_alu instid0(VALU_DEP_1) | instskip(NEXT) | instid1(VALU_DEP_1)
	v_cvt_f32_i32_e32 v18, v18
	v_fma_f32 v18, v17, v18, v16
	s_delay_alu instid0(VALU_DEP_1) | instskip(NEXT) | instid1(VALU_DEP_1)
	v_add_f32_e32 v13, v13, v18
	v_add_f32_e32 v13, v13, v14
	v_lshrrev_b32_e32 v14, 4, v15
	s_delay_alu instid0(VALU_DEP_1) | instskip(NEXT) | instid1(VALU_DEP_1)
	v_and_b32_e32 v14, 0xf0f0f0f, v14
	v_dot4_i32_iu8 v14, v14, v35, 0 neg_lo:[1,1,0]
	s_delay_alu instid0(VALU_DEP_1) | instskip(NEXT) | instid1(VALU_DEP_1)
	v_cvt_f32_i32_e32 v14, v14
	v_fmac_f32_e32 v16, v17, v14
	s_clause 0x1
	global_load_b32 v14, v[11:12], off offset:64
	global_load_b32 v11, v[11:12], off offset:72
	s_waitcnt vmcnt(0)
	v_dual_add_f32 v13, v13, v16 :: v_dual_and_b32 v12, 0xf0f0f0f, v11
	v_lshrrev_b32_e32 v11, 4, v11
	s_delay_alu instid0(VALU_DEP_2) | instskip(NEXT) | instid1(VALU_DEP_2)
	v_dot4_i32_iu8 v12, v12, v37, 0 neg_lo:[1,1,0]
	v_and_b32_e32 v11, 0xf0f0f0f, v11
	s_delay_alu instid0(VALU_DEP_2) | instskip(NEXT) | instid1(VALU_DEP_2)
	v_cvt_f32_i32_e32 v12, v12
	v_dot4_i32_iu8 v11, v11, v39, 0 neg_lo:[1,1,0]
	s_delay_alu instid0(VALU_DEP_2) | instskip(SKIP_1) | instid1(VALU_DEP_3)
	v_fma_f32 v12, v10, v12, v9
	v_and_b32_e32 v15, 0xf0f0f0f, v14
	v_cvt_f32_i32_e32 v11, v11
	s_delay_alu instid0(VALU_DEP_2) | instskip(NEXT) | instid1(VALU_DEP_1)
	v_dot4_i32_iu8 v15, v15, v36, 0 neg_lo:[1,1,0]
	v_cvt_f32_i32_e32 v15, v15
	s_delay_alu instid0(VALU_DEP_1) | instskip(NEXT) | instid1(VALU_DEP_1)
	v_fma_f32 v15, v10, v15, v9
	v_add_f32_e32 v13, v13, v15
	s_delay_alu instid0(VALU_DEP_1) | instskip(SKIP_1) | instid1(VALU_DEP_1)
	v_add_f32_e32 v12, v13, v12
	v_lshrrev_b32_e32 v13, 4, v14
	v_and_b32_e32 v13, 0xf0f0f0f, v13
	s_delay_alu instid0(VALU_DEP_1) | instskip(NEXT) | instid1(VALU_DEP_1)
	v_dot4_i32_iu8 v13, v13, v38, 0 neg_lo:[1,1,0]
	v_cvt_f32_i32_e32 v13, v13
	s_delay_alu instid0(VALU_DEP_1) | instskip(NEXT) | instid1(VALU_DEP_1)
	v_fma_f32 v13, v10, v13, v9
	v_dual_fmac_f32 v9, v10, v11 :: v_dual_add_f32 v12, v12, v13
	s_delay_alu instid0(VALU_DEP_1)
	v_add_f32_e32 v9, v12, v9
	ds_bpermute_b32 v10, v49, v9
	s_waitcnt lgkmcnt(0)
	v_add_f32_e32 v9, v9, v10
	s_cbranch_vccz .LBB14_13
; %bb.12:                               ;   in Loop: Header=BB14_11 Depth=1
	global_load_u16 v10, v[40:41], off offset:-2
	s_waitcnt vmcnt(0)
	v_fma_mix_f32 v9, v45, v10, v9 op_sel_hi:[0,1,0]
.LBB14_13:                              ;   in Loop: Header=BB14_11 Depth=1
	v_add_co_u32 v10, vcc_lo, v59, s9
	v_add_co_ci_u32_e32 v11, vcc_lo, 0, v60, vcc_lo
	v_add_co_u32 v12, vcc_lo, v55, s9
	v_add_co_ci_u32_e32 v13, vcc_lo, 0, v56, vcc_lo
	global_load_b32 v16, v[10:11], off
	s_and_not1_b32 vcc_lo, exec_lo, s7
	s_clause 0x1
	global_load_b32 v14, v[12:13], off offset:4
	global_load_b32 v18, v[12:13], off offset:12
	s_waitcnt vmcnt(2)
	v_cvt_f32_f16_e32 v17, v16
	v_lshrrev_b32_e32 v16, 16, v16
	s_delay_alu instid0(VALU_DEP_1) | instskip(SKIP_3) | instid1(VALU_DEP_3)
	v_cvt_f32_f16_e32 v16, v16
	s_waitcnt vmcnt(1)
	v_and_b32_e32 v15, 0xf0f0f0f, v14
	v_lshrrev_b32_e32 v14, 4, v14
	v_mul_f32_e32 v16, v1, v16
	s_delay_alu instid0(VALU_DEP_3) | instskip(NEXT) | instid1(VALU_DEP_3)
	v_dot4_i32_iu8 v15, v15, v24, 0 neg_lo:[1,1,0]
	v_dual_mul_f32 v17, v0, v17 :: v_dual_and_b32 v14, 0xf0f0f0f, v14
	s_delay_alu instid0(VALU_DEP_3) | instskip(NEXT) | instid1(VALU_DEP_3)
	v_mul_f32_e32 v16, 0x3e000000, v16
	v_cvt_f32_i32_e32 v15, v15
	s_waitcnt vmcnt(0)
	v_and_b32_e32 v19, 0xf0f0f0f, v18
	v_dot4_i32_iu8 v14, v14, v26, 0 neg_lo:[1,1,0]
	s_delay_alu instid0(VALU_DEP_3) | instskip(NEXT) | instid1(VALU_DEP_3)
	v_fma_f32 v15, v17, v15, v16
	v_dot4_i32_iu8 v19, v19, v25, 0 neg_lo:[1,1,0]
	s_delay_alu instid0(VALU_DEP_3) | instskip(NEXT) | instid1(VALU_DEP_3)
	v_cvt_f32_i32_e32 v14, v14
	v_add_f32_e32 v15, 0, v15
	s_delay_alu instid0(VALU_DEP_3) | instskip(NEXT) | instid1(VALU_DEP_3)
	v_cvt_f32_i32_e32 v19, v19
	v_fma_f32 v14, v17, v14, v16
	s_delay_alu instid0(VALU_DEP_2) | instskip(NEXT) | instid1(VALU_DEP_1)
	v_fma_f32 v19, v17, v19, v16
	v_add_f32_e32 v15, v15, v19
	s_delay_alu instid0(VALU_DEP_1) | instskip(SKIP_1) | instid1(VALU_DEP_1)
	v_add_f32_e32 v14, v15, v14
	v_lshrrev_b32_e32 v15, 4, v18
	v_and_b32_e32 v15, 0xf0f0f0f, v15
	s_delay_alu instid0(VALU_DEP_1) | instskip(NEXT) | instid1(VALU_DEP_1)
	v_dot4_i32_iu8 v15, v15, v27, 0 neg_lo:[1,1,0]
	v_cvt_f32_i32_e32 v15, v15
	s_delay_alu instid0(VALU_DEP_1)
	v_fmac_f32_e32 v16, v17, v15
	global_load_b32 v17, v[10:11], off offset:20
	global_load_b32 v15, v[12:13], off offset:24
	v_add_f32_e32 v14, v14, v16
	s_waitcnt vmcnt(1)
	v_cvt_f32_f16_e32 v18, v17
	v_lshrrev_b32_e32 v17, 16, v17
	s_delay_alu instid0(VALU_DEP_1) | instskip(SKIP_3) | instid1(VALU_DEP_3)
	v_cvt_f32_f16_e32 v17, v17
	s_waitcnt vmcnt(0)
	v_and_b32_e32 v16, 0xf0f0f0f, v15
	v_lshrrev_b32_e32 v15, 4, v15
	v_mul_f32_e32 v17, v3, v17
	s_delay_alu instid0(VALU_DEP_3) | instskip(NEXT) | instid1(VALU_DEP_3)
	v_dot4_i32_iu8 v16, v16, v28, 0 neg_lo:[1,1,0]
	v_dual_mul_f32 v18, v2, v18 :: v_dual_and_b32 v15, 0xf0f0f0f, v15
	s_delay_alu instid0(VALU_DEP_3) | instskip(NEXT) | instid1(VALU_DEP_3)
	v_mul_f32_e32 v17, 0x3e000000, v17
	v_cvt_f32_i32_e32 v16, v16
	s_delay_alu instid0(VALU_DEP_3) | instskip(NEXT) | instid1(VALU_DEP_2)
	v_dot4_i32_iu8 v15, v15, v30, 0 neg_lo:[1,1,0]
	v_fma_f32 v16, v18, v16, v17
	s_delay_alu instid0(VALU_DEP_2) | instskip(NEXT) | instid1(VALU_DEP_2)
	v_cvt_f32_i32_e32 v15, v15
	v_add_f32_e32 v14, v14, v16
	global_load_b32 v16, v[12:13], off offset:32
	v_fma_f32 v15, v18, v15, v17
	s_waitcnt vmcnt(0)
	v_and_b32_e32 v19, 0xf0f0f0f, v16
	s_delay_alu instid0(VALU_DEP_1) | instskip(NEXT) | instid1(VALU_DEP_1)
	v_dot4_i32_iu8 v19, v19, v29, 0 neg_lo:[1,1,0]
	v_cvt_f32_i32_e32 v19, v19
	s_delay_alu instid0(VALU_DEP_1) | instskip(NEXT) | instid1(VALU_DEP_1)
	v_fma_f32 v19, v18, v19, v17
	v_add_f32_e32 v14, v14, v19
	s_delay_alu instid0(VALU_DEP_1) | instskip(SKIP_1) | instid1(VALU_DEP_1)
	v_add_f32_e32 v14, v14, v15
	v_lshrrev_b32_e32 v15, 4, v16
	v_and_b32_e32 v15, 0xf0f0f0f, v15
	s_delay_alu instid0(VALU_DEP_1) | instskip(NEXT) | instid1(VALU_DEP_1)
	v_dot4_i32_iu8 v15, v15, v31, 0 neg_lo:[1,1,0]
	v_cvt_f32_i32_e32 v15, v15
	s_delay_alu instid0(VALU_DEP_1)
	v_fmac_f32_e32 v17, v18, v15
	global_load_b32 v15, v[12:13], off offset:44
	v_add_f32_e32 v14, v14, v17
	s_clause 0x1
	global_load_b32 v17, v[10:11], off offset:40
	global_load_b32 v10, v[10:11], off offset:60
	s_waitcnt vmcnt(2)
	v_and_b32_e32 v16, 0xf0f0f0f, v15
	v_lshrrev_b32_e32 v15, 4, v15
	s_waitcnt vmcnt(1)
	v_cvt_f32_f16_e32 v18, v17
	v_lshrrev_b32_e32 v17, 16, v17
	v_dot4_i32_iu8 v16, v16, v32, 0 neg_lo:[1,1,0]
	v_and_b32_e32 v15, 0xf0f0f0f, v15
	s_waitcnt vmcnt(0)
	v_cvt_f32_f16_e32 v11, v10
	v_mul_f32_e32 v18, v4, v18
	v_cvt_f32_f16_e32 v17, v17
	v_cvt_f32_i32_e32 v16, v16
	v_dot4_i32_iu8 v15, v15, v34, 0 neg_lo:[1,1,0]
	v_lshrrev_b32_e32 v10, 16, v10
	v_mul_f32_e32 v11, v6, v11
	v_mul_f32_e32 v17, v5, v17
	s_delay_alu instid0(VALU_DEP_4) | instskip(NEXT) | instid1(VALU_DEP_4)
	v_cvt_f32_i32_e32 v15, v15
	v_cvt_f32_f16_e32 v10, v10
	s_delay_alu instid0(VALU_DEP_1) | instskip(NEXT) | instid1(VALU_DEP_1)
	v_dual_mul_f32 v17, 0x3e000000, v17 :: v_dual_mul_f32 v10, v7, v10
	v_fma_f32 v16, v18, v16, v17
	s_delay_alu instid0(VALU_DEP_2) | instskip(NEXT) | instid1(VALU_DEP_2)
	v_mul_f32_e32 v10, 0x3e000000, v10
	v_add_f32_e32 v14, v14, v16
	global_load_b32 v16, v[12:13], off offset:52
	v_fma_f32 v15, v18, v15, v17
	s_waitcnt vmcnt(0)
	v_and_b32_e32 v19, 0xf0f0f0f, v16
	s_delay_alu instid0(VALU_DEP_1) | instskip(NEXT) | instid1(VALU_DEP_1)
	v_dot4_i32_iu8 v19, v19, v33, 0 neg_lo:[1,1,0]
	v_cvt_f32_i32_e32 v19, v19
	s_delay_alu instid0(VALU_DEP_1) | instskip(NEXT) | instid1(VALU_DEP_1)
	v_fma_f32 v19, v18, v19, v17
	v_add_f32_e32 v14, v14, v19
	s_delay_alu instid0(VALU_DEP_1) | instskip(SKIP_1) | instid1(VALU_DEP_1)
	v_add_f32_e32 v14, v14, v15
	v_lshrrev_b32_e32 v15, 4, v16
	v_and_b32_e32 v15, 0xf0f0f0f, v15
	s_delay_alu instid0(VALU_DEP_1) | instskip(NEXT) | instid1(VALU_DEP_1)
	v_dot4_i32_iu8 v15, v15, v35, 0 neg_lo:[1,1,0]
	v_cvt_f32_i32_e32 v15, v15
	s_delay_alu instid0(VALU_DEP_1)
	v_fmac_f32_e32 v17, v18, v15
	s_clause 0x1
	global_load_b32 v15, v[12:13], off offset:64
	global_load_b32 v12, v[12:13], off offset:72
	v_add_f32_e32 v14, v14, v17
	s_waitcnt vmcnt(1)
	v_and_b32_e32 v16, 0xf0f0f0f, v15
	s_waitcnt vmcnt(0)
	v_and_b32_e32 v13, 0xf0f0f0f, v12
	v_lshrrev_b32_e32 v12, 4, v12
	s_delay_alu instid0(VALU_DEP_3) | instskip(NEXT) | instid1(VALU_DEP_3)
	v_dot4_i32_iu8 v16, v16, v36, 0 neg_lo:[1,1,0]
	v_dot4_i32_iu8 v13, v13, v37, 0 neg_lo:[1,1,0]
	s_delay_alu instid0(VALU_DEP_3) | instskip(NEXT) | instid1(VALU_DEP_3)
	v_and_b32_e32 v12, 0xf0f0f0f, v12
	v_cvt_f32_i32_e32 v16, v16
	s_delay_alu instid0(VALU_DEP_3) | instskip(NEXT) | instid1(VALU_DEP_3)
	v_cvt_f32_i32_e32 v13, v13
	v_dot4_i32_iu8 v12, v12, v39, 0 neg_lo:[1,1,0]
	s_delay_alu instid0(VALU_DEP_3) | instskip(NEXT) | instid1(VALU_DEP_3)
	v_fma_f32 v16, v11, v16, v10
	v_fma_f32 v13, v11, v13, v10
	s_delay_alu instid0(VALU_DEP_3) | instskip(NEXT) | instid1(VALU_DEP_3)
	v_cvt_f32_i32_e32 v12, v12
	v_add_f32_e32 v14, v14, v16
	s_delay_alu instid0(VALU_DEP_1) | instskip(SKIP_1) | instid1(VALU_DEP_1)
	v_add_f32_e32 v13, v14, v13
	v_lshrrev_b32_e32 v14, 4, v15
	v_and_b32_e32 v14, 0xf0f0f0f, v14
	s_delay_alu instid0(VALU_DEP_1) | instskip(NEXT) | instid1(VALU_DEP_1)
	v_dot4_i32_iu8 v14, v14, v38, 0 neg_lo:[1,1,0]
	v_cvt_f32_i32_e32 v14, v14
	s_delay_alu instid0(VALU_DEP_1) | instskip(NEXT) | instid1(VALU_DEP_1)
	v_fma_f32 v14, v11, v14, v10
	v_dual_fmac_f32 v10, v11, v12 :: v_dual_add_f32 v13, v13, v14
	s_delay_alu instid0(VALU_DEP_1)
	v_add_f32_e32 v10, v13, v10
	ds_bpermute_b32 v11, v49, v10
	s_waitcnt lgkmcnt(0)
	v_add_f32_e32 v10, v10, v11
	s_cbranch_vccnz .LBB14_15
; %bb.14:                               ;   in Loop: Header=BB14_11 Depth=1
	global_load_u16 v11, v[40:41], off
	s_waitcnt vmcnt(0)
	v_fma_mix_f32 v10, v45, v11, v10 op_sel_hi:[0,1,0]
.LBB14_15:                              ;   in Loop: Header=BB14_11 Depth=1
	s_delay_alu instid0(VALU_DEP_1) | instskip(SKIP_2) | instid1(SALU_CYCLE_1)
	v_dual_add_f32 v11, 0x40051340, v9 :: v_dual_add_f32 v12, 0x40051340, v10
	v_cndmask_b32_e64 v9, v10, v9, s3
	s_add_i32 s8, s8, s10
	s_cmp_ge_i32 s8, s38
	s_delay_alu instid0(VALU_DEP_2) | instskip(SKIP_3) | instid1(VALU_DEP_1)
	v_max3_f32 v11, v8, v11, v12
	ds_bpermute_b32 v12, v50, v11
	s_waitcnt lgkmcnt(0)
	v_max_f32_e32 v12, v12, v12
	v_max_f32_e32 v11, v11, v12
	ds_bpermute_b32 v12, v51, v11
	s_waitcnt lgkmcnt(0)
	v_max_f32_e32 v12, v12, v12
	s_delay_alu instid0(VALU_DEP_1) | instskip(SKIP_3) | instid1(VALU_DEP_1)
	v_max_f32_e32 v11, v11, v12
	ds_bpermute_b32 v12, v52, v11
	s_waitcnt lgkmcnt(0)
	v_max_f32_e32 v12, v12, v12
	v_max_f32_e32 v11, v11, v12
	ds_bpermute_b32 v12, v53, v11
	s_waitcnt lgkmcnt(0)
	v_max_f32_e32 v12, v12, v12
	s_delay_alu instid0(VALU_DEP_1) | instskip(NEXT) | instid1(VALU_DEP_1)
	v_max_f32_e32 v194, v11, v12
	v_sub_f32_e32 v8, v8, v194
	s_delay_alu instid0(VALU_DEP_1) | instskip(SKIP_1) | instid1(VALU_DEP_2)
	v_mul_f32_e32 v10, 0x3fb8aa3b, v8
	v_cmp_ngt_f32_e32 vcc_lo, 0xc2ce8ed0, v8
	v_fma_f32 v11, 0x3fb8aa3b, v8, -v10
	v_rndne_f32_e32 v12, v10
	s_delay_alu instid0(VALU_DEP_2) | instskip(NEXT) | instid1(VALU_DEP_2)
	v_fmac_f32_e32 v11, 0x32a5705f, v8
	v_sub_f32_e32 v10, v10, v12
	s_delay_alu instid0(VALU_DEP_1) | instskip(SKIP_1) | instid1(VALU_DEP_2)
	v_add_f32_e32 v10, v10, v11
	v_cvt_i32_f32_e32 v11, v12
	v_exp_f32_e32 v10, v10
	s_waitcnt_depctr 0xfff
	v_ldexp_f32 v10, v10, v11
	s_delay_alu instid0(VALU_DEP_1) | instskip(SKIP_2) | instid1(VALU_DEP_3)
	v_cndmask_b32_e32 v10, 0, v10, vcc_lo
	v_cmp_nlt_f32_e32 vcc_lo, 0x42b17218, v8
	v_sub_f32_e32 v8, v9, v194
	v_cndmask_b32_e32 v195, 0x7f800000, v10, vcc_lo
	s_delay_alu instid0(VALU_DEP_2) | instskip(SKIP_1) | instid1(VALU_DEP_3)
	v_mul_f32_e32 v9, 0x3fb8aa3b, v8
	v_cmp_ngt_f32_e32 vcc_lo, 0xc2ce8ed0, v8
	v_cvt_f16_f32_e64 v202, v195
	s_delay_alu instid0(VALU_DEP_3) | instskip(SKIP_1) | instid1(VALU_DEP_1)
	v_fma_f32 v10, 0x3fb8aa3b, v8, -v9
	v_rndne_f32_e32 v11, v9
	v_dual_fmac_f32 v10, 0x32a5705f, v8 :: v_dual_sub_f32 v9, v9, v11
	s_delay_alu instid0(VALU_DEP_1) | instskip(SKIP_1) | instid1(VALU_DEP_2)
	v_add_f32_e32 v9, v9, v10
	v_cvt_i32_f32_e32 v10, v11
	v_exp_f32_e32 v9, v9
	s_waitcnt_depctr 0xfff
	v_ldexp_f32 v9, v9, v10
	s_delay_alu instid0(VALU_DEP_1) | instskip(SKIP_1) | instid1(VALU_DEP_2)
	v_cndmask_b32_e32 v9, 0, v9, vcc_lo
	v_cmp_nlt_f32_e32 vcc_lo, 0x42b17218, v8
	v_cndmask_b32_e32 v193, 0x7f800000, v9, vcc_lo
	v_add_co_u32 v198, vcc_lo, v57, s15
	v_add_co_ci_u32_e32 v199, vcc_lo, 0, v58, vcc_lo
	v_add_co_u32 v200, vcc_lo, v63, s15
	s_delay_alu instid0(VALU_DEP_4)
	v_cvt_f16_f32_e64 v8, v193
	v_add_co_ci_u32_e32 v201, vcc_lo, 0, v64, vcc_lo
	v_fmac_f32_e32 v193, v192, v195
	ds_store_b16 v47, v8
	ds_load_b128 v[20:23], v54
	ds_load_b128 v[16:19], v54 offset:16
	ds_load_b128 v[12:15], v54 offset:32
	;; [unrolled: 1-line block ×3, first 2 shown]
	global_load_b32 v200, v[200:201], off
	global_load_b32 v198, v[198:199], off
	s_waitcnt vmcnt(1)
	v_ashrrev_i32_e32 v200, v191, v200
	s_delay_alu instid0(VALU_DEP_1) | instskip(SKIP_3) | instid1(VALU_DEP_4)
	v_lshrrev_b32_e32 v203, 8, v200
	v_and_b32_e32 v201, 15, v200
	v_lshrrev_b32_e32 v204, 16, v200
	v_bfe_u32 v200, v200, 24, 4
	v_and_b32_e32 v203, 15, v203
	s_delay_alu instid0(VALU_DEP_4) | instskip(NEXT) | instid1(VALU_DEP_4)
	v_cvt_f16_u16_e64 v199, v201
	v_and_b32_e32 v204, 15, v204
	s_delay_alu instid0(VALU_DEP_4) | instskip(NEXT) | instid1(VALU_DEP_4)
	v_cvt_f16_u16_e64 v200, v200
	v_cvt_f16_u16_e64 v201, v203
	s_delay_alu instid0(VALU_DEP_1) | instskip(NEXT) | instid1(VALU_DEP_4)
	v_pack_b32_f16 v199, v199, v201
	v_cvt_f16_u16_e64 v201, v204
	s_waitcnt vmcnt(0)
	s_delay_alu instid0(VALU_DEP_2) | instskip(NEXT) | instid1(VALU_DEP_2)
	v_pk_fma_f16 v199, v198, v199, v198 op_sel:[0,0,1] op_sel_hi:[0,1,1]
	v_pack_b32_f16 v200, v201, v200
	s_waitcnt lgkmcnt(3)
	s_delay_alu instid0(VALU_DEP_2) | instskip(NEXT) | instid1(VALU_DEP_2)
	v_pk_mul_f16 v199, v20, v199 op_sel_hi:[0,1]
	v_pk_fma_f16 v198, v198, v200, v198 op_sel:[0,0,1] op_sel_hi:[0,1,1]
	s_delay_alu instid0(VALU_DEP_2) | instskip(NEXT) | instid1(VALU_DEP_2)
	v_pk_fma_f16 v200, v202, v196, v199 op_sel_hi:[0,1,1]
	v_pk_mul_f16 v196, v20, v198 op_sel_hi:[0,1]
	s_delay_alu instid0(VALU_DEP_1)
	v_pk_fma_f16 v201, v202, v197, v196 op_sel_hi:[0,1,1]
	v_add_co_u32 v196, vcc_lo, v65, s15
	v_add_co_ci_u32_e32 v197, vcc_lo, 0, v66, vcc_lo
	v_add_co_u32 v198, vcc_lo, v67, s15
	v_add_co_ci_u32_e32 v199, vcc_lo, 0, v68, vcc_lo
	global_load_b32 v196, v[196:197], off
	global_load_b32 v198, v[198:199], off
	s_waitcnt vmcnt(0)
	v_ashrrev_i32_e32 v198, v191, v198
	s_delay_alu instid0(VALU_DEP_1) | instskip(SKIP_3) | instid1(VALU_DEP_4)
	v_lshrrev_b32_e32 v202, 8, v198
	v_and_b32_e32 v199, 15, v198
	v_lshrrev_b32_e32 v203, 16, v198
	v_bfe_u32 v198, v198, 24, 4
	v_and_b32_e32 v202, 15, v202
	s_delay_alu instid0(VALU_DEP_4) | instskip(NEXT) | instid1(VALU_DEP_4)
	v_cvt_f16_u16_e64 v197, v199
	v_and_b32_e32 v203, 15, v203
	s_delay_alu instid0(VALU_DEP_4) | instskip(NEXT) | instid1(VALU_DEP_4)
	v_cvt_f16_u16_e64 v198, v198
	v_cvt_f16_u16_e64 v199, v202
	s_delay_alu instid0(VALU_DEP_1) | instskip(NEXT) | instid1(VALU_DEP_4)
	v_pack_b32_f16 v197, v197, v199
	v_cvt_f16_u16_e64 v199, v203
	s_delay_alu instid0(VALU_DEP_2) | instskip(NEXT) | instid1(VALU_DEP_2)
	v_pk_fma_f16 v197, v196, v197, v196 op_sel:[0,0,1] op_sel_hi:[0,1,1]
	v_pack_b32_f16 v198, v199, v198
	s_delay_alu instid0(VALU_DEP_2) | instskip(NEXT) | instid1(VALU_DEP_2)
	v_pk_fma_f16 v200, v20, v197, v200 op_sel:[1,0,0]
	v_pk_fma_f16 v196, v196, v198, v196 op_sel:[0,0,1] op_sel_hi:[0,1,1]
	s_delay_alu instid0(VALU_DEP_1)
	v_pk_fma_f16 v20, v20, v196, v201 op_sel:[1,0,0]
	v_add_co_u32 v196, vcc_lo, v189, s15
	v_add_co_ci_u32_e32 v197, vcc_lo, 0, v190, vcc_lo
	v_add_co_u32 v198, vcc_lo, v187, s15
	v_add_co_ci_u32_e32 v199, vcc_lo, 0, v188, vcc_lo
	global_load_b32 v196, v[196:197], off
	global_load_b32 v198, v[198:199], off
	s_waitcnt vmcnt(0)
	v_ashrrev_i32_e32 v198, v191, v198
	s_delay_alu instid0(VALU_DEP_1) | instskip(SKIP_3) | instid1(VALU_DEP_4)
	v_lshrrev_b32_e32 v201, 8, v198
	v_and_b32_e32 v199, 15, v198
	v_lshrrev_b32_e32 v202, 16, v198
	v_bfe_u32 v198, v198, 24, 4
	v_and_b32_e32 v201, 15, v201
	s_delay_alu instid0(VALU_DEP_4) | instskip(NEXT) | instid1(VALU_DEP_4)
	v_cvt_f16_u16_e64 v197, v199
	v_and_b32_e32 v202, 15, v202
	s_delay_alu instid0(VALU_DEP_4) | instskip(NEXT) | instid1(VALU_DEP_4)
	v_cvt_f16_u16_e64 v198, v198
	v_cvt_f16_u16_e64 v199, v201
	s_delay_alu instid0(VALU_DEP_1) | instskip(NEXT) | instid1(VALU_DEP_4)
	v_pack_b32_f16 v197, v197, v199
	v_cvt_f16_u16_e64 v199, v202
	s_delay_alu instid0(VALU_DEP_2) | instskip(NEXT) | instid1(VALU_DEP_2)
	v_pk_fma_f16 v197, v196, v197, v196 op_sel:[0,0,1] op_sel_hi:[0,1,1]
	v_pack_b32_f16 v198, v199, v198
	s_delay_alu instid0(VALU_DEP_2) | instskip(NEXT) | instid1(VALU_DEP_2)
	v_pk_fma_f16 v200, v21, v197, v200 op_sel_hi:[0,1,1]
	v_pk_fma_f16 v196, v196, v198, v196 op_sel:[0,0,1] op_sel_hi:[0,1,1]
	s_delay_alu instid0(VALU_DEP_1)
	v_pk_fma_f16 v20, v21, v196, v20 op_sel_hi:[0,1,1]
	v_add_co_u32 v196, vcc_lo, v185, s15
	v_add_co_ci_u32_e32 v197, vcc_lo, 0, v186, vcc_lo
	v_add_co_u32 v198, vcc_lo, v183, s15
	v_add_co_ci_u32_e32 v199, vcc_lo, 0, v184, vcc_lo
	global_load_b32 v196, v[196:197], off
	global_load_b32 v198, v[198:199], off
	s_waitcnt vmcnt(0)
	v_ashrrev_i32_e32 v198, v191, v198
	s_delay_alu instid0(VALU_DEP_1) | instskip(SKIP_3) | instid1(VALU_DEP_4)
	v_lshrrev_b32_e32 v201, 8, v198
	v_and_b32_e32 v199, 15, v198
	v_lshrrev_b32_e32 v202, 16, v198
	v_bfe_u32 v198, v198, 24, 4
	v_and_b32_e32 v201, 15, v201
	s_delay_alu instid0(VALU_DEP_4) | instskip(NEXT) | instid1(VALU_DEP_4)
	v_cvt_f16_u16_e64 v197, v199
	v_and_b32_e32 v202, 15, v202
	s_delay_alu instid0(VALU_DEP_4) | instskip(NEXT) | instid1(VALU_DEP_4)
	v_cvt_f16_u16_e64 v198, v198
	v_cvt_f16_u16_e64 v199, v201
	s_delay_alu instid0(VALU_DEP_1) | instskip(NEXT) | instid1(VALU_DEP_4)
	v_pack_b32_f16 v197, v197, v199
	v_cvt_f16_u16_e64 v199, v202
	s_delay_alu instid0(VALU_DEP_2) | instskip(NEXT) | instid1(VALU_DEP_2)
	v_pk_fma_f16 v197, v196, v197, v196 op_sel:[0,0,1] op_sel_hi:[0,1,1]
	v_pack_b32_f16 v198, v199, v198
	s_delay_alu instid0(VALU_DEP_1) | instskip(NEXT) | instid1(VALU_DEP_3)
	v_pk_fma_f16 v196, v196, v198, v196 op_sel:[0,0,1] op_sel_hi:[0,1,1]
	v_pk_fma_f16 v198, v21, v197, v200 op_sel:[1,0,0]
	s_delay_alu instid0(VALU_DEP_2)
	v_pk_fma_f16 v199, v21, v196, v20 op_sel:[1,0,0]
	v_add_co_u32 v20, vcc_lo, v181, s15
	v_add_co_ci_u32_e32 v21, vcc_lo, 0, v182, vcc_lo
	v_add_co_u32 v196, vcc_lo, v179, s15
	v_add_co_ci_u32_e32 v197, vcc_lo, 0, v180, vcc_lo
	global_load_b32 v20, v[20:21], off
	global_load_b32 v196, v[196:197], off
	s_waitcnt vmcnt(0)
	v_ashrrev_i32_e32 v196, v191, v196
	s_delay_alu instid0(VALU_DEP_1) | instskip(SKIP_3) | instid1(VALU_DEP_4)
	v_lshrrev_b32_e32 v200, 8, v196
	v_and_b32_e32 v197, 15, v196
	v_lshrrev_b32_e32 v201, 16, v196
	v_bfe_u32 v196, v196, 24, 4
	v_and_b32_e32 v200, 15, v200
	s_delay_alu instid0(VALU_DEP_4) | instskip(NEXT) | instid1(VALU_DEP_4)
	v_cvt_f16_u16_e64 v21, v197
	v_and_b32_e32 v201, 15, v201
	s_delay_alu instid0(VALU_DEP_4) | instskip(NEXT) | instid1(VALU_DEP_4)
	v_cvt_f16_u16_e64 v196, v196
	v_cvt_f16_u16_e64 v197, v200
	s_delay_alu instid0(VALU_DEP_1) | instskip(NEXT) | instid1(VALU_DEP_4)
	v_pack_b32_f16 v21, v21, v197
	v_cvt_f16_u16_e64 v197, v201
	s_delay_alu instid0(VALU_DEP_2) | instskip(NEXT) | instid1(VALU_DEP_2)
	v_pk_fma_f16 v21, v20, v21, v20 op_sel:[0,0,1] op_sel_hi:[0,1,1]
	v_pack_b32_f16 v196, v197, v196
	s_delay_alu instid0(VALU_DEP_2) | instskip(NEXT) | instid1(VALU_DEP_2)
	v_pk_fma_f16 v198, v22, v21, v198 op_sel_hi:[0,1,1]
	v_pk_fma_f16 v20, v20, v196, v20 op_sel:[0,0,1] op_sel_hi:[0,1,1]
	s_delay_alu instid0(VALU_DEP_1)
	v_pk_fma_f16 v199, v22, v20, v199 op_sel_hi:[0,1,1]
	v_add_co_u32 v20, vcc_lo, v177, s15
	v_add_co_ci_u32_e32 v21, vcc_lo, 0, v178, vcc_lo
	v_add_co_u32 v196, vcc_lo, v175, s15
	v_add_co_ci_u32_e32 v197, vcc_lo, 0, v176, vcc_lo
	global_load_b32 v20, v[20:21], off
	global_load_b32 v196, v[196:197], off
	s_waitcnt vmcnt(0)
	v_ashrrev_i32_e32 v196, v191, v196
	s_delay_alu instid0(VALU_DEP_1) | instskip(SKIP_3) | instid1(VALU_DEP_4)
	v_lshrrev_b32_e32 v200, 8, v196
	v_and_b32_e32 v197, 15, v196
	v_lshrrev_b32_e32 v201, 16, v196
	v_bfe_u32 v196, v196, 24, 4
	v_and_b32_e32 v200, 15, v200
	s_delay_alu instid0(VALU_DEP_4) | instskip(NEXT) | instid1(VALU_DEP_4)
	v_cvt_f16_u16_e64 v21, v197
	v_and_b32_e32 v201, 15, v201
	s_delay_alu instid0(VALU_DEP_4) | instskip(NEXT) | instid1(VALU_DEP_4)
	v_cvt_f16_u16_e64 v196, v196
	v_cvt_f16_u16_e64 v197, v200
	s_delay_alu instid0(VALU_DEP_1) | instskip(NEXT) | instid1(VALU_DEP_4)
	v_pack_b32_f16 v21, v21, v197
	v_cvt_f16_u16_e64 v197, v201
	s_delay_alu instid0(VALU_DEP_2) | instskip(NEXT) | instid1(VALU_DEP_2)
	v_pk_fma_f16 v21, v20, v21, v20 op_sel:[0,0,1] op_sel_hi:[0,1,1]
	v_pack_b32_f16 v196, v197, v196
	s_delay_alu instid0(VALU_DEP_2) | instskip(NEXT) | instid1(VALU_DEP_2)
	v_pk_fma_f16 v198, v22, v21, v198 op_sel:[1,0,0]
	v_pk_fma_f16 v20, v20, v196, v20 op_sel:[0,0,1] op_sel_hi:[0,1,1]
	s_delay_alu instid0(VALU_DEP_1)
	v_pk_fma_f16 v22, v22, v20, v199 op_sel:[1,0,0]
	v_add_co_u32 v20, vcc_lo, v173, s15
	v_add_co_ci_u32_e32 v21, vcc_lo, 0, v174, vcc_lo
	v_add_co_u32 v196, vcc_lo, v171, s15
	v_add_co_ci_u32_e32 v197, vcc_lo, 0, v172, vcc_lo
	global_load_b32 v20, v[20:21], off
	global_load_b32 v196, v[196:197], off
	s_waitcnt vmcnt(0)
	v_ashrrev_i32_e32 v196, v191, v196
	s_delay_alu instid0(VALU_DEP_1) | instskip(SKIP_3) | instid1(VALU_DEP_4)
	v_lshrrev_b32_e32 v199, 8, v196
	v_and_b32_e32 v197, 15, v196
	v_lshrrev_b32_e32 v200, 16, v196
	v_bfe_u32 v196, v196, 24, 4
	v_and_b32_e32 v199, 15, v199
	s_delay_alu instid0(VALU_DEP_4) | instskip(NEXT) | instid1(VALU_DEP_4)
	v_cvt_f16_u16_e64 v21, v197
	v_and_b32_e32 v200, 15, v200
	s_delay_alu instid0(VALU_DEP_4) | instskip(NEXT) | instid1(VALU_DEP_4)
	v_cvt_f16_u16_e64 v196, v196
	v_cvt_f16_u16_e64 v197, v199
	s_delay_alu instid0(VALU_DEP_1) | instskip(NEXT) | instid1(VALU_DEP_4)
	v_pack_b32_f16 v21, v21, v197
	v_cvt_f16_u16_e64 v197, v200
	s_delay_alu instid0(VALU_DEP_2) | instskip(NEXT) | instid1(VALU_DEP_2)
	v_pk_fma_f16 v21, v20, v21, v20 op_sel:[0,0,1] op_sel_hi:[0,1,1]
	v_pack_b32_f16 v196, v197, v196
	s_delay_alu instid0(VALU_DEP_2) | instskip(NEXT) | instid1(VALU_DEP_2)
	v_pk_fma_f16 v198, v23, v21, v198 op_sel_hi:[0,1,1]
	v_pk_fma_f16 v20, v20, v196, v20 op_sel:[0,0,1] op_sel_hi:[0,1,1]
	s_delay_alu instid0(VALU_DEP_1)
	v_pk_fma_f16 v22, v23, v20, v22 op_sel_hi:[0,1,1]
	v_add_co_u32 v20, vcc_lo, v169, s15
	v_add_co_ci_u32_e32 v21, vcc_lo, 0, v170, vcc_lo
	v_add_co_u32 v196, vcc_lo, v167, s15
	v_add_co_ci_u32_e32 v197, vcc_lo, 0, v168, vcc_lo
	global_load_b32 v20, v[20:21], off
	global_load_b32 v196, v[196:197], off
	s_waitcnt vmcnt(0)
	v_ashrrev_i32_e32 v196, v191, v196
	s_delay_alu instid0(VALU_DEP_1) | instskip(SKIP_3) | instid1(VALU_DEP_4)
	v_lshrrev_b32_e32 v199, 8, v196
	v_and_b32_e32 v197, 15, v196
	v_lshrrev_b32_e32 v200, 16, v196
	v_bfe_u32 v196, v196, 24, 4
	v_and_b32_e32 v199, 15, v199
	s_delay_alu instid0(VALU_DEP_4) | instskip(NEXT) | instid1(VALU_DEP_4)
	v_cvt_f16_u16_e64 v21, v197
	v_and_b32_e32 v200, 15, v200
	s_delay_alu instid0(VALU_DEP_4) | instskip(NEXT) | instid1(VALU_DEP_4)
	v_cvt_f16_u16_e64 v196, v196
	v_cvt_f16_u16_e64 v197, v199
	s_delay_alu instid0(VALU_DEP_1) | instskip(NEXT) | instid1(VALU_DEP_4)
	v_pack_b32_f16 v21, v21, v197
	v_cvt_f16_u16_e64 v197, v200
	s_delay_alu instid0(VALU_DEP_2) | instskip(NEXT) | instid1(VALU_DEP_2)
	v_pk_fma_f16 v21, v20, v21, v20 op_sel:[0,0,1] op_sel_hi:[0,1,1]
	v_pack_b32_f16 v196, v197, v196
	s_delay_alu instid0(VALU_DEP_1) | instskip(NEXT) | instid1(VALU_DEP_3)
	v_pk_fma_f16 v20, v20, v196, v20 op_sel:[0,0,1] op_sel_hi:[0,1,1]
	v_pk_fma_f16 v196, v23, v21, v198 op_sel:[1,0,0]
	s_delay_alu instid0(VALU_DEP_2)
	v_pk_fma_f16 v197, v23, v20, v22 op_sel:[1,0,0]
	v_add_co_u32 v20, vcc_lo, v165, s15
	v_add_co_ci_u32_e32 v21, vcc_lo, 0, v166, vcc_lo
	v_add_co_u32 v22, vcc_lo, v163, s15
	v_add_co_ci_u32_e32 v23, vcc_lo, 0, v164, vcc_lo
	global_load_b32 v20, v[20:21], off
	global_load_b32 v22, v[22:23], off
	s_waitcnt vmcnt(0)
	v_ashrrev_i32_e32 v22, v191, v22
	s_delay_alu instid0(VALU_DEP_1) | instskip(SKIP_3) | instid1(VALU_DEP_4)
	v_lshrrev_b32_e32 v198, 8, v22
	v_and_b32_e32 v23, 15, v22
	v_lshrrev_b32_e32 v199, 16, v22
	v_bfe_u32 v22, v22, 24, 4
	v_and_b32_e32 v198, 15, v198
	s_delay_alu instid0(VALU_DEP_4) | instskip(NEXT) | instid1(VALU_DEP_4)
	v_cvt_f16_u16_e32 v21, v23
	v_and_b32_e32 v199, 15, v199
	s_delay_alu instid0(VALU_DEP_4) | instskip(NEXT) | instid1(VALU_DEP_4)
	v_cvt_f16_u16_e32 v22, v22
	v_cvt_f16_u16_e64 v23, v198
	s_delay_alu instid0(VALU_DEP_1) | instskip(NEXT) | instid1(VALU_DEP_4)
	v_pack_b32_f16 v21, v21, v23
	v_cvt_f16_u16_e64 v23, v199
	s_delay_alu instid0(VALU_DEP_2) | instskip(NEXT) | instid1(VALU_DEP_2)
	v_pk_fma_f16 v21, v20, v21, v20 op_sel:[0,0,1] op_sel_hi:[0,1,1]
	v_pack_b32_f16 v22, v23, v22
	s_waitcnt lgkmcnt(2)
	s_delay_alu instid0(VALU_DEP_2) | instskip(NEXT) | instid1(VALU_DEP_2)
	v_pk_fma_f16 v196, v16, v21, v196 op_sel_hi:[0,1,1]
	v_pk_fma_f16 v20, v20, v22, v20 op_sel:[0,0,1] op_sel_hi:[0,1,1]
	s_delay_alu instid0(VALU_DEP_1)
	v_pk_fma_f16 v197, v16, v20, v197 op_sel_hi:[0,1,1]
	v_add_co_u32 v20, vcc_lo, v161, s15
	v_add_co_ci_u32_e32 v21, vcc_lo, 0, v162, vcc_lo
	v_add_co_u32 v22, vcc_lo, v159, s15
	v_add_co_ci_u32_e32 v23, vcc_lo, 0, v160, vcc_lo
	global_load_b32 v20, v[20:21], off
	global_load_b32 v22, v[22:23], off
	s_waitcnt vmcnt(0)
	v_ashrrev_i32_e32 v22, v191, v22
	s_delay_alu instid0(VALU_DEP_1) | instskip(SKIP_3) | instid1(VALU_DEP_4)
	v_lshrrev_b32_e32 v198, 8, v22
	v_and_b32_e32 v23, 15, v22
	v_lshrrev_b32_e32 v199, 16, v22
	v_bfe_u32 v22, v22, 24, 4
	v_and_b32_e32 v198, 15, v198
	s_delay_alu instid0(VALU_DEP_4) | instskip(NEXT) | instid1(VALU_DEP_4)
	v_cvt_f16_u16_e32 v21, v23
	v_and_b32_e32 v199, 15, v199
	s_delay_alu instid0(VALU_DEP_4) | instskip(NEXT) | instid1(VALU_DEP_4)
	v_cvt_f16_u16_e32 v22, v22
	v_cvt_f16_u16_e64 v23, v198
	s_delay_alu instid0(VALU_DEP_1) | instskip(NEXT) | instid1(VALU_DEP_4)
	v_pack_b32_f16 v21, v21, v23
	v_cvt_f16_u16_e64 v23, v199
	s_delay_alu instid0(VALU_DEP_2) | instskip(NEXT) | instid1(VALU_DEP_2)
	v_pk_fma_f16 v21, v20, v21, v20 op_sel:[0,0,1] op_sel_hi:[0,1,1]
	v_pack_b32_f16 v22, v23, v22
	s_delay_alu instid0(VALU_DEP_2) | instskip(NEXT) | instid1(VALU_DEP_2)
	v_pk_fma_f16 v196, v16, v21, v196 op_sel:[1,0,0]
	v_pk_fma_f16 v20, v20, v22, v20 op_sel:[0,0,1] op_sel_hi:[0,1,1]
	s_delay_alu instid0(VALU_DEP_1)
	v_pk_fma_f16 v16, v16, v20, v197 op_sel:[1,0,0]
	v_add_co_u32 v20, vcc_lo, v157, s15
	v_add_co_ci_u32_e32 v21, vcc_lo, 0, v158, vcc_lo
	v_add_co_u32 v22, vcc_lo, v155, s15
	v_add_co_ci_u32_e32 v23, vcc_lo, 0, v156, vcc_lo
	global_load_b32 v20, v[20:21], off
	global_load_b32 v22, v[22:23], off
	s_waitcnt vmcnt(0)
	v_ashrrev_i32_e32 v22, v191, v22
	s_delay_alu instid0(VALU_DEP_1) | instskip(SKIP_3) | instid1(VALU_DEP_4)
	v_lshrrev_b32_e32 v197, 8, v22
	v_and_b32_e32 v23, 15, v22
	v_lshrrev_b32_e32 v198, 16, v22
	v_bfe_u32 v22, v22, 24, 4
	v_and_b32_e32 v197, 15, v197
	s_delay_alu instid0(VALU_DEP_4) | instskip(NEXT) | instid1(VALU_DEP_4)
	v_cvt_f16_u16_e32 v21, v23
	v_and_b32_e32 v198, 15, v198
	s_delay_alu instid0(VALU_DEP_4) | instskip(NEXT) | instid1(VALU_DEP_4)
	v_cvt_f16_u16_e32 v22, v22
	v_cvt_f16_u16_e64 v23, v197
	s_delay_alu instid0(VALU_DEP_1) | instskip(NEXT) | instid1(VALU_DEP_4)
	v_pack_b32_f16 v21, v21, v23
	v_cvt_f16_u16_e64 v23, v198
	s_delay_alu instid0(VALU_DEP_2) | instskip(NEXT) | instid1(VALU_DEP_2)
	v_pk_fma_f16 v21, v20, v21, v20 op_sel:[0,0,1] op_sel_hi:[0,1,1]
	v_pack_b32_f16 v22, v23, v22
	s_delay_alu instid0(VALU_DEP_2) | instskip(NEXT) | instid1(VALU_DEP_2)
	v_pk_fma_f16 v196, v17, v21, v196 op_sel_hi:[0,1,1]
	v_pk_fma_f16 v20, v20, v22, v20 op_sel:[0,0,1] op_sel_hi:[0,1,1]
	s_delay_alu instid0(VALU_DEP_1)
	v_pk_fma_f16 v16, v17, v20, v16 op_sel_hi:[0,1,1]
	v_add_co_u32 v20, vcc_lo, v153, s15
	v_add_co_ci_u32_e32 v21, vcc_lo, 0, v154, vcc_lo
	v_add_co_u32 v22, vcc_lo, v151, s15
	v_add_co_ci_u32_e32 v23, vcc_lo, 0, v152, vcc_lo
	global_load_b32 v20, v[20:21], off
	global_load_b32 v22, v[22:23], off
	s_waitcnt vmcnt(0)
	v_ashrrev_i32_e32 v22, v191, v22
	s_delay_alu instid0(VALU_DEP_1) | instskip(SKIP_3) | instid1(VALU_DEP_4)
	v_lshrrev_b32_e32 v197, 8, v22
	v_and_b32_e32 v23, 15, v22
	v_lshrrev_b32_e32 v198, 16, v22
	v_bfe_u32 v22, v22, 24, 4
	v_and_b32_e32 v197, 15, v197
	s_delay_alu instid0(VALU_DEP_4) | instskip(NEXT) | instid1(VALU_DEP_4)
	v_cvt_f16_u16_e32 v21, v23
	v_and_b32_e32 v198, 15, v198
	s_delay_alu instid0(VALU_DEP_4) | instskip(NEXT) | instid1(VALU_DEP_4)
	v_cvt_f16_u16_e32 v22, v22
	v_cvt_f16_u16_e64 v23, v197
	s_delay_alu instid0(VALU_DEP_1) | instskip(NEXT) | instid1(VALU_DEP_4)
	v_pack_b32_f16 v21, v21, v23
	v_cvt_f16_u16_e64 v23, v198
	s_delay_alu instid0(VALU_DEP_2) | instskip(NEXT) | instid1(VALU_DEP_2)
	v_pk_fma_f16 v21, v20, v21, v20 op_sel:[0,0,1] op_sel_hi:[0,1,1]
	v_pack_b32_f16 v22, v23, v22
	s_delay_alu instid0(VALU_DEP_1) | instskip(NEXT) | instid1(VALU_DEP_3)
	v_pk_fma_f16 v20, v20, v22, v20 op_sel:[0,0,1] op_sel_hi:[0,1,1]
	v_pk_fma_f16 v22, v17, v21, v196 op_sel:[1,0,0]
	s_delay_alu instid0(VALU_DEP_2)
	v_pk_fma_f16 v23, v17, v20, v16 op_sel:[1,0,0]
	v_add_co_u32 v16, vcc_lo, v149, s15
	v_add_co_ci_u32_e32 v17, vcc_lo, 0, v150, vcc_lo
	v_add_co_u32 v20, vcc_lo, v147, s15
	v_add_co_ci_u32_e32 v21, vcc_lo, 0, v148, vcc_lo
	global_load_b32 v16, v[16:17], off
	global_load_b32 v20, v[20:21], off
	s_waitcnt vmcnt(0)
	v_ashrrev_i32_e32 v20, v191, v20
	s_delay_alu instid0(VALU_DEP_1) | instskip(SKIP_3) | instid1(VALU_DEP_4)
	v_lshrrev_b32_e32 v196, 8, v20
	v_and_b32_e32 v21, 15, v20
	v_lshrrev_b32_e32 v197, 16, v20
	v_bfe_u32 v20, v20, 24, 4
	v_and_b32_e32 v196, 15, v196
	s_delay_alu instid0(VALU_DEP_4) | instskip(NEXT) | instid1(VALU_DEP_4)
	v_cvt_f16_u16_e32 v17, v21
	v_and_b32_e32 v197, 15, v197
	s_delay_alu instid0(VALU_DEP_4) | instskip(NEXT) | instid1(VALU_DEP_4)
	v_cvt_f16_u16_e32 v20, v20
	v_cvt_f16_u16_e64 v21, v196
	s_delay_alu instid0(VALU_DEP_1) | instskip(NEXT) | instid1(VALU_DEP_4)
	v_pack_b32_f16 v17, v17, v21
	v_cvt_f16_u16_e64 v21, v197
	s_delay_alu instid0(VALU_DEP_2) | instskip(NEXT) | instid1(VALU_DEP_2)
	v_pk_fma_f16 v17, v16, v17, v16 op_sel:[0,0,1] op_sel_hi:[0,1,1]
	v_pack_b32_f16 v20, v21, v20
	s_delay_alu instid0(VALU_DEP_2) | instskip(NEXT) | instid1(VALU_DEP_2)
	v_pk_fma_f16 v22, v18, v17, v22 op_sel_hi:[0,1,1]
	v_pk_fma_f16 v16, v16, v20, v16 op_sel:[0,0,1] op_sel_hi:[0,1,1]
	s_delay_alu instid0(VALU_DEP_1)
	v_pk_fma_f16 v23, v18, v16, v23 op_sel_hi:[0,1,1]
	v_add_co_u32 v16, vcc_lo, v145, s15
	v_add_co_ci_u32_e32 v17, vcc_lo, 0, v146, vcc_lo
	v_add_co_u32 v20, vcc_lo, v143, s15
	v_add_co_ci_u32_e32 v21, vcc_lo, 0, v144, vcc_lo
	global_load_b32 v16, v[16:17], off
	global_load_b32 v20, v[20:21], off
	s_waitcnt vmcnt(0)
	v_ashrrev_i32_e32 v20, v191, v20
	s_delay_alu instid0(VALU_DEP_1) | instskip(SKIP_3) | instid1(VALU_DEP_4)
	v_lshrrev_b32_e32 v196, 8, v20
	v_and_b32_e32 v21, 15, v20
	v_lshrrev_b32_e32 v197, 16, v20
	v_bfe_u32 v20, v20, 24, 4
	v_and_b32_e32 v196, 15, v196
	s_delay_alu instid0(VALU_DEP_4) | instskip(NEXT) | instid1(VALU_DEP_4)
	v_cvt_f16_u16_e32 v17, v21
	v_and_b32_e32 v197, 15, v197
	s_delay_alu instid0(VALU_DEP_4) | instskip(NEXT) | instid1(VALU_DEP_4)
	v_cvt_f16_u16_e32 v20, v20
	v_cvt_f16_u16_e64 v21, v196
	s_delay_alu instid0(VALU_DEP_1) | instskip(NEXT) | instid1(VALU_DEP_4)
	v_pack_b32_f16 v17, v17, v21
	v_cvt_f16_u16_e64 v21, v197
	s_delay_alu instid0(VALU_DEP_2) | instskip(NEXT) | instid1(VALU_DEP_2)
	v_pk_fma_f16 v17, v16, v17, v16 op_sel:[0,0,1] op_sel_hi:[0,1,1]
	v_pack_b32_f16 v20, v21, v20
	s_delay_alu instid0(VALU_DEP_2) | instskip(NEXT) | instid1(VALU_DEP_2)
	v_pk_fma_f16 v22, v18, v17, v22 op_sel:[1,0,0]
	v_pk_fma_f16 v16, v16, v20, v16 op_sel:[0,0,1] op_sel_hi:[0,1,1]
	s_delay_alu instid0(VALU_DEP_1)
	v_pk_fma_f16 v18, v18, v16, v23 op_sel:[1,0,0]
	v_add_co_u32 v16, vcc_lo, v141, s15
	v_add_co_ci_u32_e32 v17, vcc_lo, 0, v142, vcc_lo
	v_add_co_u32 v20, vcc_lo, v139, s15
	v_add_co_ci_u32_e32 v21, vcc_lo, 0, v140, vcc_lo
	global_load_b32 v16, v[16:17], off
	global_load_b32 v20, v[20:21], off
	s_waitcnt vmcnt(0)
	v_ashrrev_i32_e32 v20, v191, v20
	s_delay_alu instid0(VALU_DEP_1) | instskip(SKIP_3) | instid1(VALU_DEP_4)
	v_lshrrev_b32_e32 v23, 8, v20
	v_and_b32_e32 v21, 15, v20
	v_lshrrev_b32_e32 v196, 16, v20
	v_bfe_u32 v20, v20, 24, 4
	v_and_b32_e32 v23, 15, v23
	s_delay_alu instid0(VALU_DEP_4) | instskip(NEXT) | instid1(VALU_DEP_4)
	v_cvt_f16_u16_e32 v17, v21
	v_and_b32_e32 v196, 15, v196
	s_delay_alu instid0(VALU_DEP_4) | instskip(NEXT) | instid1(VALU_DEP_4)
	v_cvt_f16_u16_e32 v20, v20
	v_cvt_f16_u16_e32 v21, v23
	s_delay_alu instid0(VALU_DEP_1) | instskip(NEXT) | instid1(VALU_DEP_4)
	v_pack_b32_f16 v17, v17, v21
	v_cvt_f16_u16_e64 v21, v196
	s_delay_alu instid0(VALU_DEP_2) | instskip(NEXT) | instid1(VALU_DEP_2)
	v_pk_fma_f16 v17, v16, v17, v16 op_sel:[0,0,1] op_sel_hi:[0,1,1]
	v_pack_b32_f16 v20, v21, v20
	s_delay_alu instid0(VALU_DEP_2) | instskip(NEXT) | instid1(VALU_DEP_2)
	v_pk_fma_f16 v22, v19, v17, v22 op_sel_hi:[0,1,1]
	v_pk_fma_f16 v16, v16, v20, v16 op_sel:[0,0,1] op_sel_hi:[0,1,1]
	s_delay_alu instid0(VALU_DEP_1)
	v_pk_fma_f16 v18, v19, v16, v18 op_sel_hi:[0,1,1]
	v_add_co_u32 v16, vcc_lo, v137, s15
	v_add_co_ci_u32_e32 v17, vcc_lo, 0, v138, vcc_lo
	v_add_co_u32 v20, vcc_lo, v135, s15
	v_add_co_ci_u32_e32 v21, vcc_lo, 0, v136, vcc_lo
	global_load_b32 v16, v[16:17], off
	global_load_b32 v20, v[20:21], off
	s_waitcnt vmcnt(0)
	v_ashrrev_i32_e32 v20, v191, v20
	s_delay_alu instid0(VALU_DEP_1) | instskip(SKIP_3) | instid1(VALU_DEP_4)
	v_lshrrev_b32_e32 v23, 8, v20
	v_and_b32_e32 v21, 15, v20
	v_lshrrev_b32_e32 v196, 16, v20
	v_bfe_u32 v20, v20, 24, 4
	v_and_b32_e32 v23, 15, v23
	s_delay_alu instid0(VALU_DEP_4) | instskip(NEXT) | instid1(VALU_DEP_4)
	v_cvt_f16_u16_e32 v17, v21
	v_and_b32_e32 v196, 15, v196
	s_delay_alu instid0(VALU_DEP_4) | instskip(NEXT) | instid1(VALU_DEP_4)
	v_cvt_f16_u16_e32 v20, v20
	v_cvt_f16_u16_e32 v21, v23
	s_delay_alu instid0(VALU_DEP_1) | instskip(NEXT) | instid1(VALU_DEP_4)
	v_pack_b32_f16 v17, v17, v21
	v_cvt_f16_u16_e64 v21, v196
	s_delay_alu instid0(VALU_DEP_2) | instskip(NEXT) | instid1(VALU_DEP_2)
	v_pk_fma_f16 v17, v16, v17, v16 op_sel:[0,0,1] op_sel_hi:[0,1,1]
	v_pack_b32_f16 v20, v21, v20
	s_delay_alu instid0(VALU_DEP_1) | instskip(NEXT) | instid1(VALU_DEP_3)
	v_pk_fma_f16 v16, v16, v20, v16 op_sel:[0,0,1] op_sel_hi:[0,1,1]
	v_pk_fma_f16 v20, v19, v17, v22 op_sel:[1,0,0]
	s_delay_alu instid0(VALU_DEP_2)
	v_pk_fma_f16 v21, v19, v16, v18 op_sel:[1,0,0]
	v_add_co_u32 v16, vcc_lo, v133, s15
	v_add_co_ci_u32_e32 v17, vcc_lo, 0, v134, vcc_lo
	v_add_co_u32 v18, vcc_lo, v131, s15
	v_add_co_ci_u32_e32 v19, vcc_lo, 0, v132, vcc_lo
	global_load_b32 v16, v[16:17], off
	global_load_b32 v18, v[18:19], off
	s_waitcnt vmcnt(0)
	v_ashrrev_i32_e32 v18, v191, v18
	s_delay_alu instid0(VALU_DEP_1) | instskip(SKIP_3) | instid1(VALU_DEP_4)
	v_lshrrev_b32_e32 v22, 8, v18
	v_and_b32_e32 v19, 15, v18
	v_lshrrev_b32_e32 v23, 16, v18
	v_bfe_u32 v18, v18, 24, 4
	v_and_b32_e32 v22, 15, v22
	s_delay_alu instid0(VALU_DEP_4) | instskip(NEXT) | instid1(VALU_DEP_4)
	v_cvt_f16_u16_e32 v17, v19
	v_and_b32_e32 v23, 15, v23
	s_delay_alu instid0(VALU_DEP_4) | instskip(NEXT) | instid1(VALU_DEP_4)
	v_cvt_f16_u16_e32 v18, v18
	v_cvt_f16_u16_e32 v19, v22
	s_delay_alu instid0(VALU_DEP_1) | instskip(NEXT) | instid1(VALU_DEP_4)
	v_pack_b32_f16 v17, v17, v19
	v_cvt_f16_u16_e32 v19, v23
	s_delay_alu instid0(VALU_DEP_2) | instskip(NEXT) | instid1(VALU_DEP_2)
	v_pk_fma_f16 v17, v16, v17, v16 op_sel:[0,0,1] op_sel_hi:[0,1,1]
	v_pack_b32_f16 v18, v19, v18
	s_waitcnt lgkmcnt(1)
	s_delay_alu instid0(VALU_DEP_2) | instskip(NEXT) | instid1(VALU_DEP_2)
	v_pk_fma_f16 v20, v12, v17, v20 op_sel_hi:[0,1,1]
	v_pk_fma_f16 v16, v16, v18, v16 op_sel:[0,0,1] op_sel_hi:[0,1,1]
	s_delay_alu instid0(VALU_DEP_1)
	v_pk_fma_f16 v21, v12, v16, v21 op_sel_hi:[0,1,1]
	v_add_co_u32 v16, vcc_lo, v129, s15
	v_add_co_ci_u32_e32 v17, vcc_lo, 0, v130, vcc_lo
	v_add_co_u32 v18, vcc_lo, v127, s15
	v_add_co_ci_u32_e32 v19, vcc_lo, 0, v128, vcc_lo
	global_load_b32 v16, v[16:17], off
	global_load_b32 v18, v[18:19], off
	s_waitcnt vmcnt(0)
	v_ashrrev_i32_e32 v18, v191, v18
	s_delay_alu instid0(VALU_DEP_1) | instskip(SKIP_3) | instid1(VALU_DEP_4)
	v_lshrrev_b32_e32 v22, 8, v18
	v_and_b32_e32 v19, 15, v18
	v_lshrrev_b32_e32 v23, 16, v18
	v_bfe_u32 v18, v18, 24, 4
	v_and_b32_e32 v22, 15, v22
	s_delay_alu instid0(VALU_DEP_4) | instskip(NEXT) | instid1(VALU_DEP_4)
	v_cvt_f16_u16_e32 v17, v19
	v_and_b32_e32 v23, 15, v23
	s_delay_alu instid0(VALU_DEP_4) | instskip(NEXT) | instid1(VALU_DEP_4)
	v_cvt_f16_u16_e32 v18, v18
	v_cvt_f16_u16_e32 v19, v22
	s_delay_alu instid0(VALU_DEP_1) | instskip(NEXT) | instid1(VALU_DEP_4)
	v_pack_b32_f16 v17, v17, v19
	v_cvt_f16_u16_e32 v19, v23
	s_delay_alu instid0(VALU_DEP_2) | instskip(NEXT) | instid1(VALU_DEP_2)
	v_pk_fma_f16 v17, v16, v17, v16 op_sel:[0,0,1] op_sel_hi:[0,1,1]
	v_pack_b32_f16 v18, v19, v18
	s_delay_alu instid0(VALU_DEP_2) | instskip(NEXT) | instid1(VALU_DEP_2)
	v_pk_fma_f16 v20, v12, v17, v20 op_sel:[1,0,0]
	v_pk_fma_f16 v16, v16, v18, v16 op_sel:[0,0,1] op_sel_hi:[0,1,1]
	s_delay_alu instid0(VALU_DEP_1)
	v_pk_fma_f16 v12, v12, v16, v21 op_sel:[1,0,0]
	v_add_co_u32 v16, vcc_lo, v125, s15
	v_add_co_ci_u32_e32 v17, vcc_lo, 0, v126, vcc_lo
	v_add_co_u32 v18, vcc_lo, v123, s15
	v_add_co_ci_u32_e32 v19, vcc_lo, 0, v124, vcc_lo
	global_load_b32 v16, v[16:17], off
	global_load_b32 v18, v[18:19], off
	s_waitcnt vmcnt(0)
	v_ashrrev_i32_e32 v18, v191, v18
	s_delay_alu instid0(VALU_DEP_1) | instskip(SKIP_3) | instid1(VALU_DEP_4)
	v_lshrrev_b32_e32 v21, 8, v18
	v_and_b32_e32 v19, 15, v18
	v_lshrrev_b32_e32 v22, 16, v18
	v_bfe_u32 v18, v18, 24, 4
	v_and_b32_e32 v21, 15, v21
	s_delay_alu instid0(VALU_DEP_4) | instskip(NEXT) | instid1(VALU_DEP_4)
	v_cvt_f16_u16_e32 v17, v19
	v_and_b32_e32 v22, 15, v22
	s_delay_alu instid0(VALU_DEP_4) | instskip(NEXT) | instid1(VALU_DEP_4)
	v_cvt_f16_u16_e32 v18, v18
	v_cvt_f16_u16_e32 v19, v21
	s_delay_alu instid0(VALU_DEP_1) | instskip(NEXT) | instid1(VALU_DEP_4)
	v_pack_b32_f16 v17, v17, v19
	v_cvt_f16_u16_e32 v19, v22
	s_delay_alu instid0(VALU_DEP_2) | instskip(NEXT) | instid1(VALU_DEP_2)
	v_pk_fma_f16 v17, v16, v17, v16 op_sel:[0,0,1] op_sel_hi:[0,1,1]
	v_pack_b32_f16 v18, v19, v18
	s_delay_alu instid0(VALU_DEP_2) | instskip(NEXT) | instid1(VALU_DEP_2)
	v_pk_fma_f16 v20, v13, v17, v20 op_sel_hi:[0,1,1]
	v_pk_fma_f16 v16, v16, v18, v16 op_sel:[0,0,1] op_sel_hi:[0,1,1]
	s_delay_alu instid0(VALU_DEP_1)
	v_pk_fma_f16 v12, v13, v16, v12 op_sel_hi:[0,1,1]
	v_add_co_u32 v16, vcc_lo, v121, s15
	v_add_co_ci_u32_e32 v17, vcc_lo, 0, v122, vcc_lo
	v_add_co_u32 v18, vcc_lo, v119, s15
	v_add_co_ci_u32_e32 v19, vcc_lo, 0, v120, vcc_lo
	global_load_b32 v16, v[16:17], off
	global_load_b32 v18, v[18:19], off
	s_waitcnt vmcnt(0)
	v_ashrrev_i32_e32 v18, v191, v18
	s_delay_alu instid0(VALU_DEP_1) | instskip(SKIP_3) | instid1(VALU_DEP_4)
	v_lshrrev_b32_e32 v21, 8, v18
	v_and_b32_e32 v19, 15, v18
	v_lshrrev_b32_e32 v22, 16, v18
	v_bfe_u32 v18, v18, 24, 4
	v_and_b32_e32 v21, 15, v21
	s_delay_alu instid0(VALU_DEP_4) | instskip(NEXT) | instid1(VALU_DEP_4)
	v_cvt_f16_u16_e32 v17, v19
	v_and_b32_e32 v22, 15, v22
	s_delay_alu instid0(VALU_DEP_4) | instskip(NEXT) | instid1(VALU_DEP_4)
	v_cvt_f16_u16_e32 v18, v18
	v_cvt_f16_u16_e32 v19, v21
	s_delay_alu instid0(VALU_DEP_1) | instskip(NEXT) | instid1(VALU_DEP_4)
	v_pack_b32_f16 v17, v17, v19
	v_cvt_f16_u16_e32 v19, v22
	s_delay_alu instid0(VALU_DEP_2) | instskip(NEXT) | instid1(VALU_DEP_2)
	v_pk_fma_f16 v17, v16, v17, v16 op_sel:[0,0,1] op_sel_hi:[0,1,1]
	v_pack_b32_f16 v18, v19, v18
	s_delay_alu instid0(VALU_DEP_1) | instskip(NEXT) | instid1(VALU_DEP_3)
	v_pk_fma_f16 v16, v16, v18, v16 op_sel:[0,0,1] op_sel_hi:[0,1,1]
	v_pk_fma_f16 v18, v13, v17, v20 op_sel:[1,0,0]
	s_delay_alu instid0(VALU_DEP_2)
	v_pk_fma_f16 v19, v13, v16, v12 op_sel:[1,0,0]
	v_add_co_u32 v12, vcc_lo, v117, s15
	v_add_co_ci_u32_e32 v13, vcc_lo, 0, v118, vcc_lo
	v_add_co_u32 v16, vcc_lo, v115, s15
	v_add_co_ci_u32_e32 v17, vcc_lo, 0, v116, vcc_lo
	global_load_b32 v12, v[12:13], off
	global_load_b32 v16, v[16:17], off
	s_waitcnt vmcnt(0)
	v_ashrrev_i32_e32 v16, v191, v16
	s_delay_alu instid0(VALU_DEP_1) | instskip(SKIP_3) | instid1(VALU_DEP_4)
	v_lshrrev_b32_e32 v20, 8, v16
	v_and_b32_e32 v17, 15, v16
	v_lshrrev_b32_e32 v21, 16, v16
	v_bfe_u32 v16, v16, 24, 4
	v_and_b32_e32 v20, 15, v20
	s_delay_alu instid0(VALU_DEP_4) | instskip(NEXT) | instid1(VALU_DEP_4)
	v_cvt_f16_u16_e32 v13, v17
	v_and_b32_e32 v21, 15, v21
	s_delay_alu instid0(VALU_DEP_4) | instskip(NEXT) | instid1(VALU_DEP_4)
	v_cvt_f16_u16_e32 v16, v16
	v_cvt_f16_u16_e32 v17, v20
	s_delay_alu instid0(VALU_DEP_1) | instskip(NEXT) | instid1(VALU_DEP_4)
	v_pack_b32_f16 v13, v13, v17
	v_cvt_f16_u16_e32 v17, v21
	s_delay_alu instid0(VALU_DEP_2) | instskip(NEXT) | instid1(VALU_DEP_2)
	v_pk_fma_f16 v13, v12, v13, v12 op_sel:[0,0,1] op_sel_hi:[0,1,1]
	v_pack_b32_f16 v16, v17, v16
	s_delay_alu instid0(VALU_DEP_2) | instskip(NEXT) | instid1(VALU_DEP_2)
	v_pk_fma_f16 v18, v14, v13, v18 op_sel_hi:[0,1,1]
	v_pk_fma_f16 v12, v12, v16, v12 op_sel:[0,0,1] op_sel_hi:[0,1,1]
	s_delay_alu instid0(VALU_DEP_1)
	v_pk_fma_f16 v19, v14, v12, v19 op_sel_hi:[0,1,1]
	v_add_co_u32 v12, vcc_lo, v113, s15
	v_add_co_ci_u32_e32 v13, vcc_lo, 0, v114, vcc_lo
	v_add_co_u32 v16, vcc_lo, v111, s15
	v_add_co_ci_u32_e32 v17, vcc_lo, 0, v112, vcc_lo
	global_load_b32 v12, v[12:13], off
	global_load_b32 v16, v[16:17], off
	s_waitcnt vmcnt(0)
	v_ashrrev_i32_e32 v16, v191, v16
	s_delay_alu instid0(VALU_DEP_1) | instskip(SKIP_3) | instid1(VALU_DEP_4)
	v_lshrrev_b32_e32 v20, 8, v16
	v_and_b32_e32 v17, 15, v16
	v_lshrrev_b32_e32 v21, 16, v16
	v_bfe_u32 v16, v16, 24, 4
	v_and_b32_e32 v20, 15, v20
	s_delay_alu instid0(VALU_DEP_4) | instskip(NEXT) | instid1(VALU_DEP_4)
	v_cvt_f16_u16_e32 v13, v17
	v_and_b32_e32 v21, 15, v21
	s_delay_alu instid0(VALU_DEP_4) | instskip(NEXT) | instid1(VALU_DEP_4)
	v_cvt_f16_u16_e32 v16, v16
	v_cvt_f16_u16_e32 v17, v20
	s_delay_alu instid0(VALU_DEP_1) | instskip(NEXT) | instid1(VALU_DEP_4)
	v_pack_b32_f16 v13, v13, v17
	v_cvt_f16_u16_e32 v17, v21
	s_delay_alu instid0(VALU_DEP_2) | instskip(NEXT) | instid1(VALU_DEP_2)
	v_pk_fma_f16 v13, v12, v13, v12 op_sel:[0,0,1] op_sel_hi:[0,1,1]
	v_pack_b32_f16 v16, v17, v16
	s_delay_alu instid0(VALU_DEP_2) | instskip(NEXT) | instid1(VALU_DEP_2)
	v_pk_fma_f16 v18, v14, v13, v18 op_sel:[1,0,0]
	v_pk_fma_f16 v12, v12, v16, v12 op_sel:[0,0,1] op_sel_hi:[0,1,1]
	s_delay_alu instid0(VALU_DEP_1)
	v_pk_fma_f16 v14, v14, v12, v19 op_sel:[1,0,0]
	v_add_co_u32 v12, vcc_lo, v109, s15
	v_add_co_ci_u32_e32 v13, vcc_lo, 0, v110, vcc_lo
	v_add_co_u32 v16, vcc_lo, v107, s15
	v_add_co_ci_u32_e32 v17, vcc_lo, 0, v108, vcc_lo
	global_load_b32 v12, v[12:13], off
	global_load_b32 v16, v[16:17], off
	s_waitcnt vmcnt(0)
	v_ashrrev_i32_e32 v16, v191, v16
	s_delay_alu instid0(VALU_DEP_1) | instskip(SKIP_3) | instid1(VALU_DEP_4)
	v_lshrrev_b32_e32 v19, 8, v16
	v_and_b32_e32 v17, 15, v16
	v_lshrrev_b32_e32 v20, 16, v16
	v_bfe_u32 v16, v16, 24, 4
	v_and_b32_e32 v19, 15, v19
	s_delay_alu instid0(VALU_DEP_4) | instskip(NEXT) | instid1(VALU_DEP_4)
	v_cvt_f16_u16_e32 v13, v17
	v_and_b32_e32 v20, 15, v20
	s_delay_alu instid0(VALU_DEP_4) | instskip(NEXT) | instid1(VALU_DEP_4)
	v_cvt_f16_u16_e32 v16, v16
	v_cvt_f16_u16_e32 v17, v19
	s_delay_alu instid0(VALU_DEP_1) | instskip(NEXT) | instid1(VALU_DEP_4)
	v_pack_b32_f16 v13, v13, v17
	v_cvt_f16_u16_e32 v17, v20
	s_delay_alu instid0(VALU_DEP_2) | instskip(NEXT) | instid1(VALU_DEP_2)
	v_pk_fma_f16 v13, v12, v13, v12 op_sel:[0,0,1] op_sel_hi:[0,1,1]
	v_pack_b32_f16 v16, v17, v16
	s_delay_alu instid0(VALU_DEP_2) | instskip(NEXT) | instid1(VALU_DEP_2)
	v_pk_fma_f16 v18, v15, v13, v18 op_sel_hi:[0,1,1]
	v_pk_fma_f16 v12, v12, v16, v12 op_sel:[0,0,1] op_sel_hi:[0,1,1]
	s_delay_alu instid0(VALU_DEP_1)
	v_pk_fma_f16 v14, v15, v12, v14 op_sel_hi:[0,1,1]
	v_add_co_u32 v12, vcc_lo, v105, s15
	v_add_co_ci_u32_e32 v13, vcc_lo, 0, v106, vcc_lo
	v_add_co_u32 v16, vcc_lo, v103, s15
	v_add_co_ci_u32_e32 v17, vcc_lo, 0, v104, vcc_lo
	global_load_b32 v12, v[12:13], off
	global_load_b32 v16, v[16:17], off
	s_waitcnt vmcnt(0)
	v_ashrrev_i32_e32 v16, v191, v16
	s_delay_alu instid0(VALU_DEP_1) | instskip(SKIP_3) | instid1(VALU_DEP_4)
	v_lshrrev_b32_e32 v19, 8, v16
	v_and_b32_e32 v17, 15, v16
	v_lshrrev_b32_e32 v20, 16, v16
	v_bfe_u32 v16, v16, 24, 4
	v_and_b32_e32 v19, 15, v19
	s_delay_alu instid0(VALU_DEP_4) | instskip(NEXT) | instid1(VALU_DEP_4)
	v_cvt_f16_u16_e32 v13, v17
	v_and_b32_e32 v20, 15, v20
	s_delay_alu instid0(VALU_DEP_4) | instskip(NEXT) | instid1(VALU_DEP_4)
	v_cvt_f16_u16_e32 v16, v16
	v_cvt_f16_u16_e32 v17, v19
	s_delay_alu instid0(VALU_DEP_1) | instskip(NEXT) | instid1(VALU_DEP_4)
	v_pack_b32_f16 v13, v13, v17
	v_cvt_f16_u16_e32 v17, v20
	s_delay_alu instid0(VALU_DEP_2) | instskip(NEXT) | instid1(VALU_DEP_2)
	v_pk_fma_f16 v13, v12, v13, v12 op_sel:[0,0,1] op_sel_hi:[0,1,1]
	v_pack_b32_f16 v16, v17, v16
	s_delay_alu instid0(VALU_DEP_1) | instskip(NEXT) | instid1(VALU_DEP_3)
	v_pk_fma_f16 v12, v12, v16, v12 op_sel:[0,0,1] op_sel_hi:[0,1,1]
	v_pk_fma_f16 v16, v15, v13, v18 op_sel:[1,0,0]
	s_delay_alu instid0(VALU_DEP_2)
	v_pk_fma_f16 v17, v15, v12, v14 op_sel:[1,0,0]
	v_add_co_u32 v12, vcc_lo, v101, s15
	v_add_co_ci_u32_e32 v13, vcc_lo, 0, v102, vcc_lo
	v_add_co_u32 v14, vcc_lo, v99, s15
	v_add_co_ci_u32_e32 v15, vcc_lo, 0, v100, vcc_lo
	global_load_b32 v12, v[12:13], off
	global_load_b32 v14, v[14:15], off
	s_waitcnt vmcnt(0)
	v_ashrrev_i32_e32 v14, v191, v14
	s_delay_alu instid0(VALU_DEP_1) | instskip(SKIP_3) | instid1(VALU_DEP_4)
	v_lshrrev_b32_e32 v18, 8, v14
	v_and_b32_e32 v15, 15, v14
	v_lshrrev_b32_e32 v19, 16, v14
	v_bfe_u32 v14, v14, 24, 4
	v_and_b32_e32 v18, 15, v18
	s_delay_alu instid0(VALU_DEP_4) | instskip(NEXT) | instid1(VALU_DEP_4)
	v_cvt_f16_u16_e32 v13, v15
	v_and_b32_e32 v19, 15, v19
	s_delay_alu instid0(VALU_DEP_4) | instskip(NEXT) | instid1(VALU_DEP_4)
	v_cvt_f16_u16_e32 v14, v14
	v_cvt_f16_u16_e32 v15, v18
	s_delay_alu instid0(VALU_DEP_1) | instskip(NEXT) | instid1(VALU_DEP_4)
	v_pack_b32_f16 v13, v13, v15
	v_cvt_f16_u16_e32 v15, v19
	s_delay_alu instid0(VALU_DEP_2) | instskip(NEXT) | instid1(VALU_DEP_2)
	v_pk_fma_f16 v13, v12, v13, v12 op_sel:[0,0,1] op_sel_hi:[0,1,1]
	v_pack_b32_f16 v14, v15, v14
	s_waitcnt lgkmcnt(0)
	s_delay_alu instid0(VALU_DEP_2) | instskip(NEXT) | instid1(VALU_DEP_2)
	v_pk_fma_f16 v16, v8, v13, v16 op_sel_hi:[0,1,1]
	v_pk_fma_f16 v12, v12, v14, v12 op_sel:[0,0,1] op_sel_hi:[0,1,1]
	s_delay_alu instid0(VALU_DEP_1)
	v_pk_fma_f16 v17, v8, v12, v17 op_sel_hi:[0,1,1]
	v_add_co_u32 v12, vcc_lo, v97, s15
	v_add_co_ci_u32_e32 v13, vcc_lo, 0, v98, vcc_lo
	v_add_co_u32 v14, vcc_lo, v95, s15
	v_add_co_ci_u32_e32 v15, vcc_lo, 0, v96, vcc_lo
	global_load_b32 v12, v[12:13], off
	global_load_b32 v14, v[14:15], off
	s_waitcnt vmcnt(0)
	v_ashrrev_i32_e32 v14, v191, v14
	s_delay_alu instid0(VALU_DEP_1) | instskip(SKIP_3) | instid1(VALU_DEP_4)
	v_lshrrev_b32_e32 v18, 8, v14
	v_and_b32_e32 v15, 15, v14
	v_lshrrev_b32_e32 v19, 16, v14
	v_bfe_u32 v14, v14, 24, 4
	v_and_b32_e32 v18, 15, v18
	s_delay_alu instid0(VALU_DEP_4) | instskip(NEXT) | instid1(VALU_DEP_4)
	v_cvt_f16_u16_e32 v13, v15
	v_and_b32_e32 v19, 15, v19
	s_delay_alu instid0(VALU_DEP_4) | instskip(NEXT) | instid1(VALU_DEP_4)
	v_cvt_f16_u16_e32 v14, v14
	v_cvt_f16_u16_e32 v15, v18
	s_delay_alu instid0(VALU_DEP_1) | instskip(NEXT) | instid1(VALU_DEP_4)
	v_pack_b32_f16 v13, v13, v15
	v_cvt_f16_u16_e32 v15, v19
	s_delay_alu instid0(VALU_DEP_2) | instskip(NEXT) | instid1(VALU_DEP_2)
	v_pk_fma_f16 v13, v12, v13, v12 op_sel:[0,0,1] op_sel_hi:[0,1,1]
	v_pack_b32_f16 v14, v15, v14
	s_delay_alu instid0(VALU_DEP_2) | instskip(NEXT) | instid1(VALU_DEP_2)
	v_pk_fma_f16 v16, v8, v13, v16 op_sel:[1,0,0]
	v_pk_fma_f16 v12, v12, v14, v12 op_sel:[0,0,1] op_sel_hi:[0,1,1]
	s_delay_alu instid0(VALU_DEP_1)
	v_pk_fma_f16 v8, v8, v12, v17 op_sel:[1,0,0]
	v_add_co_u32 v12, vcc_lo, v93, s15
	v_add_co_ci_u32_e32 v13, vcc_lo, 0, v94, vcc_lo
	v_add_co_u32 v14, vcc_lo, v91, s15
	v_add_co_ci_u32_e32 v15, vcc_lo, 0, v92, vcc_lo
	global_load_b32 v12, v[12:13], off
	global_load_b32 v14, v[14:15], off
	s_waitcnt vmcnt(0)
	v_ashrrev_i32_e32 v14, v191, v14
	s_delay_alu instid0(VALU_DEP_1) | instskip(SKIP_3) | instid1(VALU_DEP_4)
	v_lshrrev_b32_e32 v17, 8, v14
	v_and_b32_e32 v15, 15, v14
	v_lshrrev_b32_e32 v18, 16, v14
	v_bfe_u32 v14, v14, 24, 4
	v_and_b32_e32 v17, 15, v17
	s_delay_alu instid0(VALU_DEP_4) | instskip(NEXT) | instid1(VALU_DEP_4)
	v_cvt_f16_u16_e32 v13, v15
	v_and_b32_e32 v18, 15, v18
	s_delay_alu instid0(VALU_DEP_4) | instskip(NEXT) | instid1(VALU_DEP_4)
	v_cvt_f16_u16_e32 v14, v14
	v_cvt_f16_u16_e32 v15, v17
	s_delay_alu instid0(VALU_DEP_1) | instskip(NEXT) | instid1(VALU_DEP_4)
	v_pack_b32_f16 v13, v13, v15
	v_cvt_f16_u16_e32 v15, v18
	s_delay_alu instid0(VALU_DEP_2) | instskip(NEXT) | instid1(VALU_DEP_2)
	v_pk_fma_f16 v13, v12, v13, v12 op_sel:[0,0,1] op_sel_hi:[0,1,1]
	v_pack_b32_f16 v14, v15, v14
	s_delay_alu instid0(VALU_DEP_2) | instskip(NEXT) | instid1(VALU_DEP_2)
	v_pk_fma_f16 v16, v9, v13, v16 op_sel_hi:[0,1,1]
	v_pk_fma_f16 v12, v12, v14, v12 op_sel:[0,0,1] op_sel_hi:[0,1,1]
	s_delay_alu instid0(VALU_DEP_1)
	v_pk_fma_f16 v8, v9, v12, v8 op_sel_hi:[0,1,1]
	v_add_co_u32 v12, vcc_lo, v89, s15
	v_add_co_ci_u32_e32 v13, vcc_lo, 0, v90, vcc_lo
	v_add_co_u32 v14, vcc_lo, v87, s15
	v_add_co_ci_u32_e32 v15, vcc_lo, 0, v88, vcc_lo
	global_load_b32 v12, v[12:13], off
	global_load_b32 v14, v[14:15], off
	s_waitcnt vmcnt(0)
	v_ashrrev_i32_e32 v14, v191, v14
	s_delay_alu instid0(VALU_DEP_1) | instskip(SKIP_3) | instid1(VALU_DEP_4)
	v_lshrrev_b32_e32 v17, 8, v14
	v_and_b32_e32 v15, 15, v14
	v_lshrrev_b32_e32 v18, 16, v14
	v_bfe_u32 v14, v14, 24, 4
	v_and_b32_e32 v17, 15, v17
	s_delay_alu instid0(VALU_DEP_4) | instskip(NEXT) | instid1(VALU_DEP_4)
	v_cvt_f16_u16_e32 v13, v15
	v_and_b32_e32 v18, 15, v18
	s_delay_alu instid0(VALU_DEP_4) | instskip(NEXT) | instid1(VALU_DEP_4)
	v_cvt_f16_u16_e32 v14, v14
	v_cvt_f16_u16_e32 v15, v17
	s_delay_alu instid0(VALU_DEP_1) | instskip(NEXT) | instid1(VALU_DEP_4)
	v_pack_b32_f16 v13, v13, v15
	v_cvt_f16_u16_e32 v15, v18
	s_delay_alu instid0(VALU_DEP_2) | instskip(NEXT) | instid1(VALU_DEP_2)
	v_pk_fma_f16 v13, v12, v13, v12 op_sel:[0,0,1] op_sel_hi:[0,1,1]
	v_pack_b32_f16 v14, v15, v14
	s_delay_alu instid0(VALU_DEP_1) | instskip(NEXT) | instid1(VALU_DEP_3)
	v_pk_fma_f16 v12, v12, v14, v12 op_sel:[0,0,1] op_sel_hi:[0,1,1]
	v_pk_fma_f16 v14, v9, v13, v16 op_sel:[1,0,0]
	s_delay_alu instid0(VALU_DEP_2)
	v_pk_fma_f16 v15, v9, v12, v8 op_sel:[1,0,0]
	v_add_co_u32 v8, vcc_lo, v85, s15
	v_add_co_ci_u32_e32 v9, vcc_lo, 0, v86, vcc_lo
	v_add_co_u32 v12, vcc_lo, v83, s15
	v_add_co_ci_u32_e32 v13, vcc_lo, 0, v84, vcc_lo
	global_load_b32 v8, v[8:9], off
	global_load_b32 v12, v[12:13], off
	s_waitcnt vmcnt(0)
	v_ashrrev_i32_e32 v12, v191, v12
	s_delay_alu instid0(VALU_DEP_1) | instskip(SKIP_3) | instid1(VALU_DEP_4)
	v_lshrrev_b32_e32 v16, 8, v12
	v_and_b32_e32 v13, 15, v12
	v_lshrrev_b32_e32 v17, 16, v12
	v_bfe_u32 v12, v12, 24, 4
	v_and_b32_e32 v16, 15, v16
	s_delay_alu instid0(VALU_DEP_4) | instskip(NEXT) | instid1(VALU_DEP_4)
	v_cvt_f16_u16_e32 v9, v13
	v_and_b32_e32 v17, 15, v17
	s_delay_alu instid0(VALU_DEP_4) | instskip(NEXT) | instid1(VALU_DEP_4)
	v_cvt_f16_u16_e32 v12, v12
	v_cvt_f16_u16_e32 v13, v16
	s_delay_alu instid0(VALU_DEP_1) | instskip(NEXT) | instid1(VALU_DEP_4)
	v_pack_b32_f16 v9, v9, v13
	v_cvt_f16_u16_e32 v13, v17
	s_delay_alu instid0(VALU_DEP_2) | instskip(NEXT) | instid1(VALU_DEP_2)
	v_pk_fma_f16 v9, v8, v9, v8 op_sel:[0,0,1] op_sel_hi:[0,1,1]
	v_pack_b32_f16 v12, v13, v12
	s_delay_alu instid0(VALU_DEP_2) | instskip(NEXT) | instid1(VALU_DEP_2)
	v_pk_fma_f16 v14, v10, v9, v14 op_sel_hi:[0,1,1]
	v_pk_fma_f16 v8, v8, v12, v8 op_sel:[0,0,1] op_sel_hi:[0,1,1]
	s_delay_alu instid0(VALU_DEP_1)
	v_pk_fma_f16 v15, v10, v8, v15 op_sel_hi:[0,1,1]
	v_add_co_u32 v8, vcc_lo, v81, s15
	v_add_co_ci_u32_e32 v9, vcc_lo, 0, v82, vcc_lo
	v_add_co_u32 v12, vcc_lo, v79, s15
	v_add_co_ci_u32_e32 v13, vcc_lo, 0, v80, vcc_lo
	global_load_b32 v8, v[8:9], off
	global_load_b32 v12, v[12:13], off
	s_waitcnt vmcnt(0)
	v_ashrrev_i32_e32 v12, v191, v12
	s_delay_alu instid0(VALU_DEP_1) | instskip(SKIP_3) | instid1(VALU_DEP_4)
	v_lshrrev_b32_e32 v16, 8, v12
	v_and_b32_e32 v13, 15, v12
	v_lshrrev_b32_e32 v17, 16, v12
	v_bfe_u32 v12, v12, 24, 4
	v_and_b32_e32 v16, 15, v16
	s_delay_alu instid0(VALU_DEP_4) | instskip(NEXT) | instid1(VALU_DEP_4)
	v_cvt_f16_u16_e32 v9, v13
	v_and_b32_e32 v17, 15, v17
	s_delay_alu instid0(VALU_DEP_4) | instskip(NEXT) | instid1(VALU_DEP_4)
	v_cvt_f16_u16_e32 v12, v12
	v_cvt_f16_u16_e32 v13, v16
	s_delay_alu instid0(VALU_DEP_1) | instskip(NEXT) | instid1(VALU_DEP_4)
	v_pack_b32_f16 v9, v9, v13
	v_cvt_f16_u16_e32 v13, v17
	s_delay_alu instid0(VALU_DEP_2) | instskip(NEXT) | instid1(VALU_DEP_2)
	v_pk_fma_f16 v9, v8, v9, v8 op_sel:[0,0,1] op_sel_hi:[0,1,1]
	v_pack_b32_f16 v12, v13, v12
	s_delay_alu instid0(VALU_DEP_2) | instskip(NEXT) | instid1(VALU_DEP_2)
	v_pk_fma_f16 v14, v10, v9, v14 op_sel:[1,0,0]
	v_pk_fma_f16 v8, v8, v12, v8 op_sel:[0,0,1] op_sel_hi:[0,1,1]
	s_delay_alu instid0(VALU_DEP_1)
	v_pk_fma_f16 v10, v10, v8, v15 op_sel:[1,0,0]
	v_add_co_u32 v8, vcc_lo, v77, s15
	v_add_co_ci_u32_e32 v9, vcc_lo, 0, v78, vcc_lo
	v_add_co_u32 v12, vcc_lo, v75, s15
	v_add_co_ci_u32_e32 v13, vcc_lo, 0, v76, vcc_lo
	global_load_b32 v8, v[8:9], off
	global_load_b32 v12, v[12:13], off
	s_waitcnt vmcnt(0)
	v_ashrrev_i32_e32 v12, v191, v12
	s_delay_alu instid0(VALU_DEP_1) | instskip(SKIP_3) | instid1(VALU_DEP_4)
	v_lshrrev_b32_e32 v15, 8, v12
	v_and_b32_e32 v13, 15, v12
	v_lshrrev_b32_e32 v16, 16, v12
	v_bfe_u32 v12, v12, 24, 4
	v_and_b32_e32 v15, 15, v15
	s_delay_alu instid0(VALU_DEP_4) | instskip(NEXT) | instid1(VALU_DEP_4)
	v_cvt_f16_u16_e32 v9, v13
	v_and_b32_e32 v16, 15, v16
	s_delay_alu instid0(VALU_DEP_4) | instskip(NEXT) | instid1(VALU_DEP_4)
	v_cvt_f16_u16_e32 v12, v12
	v_cvt_f16_u16_e32 v13, v15
	v_add_co_u32 v15, vcc_lo, v73, s15
	s_delay_alu instid0(VALU_DEP_2) | instskip(SKIP_2) | instid1(VALU_DEP_3)
	v_pack_b32_f16 v9, v9, v13
	v_cvt_f16_u16_e32 v13, v16
	v_add_co_ci_u32_e32 v16, vcc_lo, 0, v74, vcc_lo
	v_pk_fma_f16 v9, v8, v9, v8 op_sel:[0,0,1] op_sel_hi:[0,1,1]
	s_delay_alu instid0(VALU_DEP_3) | instskip(SKIP_3) | instid1(VALU_DEP_2)
	v_pack_b32_f16 v12, v13, v12
	global_load_b32 v15, v[15:16], off
	v_pk_fma_f16 v12, v8, v12, v8 op_sel:[0,0,1] op_sel_hi:[0,1,1]
	v_pk_fma_f16 v8, v11, v9, v14 op_sel_hi:[0,1,1]
	v_pk_fma_f16 v9, v11, v12, v10 op_sel_hi:[0,1,1]
	v_add_co_u32 v12, vcc_lo, v71, s15
	v_add_co_ci_u32_e32 v13, vcc_lo, 0, v72, vcc_lo
	v_add_co_u32 v55, vcc_lo, v55, s11
	v_add_co_ci_u32_e32 v56, vcc_lo, 0, v56, vcc_lo
	global_load_b32 v10, v[12:13], off
	v_add_co_u32 v40, vcc_lo, v40, s4
	v_add_co_ci_u32_e32 v41, vcc_lo, s5, v41, vcc_lo
	v_add_co_u32 v57, vcc_lo, v57, s6
	v_add_co_ci_u32_e32 v58, vcc_lo, 0, v58, vcc_lo
	;; [unrolled: 2-line block ×68, first 2 shown]
	s_waitcnt vmcnt(0)
	v_ashrrev_i32_e32 v12, v191, v10
	s_delay_alu instid0(VALU_DEP_1) | instskip(SKIP_1) | instid1(VALU_DEP_2)
	v_lshrrev_b32_e32 v10, 8, v12
	v_and_b32_e32 v13, 15, v12
	v_and_b32_e32 v14, 15, v10
	v_lshrrev_b32_e32 v10, 16, v12
	v_bfe_u32 v12, v12, 24, 4
	s_delay_alu instid0(VALU_DEP_4) | instskip(NEXT) | instid1(VALU_DEP_4)
	v_cvt_f16_u16_e32 v13, v13
	v_cvt_f16_u16_e32 v14, v14
	s_delay_alu instid0(VALU_DEP_4) | instskip(NEXT) | instid1(VALU_DEP_4)
	v_and_b32_e32 v10, 15, v10
	v_cvt_f16_u16_e32 v12, v12
	s_delay_alu instid0(VALU_DEP_3) | instskip(NEXT) | instid1(VALU_DEP_3)
	v_pack_b32_f16 v13, v13, v14
	v_cvt_f16_u16_e32 v10, v10
	s_delay_alu instid0(VALU_DEP_2) | instskip(NEXT) | instid1(VALU_DEP_2)
	v_pk_fma_f16 v13, v15, v13, v15 op_sel:[0,0,1] op_sel_hi:[0,1,1]
	v_pack_b32_f16 v10, v10, v12
	s_delay_alu instid0(VALU_DEP_2) | instskip(NEXT) | instid1(VALU_DEP_2)
	v_pk_fma_f16 v196, v11, v13, v8 op_sel:[1,0,0]
	v_pk_fma_f16 v10, v15, v10, v15 op_sel:[0,0,1] op_sel_hi:[0,1,1]
	s_delay_alu instid0(VALU_DEP_1)
	v_pk_fma_f16 v197, v11, v10, v9 op_sel:[1,0,0]
	s_cbranch_scc1 .LBB14_17
; %bb.16:                               ;   in Loop: Header=BB14_11 Depth=1
	v_mov_b32_e32 v8, v194
	v_mov_b32_e32 v192, v193
	s_branch .LBB14_11
.LBB14_17:
	v_or_b32_e32 v0, s14, v42
	s_cmp_lg_u64 s[24:25], 0
	s_cselect_b32 s3, -1, 0
	s_delay_alu instid0(VALU_DEP_1) | instskip(SKIP_1) | instid1(SALU_CYCLE_1)
	v_cmp_eq_u32_e32 vcc_lo, 0, v0
	s_and_b32 s4, vcc_lo, s3
	s_and_saveexec_b32 s3, s4
	s_cbranch_execz .LBB14_19
; %bb.18:
	s_lshl_b64 s[4:5], s[36:37], 2
	v_max_f32_e32 v0, v194, v194
	s_add_u32 s4, s24, s4
	s_addc_u32 s5, s25, s5
	s_load_b32 s4, s[4:5], 0x0
	s_waitcnt lgkmcnt(0)
	v_max_f32_e64 v1, s4, s4
	s_delay_alu instid0(VALU_DEP_1) | instskip(NEXT) | instid1(VALU_DEP_1)
	v_max_f32_e32 v0, v1, v0
	v_sub_f32_e32 v1, s4, v0
	s_delay_alu instid0(VALU_DEP_1) | instskip(NEXT) | instid1(VALU_DEP_1)
	v_mul_f32_e32 v3, 0x3fb8aa3b, v1
	v_fma_f32 v5, 0x3fb8aa3b, v1, -v3
	v_rndne_f32_e32 v6, v3
	s_delay_alu instid0(VALU_DEP_2) | instskip(NEXT) | instid1(VALU_DEP_2)
	v_dual_fmac_f32 v5, 0x32a5705f, v1 :: v_dual_sub_f32 v2, v194, v0
	v_dual_sub_f32 v3, v3, v6 :: v_dual_mov_b32 v194, v0
	s_delay_alu instid0(VALU_DEP_2) | instskip(SKIP_1) | instid1(VALU_DEP_2)
	v_mul_f32_e32 v4, 0x3fb8aa3b, v2
	v_cmp_ngt_f32_e32 vcc_lo, 0xc2ce8ed0, v1
	v_fma_f32 v7, 0x3fb8aa3b, v2, -v4
	v_rndne_f32_e32 v8, v4
	s_delay_alu instid0(VALU_DEP_1) | instskip(SKIP_3) | instid1(VALU_DEP_4)
	v_dual_fmac_f32 v7, 0x32a5705f, v2 :: v_dual_sub_f32 v4, v4, v8
	v_add_f32_e32 v3, v3, v5
	v_cvt_i32_f32_e32 v5, v6
	v_cvt_i32_f32_e32 v6, v8
	v_add_f32_e32 v4, v4, v7
	s_delay_alu instid0(VALU_DEP_4) | instskip(NEXT) | instid1(VALU_DEP_1)
	v_exp_f32_e32 v3, v3
	v_exp_f32_e32 v4, v4
	s_waitcnt_depctr 0xfff
	v_ldexp_f32 v3, v3, v5
	v_ldexp_f32 v4, v4, v6
	s_delay_alu instid0(VALU_DEP_2) | instskip(SKIP_1) | instid1(VALU_DEP_3)
	v_cndmask_b32_e32 v3, 0, v3, vcc_lo
	v_cmp_ngt_f32_e32 vcc_lo, 0xc2ce8ed0, v2
	v_cndmask_b32_e32 v4, 0, v4, vcc_lo
	v_cmp_nlt_f32_e32 vcc_lo, 0x42b17218, v1
	s_delay_alu instid0(VALU_DEP_4) | instskip(SKIP_1) | instid1(VALU_DEP_4)
	v_cndmask_b32_e32 v1, 0x7f800000, v3, vcc_lo
	v_cmp_nlt_f32_e32 vcc_lo, 0x42b17218, v2
	v_cndmask_b32_e32 v2, 0x7f800000, v4, vcc_lo
	v_cmp_eq_u32_e32 vcc_lo, 0, v43
	s_delay_alu instid0(VALU_DEP_4) | instskip(NEXT) | instid1(VALU_DEP_1)
	v_cndmask_b32_e32 v1, 0, v1, vcc_lo
	v_fmac_f32_e32 v1, v193, v2
	s_delay_alu instid0(VALU_DEP_1) | instskip(SKIP_1) | instid1(VALU_DEP_1)
	v_mov_b32_e32 v193, v1
	v_cvt_f16_f32_e32 v3, v2
	v_pk_mul_f16 v196, v3, v196 op_sel_hi:[0,1]
	v_pk_mul_f16 v197, v3, v197 op_sel_hi:[0,1]
.LBB14_19:
	s_or_b32 exec_lo, exec_lo, s3
	s_and_saveexec_b32 s3, s2
	s_cbranch_execz .LBB14_21
; %bb.20:
	v_dual_mov_b32 v0, 0xfeffffff :: v_dual_mov_b32 v1, 0
	v_add_nc_u32_e32 v2, 0x400, v48
	ds_store_2addr_b32 v2, v0, v1 offset1:32
.LBB14_21:
	s_or_b32 exec_lo, exec_lo, s3
	v_cmp_eq_u32_e32 vcc_lo, 0, v43
	v_lshlrev_b32_e32 v2, 2, v42
	s_waitcnt lgkmcnt(0)
	s_barrier
	buffer_gl0_inv
	s_and_saveexec_b32 s2, vcc_lo
	s_cbranch_execz .LBB14_23
; %bb.22:
	ds_store_b32 v2, v194 offset:1024
.LBB14_23:
	s_or_b32 exec_lo, exec_lo, s2
	s_waitcnt lgkmcnt(0)
	s_barrier
	buffer_gl0_inv
	ds_load_b32 v0, v48 offset:1024
	v_xor_b32_e32 v1, 16, v44
	v_xor_b32_e32 v4, 8, v44
	v_lshlrev_b32_e32 v11, 3, v43
	s_delay_alu instid0(VALU_DEP_3) | instskip(NEXT) | instid1(VALU_DEP_2)
	v_cmp_gt_i32_e64 s2, 32, v1
	v_lshl_add_u32 v11, v42, 8, v11
	s_delay_alu instid0(VALU_DEP_2) | instskip(SKIP_1) | instid1(VALU_DEP_2)
	v_cndmask_b32_e64 v1, v44, v1, s2
	v_cmp_gt_i32_e64 s2, 32, v4
	v_lshlrev_b32_e32 v1, 2, v1
	s_delay_alu instid0(VALU_DEP_2) | instskip(SKIP_4) | instid1(VALU_DEP_1)
	v_cndmask_b32_e64 v4, v44, v4, s2
	s_waitcnt lgkmcnt(0)
	ds_bpermute_b32 v3, v1, v0
	s_waitcnt lgkmcnt(0)
	v_dual_max_f32 v0, v0, v0 :: v_dual_max_f32 v5, v3, v3
	v_dual_max_f32 v0, v0, v5 :: v_dual_lshlrev_b32 v3, 2, v4
	v_xor_b32_e32 v5, 4, v44
	ds_bpermute_b32 v4, v3, v0
	v_cmp_gt_i32_e64 s2, 32, v5
	s_delay_alu instid0(VALU_DEP_1) | instskip(SKIP_2) | instid1(VALU_DEP_2)
	v_cndmask_b32_e64 v5, v44, v5, s2
	s_waitcnt lgkmcnt(0)
	v_max_f32_e32 v6, v4, v4
	v_lshlrev_b32_e32 v4, 2, v5
	s_delay_alu instid0(VALU_DEP_2) | instskip(SKIP_3) | instid1(VALU_DEP_1)
	v_max_f32_e32 v0, v0, v6
	v_xor_b32_e32 v6, 2, v44
	ds_bpermute_b32 v5, v4, v0
	v_cmp_gt_i32_e64 s2, 32, v6
	v_cndmask_b32_e64 v6, v44, v6, s2
	s_waitcnt lgkmcnt(0)
	v_max_f32_e32 v7, v5, v5
	s_delay_alu instid0(VALU_DEP_1) | instskip(SKIP_3) | instid1(VALU_DEP_1)
	v_dual_max_f32 v0, v0, v7 :: v_dual_lshlrev_b32 v5, 2, v6
	v_xor_b32_e32 v7, 1, v44
	ds_bpermute_b32 v6, v5, v0
	v_cmp_gt_i32_e64 s2, 32, v7
	v_cndmask_b32_e64 v7, v44, v7, s2
	s_waitcnt lgkmcnt(0)
	v_max_f32_e32 v8, v6, v6
	s_delay_alu instid0(VALU_DEP_2) | instskip(NEXT) | instid1(VALU_DEP_2)
	v_lshlrev_b32_e32 v6, 2, v7
	v_max_f32_e32 v0, v0, v8
	ds_bpermute_b32 v7, v6, v0
	s_waitcnt lgkmcnt(0)
	v_max_f32_e32 v7, v7, v7
	s_delay_alu instid0(VALU_DEP_1) | instskip(NEXT) | instid1(VALU_DEP_1)
	v_max_f32_e32 v0, v0, v7
	v_sub_f32_e32 v7, v194, v0
	s_delay_alu instid0(VALU_DEP_1) | instskip(SKIP_1) | instid1(VALU_DEP_2)
	v_mul_f32_e32 v8, 0x3fb8aa3b, v7
	v_cmp_ngt_f32_e64 s2, 0xc2ce8ed0, v7
	v_fma_f32 v9, 0x3fb8aa3b, v7, -v8
	v_rndne_f32_e32 v10, v8
	s_delay_alu instid0(VALU_DEP_1) | instskip(NEXT) | instid1(VALU_DEP_1)
	v_dual_fmamk_f32 v9, v7, 0x32a5705f, v9 :: v_dual_sub_f32 v8, v8, v10
	v_add_f32_e32 v8, v8, v9
	v_cvt_i32_f32_e32 v9, v10
	s_delay_alu instid0(VALU_DEP_2) | instskip(SKIP_2) | instid1(VALU_DEP_1)
	v_exp_f32_e32 v8, v8
	s_waitcnt_depctr 0xfff
	v_ldexp_f32 v8, v8, v9
	v_cndmask_b32_e64 v8, 0, v8, s2
	v_cmp_nlt_f32_e64 s2, 0x42b17218, v7
	s_delay_alu instid0(VALU_DEP_1) | instskip(NEXT) | instid1(VALU_DEP_1)
	v_cndmask_b32_e64 v9, 0x7f800000, v8, s2
	v_mul_f32_e32 v7, v193, v9
	v_cvt_f16_f32_e32 v10, v9
	ds_bpermute_b32 v7, v1, v7
	s_waitcnt lgkmcnt(0)
	v_fmac_f32_e32 v7, v193, v9
	v_pk_mul_f16 v9, v10, v196 op_sel_hi:[0,1]
	v_pk_mul_f16 v10, v10, v197 op_sel_hi:[0,1]
	ds_bpermute_b32 v8, v3, v7
	ds_store_b64 v11, v[9:10]
	s_waitcnt lgkmcnt(1)
	v_add_f32_e32 v7, v7, v8
	ds_bpermute_b32 v8, v4, v7
	s_waitcnt lgkmcnt(0)
	v_add_f32_e32 v7, v7, v8
	ds_bpermute_b32 v8, v5, v7
	;; [unrolled: 3-line block ×3, first 2 shown]
	s_and_saveexec_b32 s2, vcc_lo
	s_cbranch_execz .LBB14_25
; %bb.24:
	s_waitcnt lgkmcnt(0)
	v_add_f32_e32 v7, v7, v8
	ds_store_b32 v2, v7 offset:1152
.LBB14_25:
	s_or_b32 exec_lo, exec_lo, s2
	s_waitcnt lgkmcnt(0)
	s_barrier
	buffer_gl0_inv
	ds_load_b32 v2, v48 offset:1152
	ds_load_u16 v7, v47 offset:768
	s_mov_b32 s3, 0
	s_waitcnt lgkmcnt(1)
	ds_bpermute_b32 v1, v1, v2
	s_waitcnt lgkmcnt(0)
	v_add_f32_e32 v1, v2, v1
	ds_bpermute_b32 v2, v3, v1
	s_waitcnt lgkmcnt(0)
	v_add_f32_e32 v1, v1, v2
	;; [unrolled: 3-line block ×3, first 2 shown]
	ds_bpermute_b32 v2, v5, v1
	ds_load_u16 v3, v47
	ds_load_u16 v4, v47 offset:256
	ds_load_u16 v5, v47 offset:512
	s_load_b32 s1, s[0:1], 0xd4
	s_mul_i32 s0, s12, s34
	s_waitcnt lgkmcnt(0)
	v_cvt_f32_f16_e32 v4, v4
	v_add_f32_e32 v1, v1, v2
	v_cvt_f32_f16_e32 v2, v3
	v_cvt_f32_f16_e32 v5, v5
	s_cmp_eq_u32 s1, 1
	ds_bpermute_b32 v3, v6, v1
	v_add_f32_e32 v2, 0, v2
	s_delay_alu instid0(VALU_DEP_1) | instskip(SKIP_1) | instid1(VALU_DEP_2)
	v_add_f32_e32 v2, v2, v4
	v_cvt_f32_f16_e32 v4, v7
	v_add_f32_e32 v2, v2, v5
	s_waitcnt lgkmcnt(0)
	s_delay_alu instid0(VALU_DEP_1) | instskip(NEXT) | instid1(VALU_DEP_1)
	v_dual_add_f32 v6, v2, v4 :: v_dual_add_f32 v1, v1, v3
	v_div_scale_f32 v2, null, v1, v1, v6
	v_div_scale_f32 v5, vcc_lo, v6, v1, v6
	s_delay_alu instid0(VALU_DEP_2) | instskip(SKIP_2) | instid1(VALU_DEP_1)
	v_rcp_f32_e32 v3, v2
	s_waitcnt_depctr 0xfff
	v_fma_f32 v4, -v2, v3, 1.0
	v_fmac_f32_e32 v3, v4, v3
	s_delay_alu instid0(VALU_DEP_1) | instskip(NEXT) | instid1(VALU_DEP_1)
	v_mul_f32_e32 v4, v5, v3
	v_fma_f32 v7, -v2, v4, v5
	s_delay_alu instid0(VALU_DEP_1) | instskip(NEXT) | instid1(VALU_DEP_1)
	v_fmac_f32_e32 v4, v7, v3
	v_fma_f32 v2, -v2, v4, v5
	s_delay_alu instid0(VALU_DEP_1) | instskip(SKIP_3) | instid1(SALU_CYCLE_1)
	v_div_fmas_f32 v2, v2, v3, v4
	v_mov_b32_e32 v3, 0
	s_cselect_b32 vcc_lo, -1, 0
	s_add_i32 s0, s0, s13
	s_mul_i32 s0, s0, s35
	v_div_fixup_f32 v7, v2, v1, v6
	s_add_i32 s0, s0, s36
	s_delay_alu instid0(SALU_CYCLE_1) | instskip(NEXT) | instid1(SALU_CYCLE_1)
	s_mul_i32 s0, s1, s0
	s_add_i32 s2, s0, s14
	v_cmp_eq_u32_e64 s0, 0, v46
	v_lshl_or_b32 v2, s2, 7, v46
	s_cmp_lg_u32 s1, 1
	s_cselect_b32 s1, -1, 0
	s_delay_alu instid0(VALU_DEP_1) | instskip(SKIP_2) | instid1(VALU_DEP_2)
	v_lshlrev_b64 v[4:5], 2, v[2:3]
	v_cndmask_b32_e32 v2, v6, v7, vcc_lo
	s_and_b32 s0, s0, s1
	v_add_co_u32 v4, vcc_lo, s28, v4
	s_delay_alu instid0(VALU_DEP_3)
	v_add_co_ci_u32_e32 v5, vcc_lo, s29, v5, vcc_lo
	global_store_b32 v[4:5], v2, off
	s_and_saveexec_b32 s1, s0
	s_cbranch_execz .LBB14_27
; %bb.26:
	s_lshl_b64 s[0:1], s[2:3], 3
	s_delay_alu instid0(SALU_CYCLE_1)
	s_add_u32 s0, s30, s0
	s_addc_u32 s1, s31, s1
	global_store_b64 v3, v[0:1], s[0:1]
.LBB14_27:
	s_nop 0
	s_sendmsg sendmsg(MSG_DEALLOC_VGPRS)
	s_endpgm
	.section	.rodata,"a",@progbits
	.p2align	6, 0x0
	.amdhsa_kernel _ZL18flash_attn_ext_vecILi128ELi1EL9ggml_type3ELS0_3ELb0EEvPKcS2_S2_S2_S2_PKiPfP15HIP_vector_typeIfLj2EEffffjfiS6_IjLj3EEiiiiiiiiiiiliiliiiiil
		.amdhsa_group_segment_fixed_size 1280
		.amdhsa_private_segment_fixed_size 0
		.amdhsa_kernarg_size 464
		.amdhsa_user_sgpr_count 13
		.amdhsa_user_sgpr_dispatch_ptr 0
		.amdhsa_user_sgpr_queue_ptr 0
		.amdhsa_user_sgpr_kernarg_segment_ptr 1
		.amdhsa_user_sgpr_dispatch_id 0
		.amdhsa_user_sgpr_private_segment_size 0
		.amdhsa_wavefront_size32 1
		.amdhsa_uses_dynamic_stack 0
		.amdhsa_enable_private_segment 0
		.amdhsa_system_sgpr_workgroup_id_x 1
		.amdhsa_system_sgpr_workgroup_id_y 1
		.amdhsa_system_sgpr_workgroup_id_z 1
		.amdhsa_system_sgpr_workgroup_info 0
		.amdhsa_system_vgpr_workitem_id 1
		.amdhsa_next_free_vgpr 218
		.amdhsa_next_free_sgpr 51
		.amdhsa_reserve_vcc 1
		.amdhsa_float_round_mode_32 0
		.amdhsa_float_round_mode_16_64 0
		.amdhsa_float_denorm_mode_32 3
		.amdhsa_float_denorm_mode_16_64 3
		.amdhsa_dx10_clamp 1
		.amdhsa_ieee_mode 1
		.amdhsa_fp16_overflow 0
		.amdhsa_workgroup_processor_mode 1
		.amdhsa_memory_ordered 1
		.amdhsa_forward_progress 0
		.amdhsa_shared_vgpr_count 0
		.amdhsa_exception_fp_ieee_invalid_op 0
		.amdhsa_exception_fp_denorm_src 0
		.amdhsa_exception_fp_ieee_div_zero 0
		.amdhsa_exception_fp_ieee_overflow 0
		.amdhsa_exception_fp_ieee_underflow 0
		.amdhsa_exception_fp_ieee_inexact 0
		.amdhsa_exception_int_div_zero 0
	.end_amdhsa_kernel
	.section	.text._ZL18flash_attn_ext_vecILi128ELi1EL9ggml_type3ELS0_3ELb0EEvPKcS2_S2_S2_S2_PKiPfP15HIP_vector_typeIfLj2EEffffjfiS6_IjLj3EEiiiiiiiiiiiliiliiiiil,"axG",@progbits,_ZL18flash_attn_ext_vecILi128ELi1EL9ggml_type3ELS0_3ELb0EEvPKcS2_S2_S2_S2_PKiPfP15HIP_vector_typeIfLj2EEffffjfiS6_IjLj3EEiiiiiiiiiiiliiliiiiil,comdat
.Lfunc_end14:
	.size	_ZL18flash_attn_ext_vecILi128ELi1EL9ggml_type3ELS0_3ELb0EEvPKcS2_S2_S2_S2_PKiPfP15HIP_vector_typeIfLj2EEffffjfiS6_IjLj3EEiiiiiiiiiiiliiliiiiil, .Lfunc_end14-_ZL18flash_attn_ext_vecILi128ELi1EL9ggml_type3ELS0_3ELb0EEvPKcS2_S2_S2_S2_PKiPfP15HIP_vector_typeIfLj2EEffffjfiS6_IjLj3EEiiiiiiiiiiiliiliiiiil
                                        ; -- End function
	.section	.AMDGPU.csdata,"",@progbits
; Kernel info:
; codeLenInByte = 16484
; NumSgprs: 53
; NumVgprs: 218
; ScratchSize: 0
; MemoryBound: 0
; FloatMode: 240
; IeeeMode: 1
; LDSByteSize: 1280 bytes/workgroup (compile time only)
; SGPRBlocks: 6
; VGPRBlocks: 27
; NumSGPRsForWavesPerEU: 53
; NumVGPRsForWavesPerEU: 218
; Occupancy: 6
; WaveLimiterHint : 0
; COMPUTE_PGM_RSRC2:SCRATCH_EN: 0
; COMPUTE_PGM_RSRC2:USER_SGPR: 13
; COMPUTE_PGM_RSRC2:TRAP_HANDLER: 0
; COMPUTE_PGM_RSRC2:TGID_X_EN: 1
; COMPUTE_PGM_RSRC2:TGID_Y_EN: 1
; COMPUTE_PGM_RSRC2:TGID_Z_EN: 1
; COMPUTE_PGM_RSRC2:TIDIG_COMP_CNT: 1
	.section	.text._ZL33flash_attn_stream_k_fixup_uniformILi128ELi1ELi1EEvPfPK15HIP_vector_typeIfLj2EEiiiiiiS1_IjLj3EES5_S5_,"axG",@progbits,_ZL33flash_attn_stream_k_fixup_uniformILi128ELi1ELi1EEvPfPK15HIP_vector_typeIfLj2EEiiiiiiS1_IjLj3EES5_S5_,comdat
	.globl	_ZL33flash_attn_stream_k_fixup_uniformILi128ELi1ELi1EEvPfPK15HIP_vector_typeIfLj2EEiiiiiiS1_IjLj3EES5_S5_ ; -- Begin function _ZL33flash_attn_stream_k_fixup_uniformILi128ELi1ELi1EEvPfPK15HIP_vector_typeIfLj2EEiiiiiiS1_IjLj3EES5_S5_
	.p2align	8
	.type	_ZL33flash_attn_stream_k_fixup_uniformILi128ELi1ELi1EEvPfPK15HIP_vector_typeIfLj2EEiiiiiiS1_IjLj3EES5_S5_,@function
_ZL33flash_attn_stream_k_fixup_uniformILi128ELi1ELi1EEvPfPK15HIP_vector_typeIfLj2EEiiiiiiS1_IjLj3EES5_S5_: ; @_ZL33flash_attn_stream_k_fixup_uniformILi128ELi1ELi1EEvPfPK15HIP_vector_typeIfLj2EEiiiiiiS1_IjLj3EES5_S5_
; %bb.0:
	s_clause 0x1
	s_load_b256 s[4:11], s[0:1], 0x1c
	s_load_b128 s[16:19], s[0:1], 0x3c
	s_waitcnt lgkmcnt(0)
	s_mul_hi_u32 s2, s7, s13
	s_delay_alu instid0(SALU_CYCLE_1) | instskip(NEXT) | instid1(SALU_CYCLE_1)
	s_add_i32 s2, s13, s2
	s_lshr_b32 s7, s2, s8
	s_delay_alu instid0(SALU_CYCLE_1) | instskip(SKIP_2) | instid1(SALU_CYCLE_1)
	s_mul_i32 s2, s7, s9
	s_load_b64 s[8:9], s[0:1], 0x10
	s_sub_i32 s2, s13, s2
	s_mul_hi_u32 s3, s2, s10
	s_delay_alu instid0(SALU_CYCLE_1) | instskip(NEXT) | instid1(SALU_CYCLE_1)
	s_add_i32 s3, s2, s3
	s_lshr_b32 s10, s3, s11
	s_delay_alu instid0(SALU_CYCLE_1) | instskip(NEXT) | instid1(SALU_CYCLE_1)
	s_mul_i32 s3, s10, s16
	s_sub_i32 s2, s2, s3
	s_delay_alu instid0(SALU_CYCLE_1) | instskip(NEXT) | instid1(SALU_CYCLE_1)
	s_mul_hi_u32 s3, s2, s17
	s_add_i32 s3, s2, s3
	s_delay_alu instid0(SALU_CYCLE_1) | instskip(NEXT) | instid1(SALU_CYCLE_1)
	s_lshr_b32 s12, s3, s18
	s_mul_i32 s3, s12, s19
	s_delay_alu instid0(SALU_CYCLE_1) | instskip(NEXT) | instid1(SALU_CYCLE_1)
	s_sub_i32 s11, s2, s3
	s_add_i32 s11, s11, s14
	s_waitcnt lgkmcnt(0)
	s_cmp_lt_i32 s11, s8
	s_cselect_b32 s2, -1, 0
	s_add_i32 s12, s12, s15
	s_delay_alu instid0(SALU_CYCLE_1) | instskip(SKIP_1) | instid1(SALU_CYCLE_1)
	s_cmp_lt_i32 s12, s5
	s_cselect_b32 s3, -1, 0
	s_and_b32 s2, s2, s3
	s_delay_alu instid0(SALU_CYCLE_1)
	s_and_not1_b32 vcc_lo, exec_lo, s2
	s_cbranch_vccnz .LBB15_6
; %bb.1:
	s_mul_i32 s7, s7, s8
	s_mul_i32 s10, s10, s5
	s_add_i32 s5, s11, s7
	s_load_b128 s[0:3], s[0:1], 0x0
	s_add_i32 s7, s12, s10
	s_mul_i32 s5, s5, s9
	s_delay_alu instid0(SALU_CYCLE_1) | instskip(SKIP_4) | instid1(SALU_CYCLE_1)
	s_add_i32 s7, s7, s5
	s_mul_i32 s5, s13, s6
	v_lshl_or_b32 v1, s7, 7, v0
	s_add_i32 s7, s14, s15
	s_add_i32 s6, s5, s6
	;; [unrolled: 1-line block ×3, first 2 shown]
	s_delay_alu instid0(VALU_DEP_1) | instskip(NEXT) | instid1(VALU_DEP_1)
	v_ashrrev_i32_e32 v2, 31, v1
	v_lshlrev_b64 v[1:2], 2, v[1:2]
	s_waitcnt lgkmcnt(0)
	s_delay_alu instid0(VALU_DEP_1) | instskip(NEXT) | instid1(VALU_DEP_2)
	v_add_co_u32 v1, vcc_lo, s0, v1
	v_add_co_ci_u32_e32 v2, vcc_lo, s1, v2, vcc_lo
	s_add_i32 s0, s8, -1
	s_delay_alu instid0(SALU_CYCLE_1) | instskip(SKIP_2) | instid1(SALU_CYCLE_1)
	s_ashr_i32 s1, s0, 31
	global_load_b32 v5, v[1:2], off
	s_lshl_b64 s[0:1], s[0:1], 3
	s_add_u32 s0, s2, s0
	s_addc_u32 s1, s3, s1
	s_add_i32 s10, s6, -2
	s_load_b32 s9, s[0:1], 0x4
	s_cmp_lt_i32 s10, s5
	s_cbranch_scc1 .LBB15_4
; %bb.2:
	s_load_b32 s10, s[0:1], 0x0
	v_lshl_or_b32 v0, s8, 7, v0
	s_lshl_b32 s0, s4, 2
	s_waitcnt lgkmcnt(0)
	v_mov_b32_e32 v6, s9
	s_ashr_i32 s1, s0, 31
	s_delay_alu instid0(SALU_CYCLE_1)
	s_lshl_b64 s[0:1], s[0:1], 2
	v_add_nc_u32_e32 v3, 0xffffff00, v0
	s_add_u32 s0, s2, s0
	s_addc_u32 s1, s3, s1
	s_add_i32 s6, s6, -1
	s_add_i32 s4, s7, s4
	v_mov_b32_e32 v0, s10
.LBB15_3:                               ; =>This Inner Loop Header: Depth=1
	s_delay_alu instid0(VALU_DEP_2) | instskip(SKIP_1) | instid1(SALU_CYCLE_1)
	v_ashrrev_i32_e32 v4, 31, v3
	s_add_i32 s6, s6, -1
	s_add_i32 s8, s6, s4
	s_delay_alu instid0(SALU_CYCLE_1) | instskip(NEXT) | instid1(VALU_DEP_1)
	s_ashr_i32 s9, s8, 31
	v_lshlrev_b64 v[7:8], 2, v[3:4]
	s_lshl_b64 s[8:9], s[8:9], 3
	s_delay_alu instid0(SALU_CYCLE_1) | instskip(SKIP_2) | instid1(VALU_DEP_1)
	s_add_u32 s8, s2, s8
	s_addc_u32 s9, s3, s9
	s_cmp_le_i32 s6, s5
	v_add_co_u32 v7, vcc_lo, s0, v7
	v_add_co_ci_u32_e32 v8, vcc_lo, s1, v8, vcc_lo
	s_load_b64 s[8:9], s[8:9], 0x0
	global_load_b32 v4, v[7:8], off
	v_max_f32_e32 v7, v0, v0
	s_waitcnt lgkmcnt(0)
	v_max_f32_e64 v8, s8, s8
	s_delay_alu instid0(VALU_DEP_1) | instskip(NEXT) | instid1(VALU_DEP_1)
	v_max_f32_e32 v7, v7, v8
	v_sub_f32_e32 v8, s8, v7
	s_delay_alu instid0(VALU_DEP_1) | instskip(NEXT) | instid1(VALU_DEP_1)
	v_dual_sub_f32 v0, v0, v7 :: v_dual_mul_f32 v9, 0x3fb8aa3b, v8
	v_fma_f32 v10, 0x3fb8aa3b, v8, -v9
	v_rndne_f32_e32 v11, v9
	s_delay_alu instid0(VALU_DEP_3) | instskip(NEXT) | instid1(VALU_DEP_2)
	v_mul_f32_e32 v12, 0x3fb8aa3b, v0
	v_dual_fmac_f32 v10, 0x32a5705f, v8 :: v_dual_sub_f32 v9, v9, v11
	v_cvt_i32_f32_e32 v11, v11
	s_delay_alu instid0(VALU_DEP_3) | instskip(SKIP_1) | instid1(VALU_DEP_4)
	v_fma_f32 v13, 0x3fb8aa3b, v0, -v12
	v_rndne_f32_e32 v14, v12
	v_add_f32_e32 v9, v9, v10
	v_cmp_ngt_f32_e32 vcc_lo, 0xc2ce8ed0, v8
	s_delay_alu instid0(VALU_DEP_3) | instskip(NEXT) | instid1(VALU_DEP_3)
	v_sub_f32_e32 v10, v12, v14
	v_exp_f32_e32 v9, v9
	s_waitcnt_depctr 0xfff
	v_ldexp_f32 v9, v9, v11
	v_cvt_i32_f32_e32 v11, v14
	s_delay_alu instid0(VALU_DEP_2) | instskip(SKIP_1) | instid1(VALU_DEP_2)
	v_cndmask_b32_e32 v9, 0, v9, vcc_lo
	v_cmp_nlt_f32_e32 vcc_lo, 0x42b17218, v8
	v_cndmask_b32_e32 v9, 0x7f800000, v9, vcc_lo
	v_cmp_ngt_f32_e32 vcc_lo, 0xc2ce8ed0, v0
	v_fmac_f32_e32 v13, 0x32a5705f, v0
	s_delay_alu instid0(VALU_DEP_1) | instskip(NEXT) | instid1(VALU_DEP_1)
	v_add_f32_e32 v10, v10, v13
	v_exp_f32_e32 v10, v10
	s_waitcnt_depctr 0xfff
	v_ldexp_f32 v10, v10, v11
	s_delay_alu instid0(VALU_DEP_1)
	v_dual_mov_b32 v11, v6 :: v_dual_cndmask_b32 v10, 0, v10
	v_cmp_le_f32_e32 vcc_lo, 0xc1a00000, v8
	s_waitcnt vmcnt(1)
	v_dual_cndmask_b32 v8, 0, v9 :: v_dual_mov_b32 v9, v5
	v_cmp_nlt_f32_e32 vcc_lo, 0x42b17218, v0
	v_cndmask_b32_e32 v5, 0x7f800000, v10, vcc_lo
	s_delay_alu instid0(VALU_DEP_3) | instskip(SKIP_2) | instid1(VALU_DEP_3)
	v_mul_f32_e32 v10, s9, v8
	v_cmp_le_f32_e32 vcc_lo, 0xc1a00000, v0
	v_mov_b32_e32 v0, v7
	v_mov_b32_e32 v6, v10
	s_waitcnt vmcnt(0)
	v_dual_cndmask_b32 v12, 0, v5 :: v_dual_mul_f32 v5, v4, v8
	s_delay_alu instid0(VALU_DEP_1) | instskip(NEXT) | instid1(VALU_DEP_2)
	v_dual_fmac_f32 v6, v11, v12 :: v_dual_add_nc_u32 v3, 0xffffff80, v3
	v_fmac_f32_e32 v5, v9, v12
	s_cbranch_scc0 .LBB15_3
	s_branch .LBB15_5
.LBB15_4:
	s_waitcnt lgkmcnt(0)
	v_mov_b32_e32 v6, s9
.LBB15_5:
	s_waitcnt vmcnt(0)
	s_delay_alu instid0(VALU_DEP_1) | instskip(NEXT) | instid1(VALU_DEP_1)
	v_div_scale_f32 v0, null, v6, v6, v5
	v_rcp_f32_e32 v3, v0
	s_waitcnt_depctr 0xfff
	v_fma_f32 v4, -v0, v3, 1.0
	s_delay_alu instid0(VALU_DEP_1) | instskip(SKIP_1) | instid1(VALU_DEP_1)
	v_fmac_f32_e32 v3, v4, v3
	v_div_scale_f32 v4, vcc_lo, v5, v6, v5
	v_mul_f32_e32 v7, v4, v3
	s_delay_alu instid0(VALU_DEP_1) | instskip(NEXT) | instid1(VALU_DEP_1)
	v_fma_f32 v8, -v0, v7, v4
	v_fmac_f32_e32 v7, v8, v3
	s_delay_alu instid0(VALU_DEP_1) | instskip(NEXT) | instid1(VALU_DEP_1)
	v_fma_f32 v0, -v0, v7, v4
	v_div_fmas_f32 v0, v0, v3, v7
	s_delay_alu instid0(VALU_DEP_1)
	v_div_fixup_f32 v0, v0, v6, v5
	global_store_b32 v[1:2], v0, off
.LBB15_6:
	s_nop 0
	s_sendmsg sendmsg(MSG_DEALLOC_VGPRS)
	s_endpgm
	.section	.rodata,"a",@progbits
	.p2align	6, 0x0
	.amdhsa_kernel _ZL33flash_attn_stream_k_fixup_uniformILi128ELi1ELi1EEvPfPK15HIP_vector_typeIfLj2EEiiiiiiS1_IjLj3EES5_S5_
		.amdhsa_group_segment_fixed_size 0
		.amdhsa_private_segment_fixed_size 0
		.amdhsa_kernarg_size 76
		.amdhsa_user_sgpr_count 13
		.amdhsa_user_sgpr_dispatch_ptr 0
		.amdhsa_user_sgpr_queue_ptr 0
		.amdhsa_user_sgpr_kernarg_segment_ptr 1
		.amdhsa_user_sgpr_dispatch_id 0
		.amdhsa_user_sgpr_private_segment_size 0
		.amdhsa_wavefront_size32 1
		.amdhsa_uses_dynamic_stack 0
		.amdhsa_enable_private_segment 0
		.amdhsa_system_sgpr_workgroup_id_x 1
		.amdhsa_system_sgpr_workgroup_id_y 1
		.amdhsa_system_sgpr_workgroup_id_z 1
		.amdhsa_system_sgpr_workgroup_info 0
		.amdhsa_system_vgpr_workitem_id 0
		.amdhsa_next_free_vgpr 15
		.amdhsa_next_free_sgpr 20
		.amdhsa_reserve_vcc 1
		.amdhsa_float_round_mode_32 0
		.amdhsa_float_round_mode_16_64 0
		.amdhsa_float_denorm_mode_32 3
		.amdhsa_float_denorm_mode_16_64 3
		.amdhsa_dx10_clamp 1
		.amdhsa_ieee_mode 1
		.amdhsa_fp16_overflow 0
		.amdhsa_workgroup_processor_mode 1
		.amdhsa_memory_ordered 1
		.amdhsa_forward_progress 0
		.amdhsa_shared_vgpr_count 0
		.amdhsa_exception_fp_ieee_invalid_op 0
		.amdhsa_exception_fp_denorm_src 0
		.amdhsa_exception_fp_ieee_div_zero 0
		.amdhsa_exception_fp_ieee_overflow 0
		.amdhsa_exception_fp_ieee_underflow 0
		.amdhsa_exception_fp_ieee_inexact 0
		.amdhsa_exception_int_div_zero 0
	.end_amdhsa_kernel
	.section	.text._ZL33flash_attn_stream_k_fixup_uniformILi128ELi1ELi1EEvPfPK15HIP_vector_typeIfLj2EEiiiiiiS1_IjLj3EES5_S5_,"axG",@progbits,_ZL33flash_attn_stream_k_fixup_uniformILi128ELi1ELi1EEvPfPK15HIP_vector_typeIfLj2EEiiiiiiS1_IjLj3EES5_S5_,comdat
.Lfunc_end15:
	.size	_ZL33flash_attn_stream_k_fixup_uniformILi128ELi1ELi1EEvPfPK15HIP_vector_typeIfLj2EEiiiiiiS1_IjLj3EES5_S5_, .Lfunc_end15-_ZL33flash_attn_stream_k_fixup_uniformILi128ELi1ELi1EEvPfPK15HIP_vector_typeIfLj2EEiiiiiiS1_IjLj3EES5_S5_
                                        ; -- End function
	.section	.AMDGPU.csdata,"",@progbits
; Kernel info:
; codeLenInByte = 916
; NumSgprs: 22
; NumVgprs: 15
; ScratchSize: 0
; MemoryBound: 0
; FloatMode: 240
; IeeeMode: 1
; LDSByteSize: 0 bytes/workgroup (compile time only)
; SGPRBlocks: 2
; VGPRBlocks: 1
; NumSGPRsForWavesPerEU: 22
; NumVGPRsForWavesPerEU: 15
; Occupancy: 16
; WaveLimiterHint : 0
; COMPUTE_PGM_RSRC2:SCRATCH_EN: 0
; COMPUTE_PGM_RSRC2:USER_SGPR: 13
; COMPUTE_PGM_RSRC2:TRAP_HANDLER: 0
; COMPUTE_PGM_RSRC2:TGID_X_EN: 1
; COMPUTE_PGM_RSRC2:TGID_Y_EN: 1
; COMPUTE_PGM_RSRC2:TGID_Z_EN: 1
; COMPUTE_PGM_RSRC2:TIDIG_COMP_CNT: 0
	.section	.text._ZL33flash_attn_stream_k_fixup_generalILi128ELi1ELi1EEvPfPK15HIP_vector_typeIfLj2EEiiiiS1_IjLj3EES5_S5_S5_,"axG",@progbits,_ZL33flash_attn_stream_k_fixup_generalILi128ELi1ELi1EEvPfPK15HIP_vector_typeIfLj2EEiiiiS1_IjLj3EES5_S5_S5_,comdat
	.globl	_ZL33flash_attn_stream_k_fixup_generalILi128ELi1ELi1EEvPfPK15HIP_vector_typeIfLj2EEiiiiS1_IjLj3EES5_S5_S5_ ; -- Begin function _ZL33flash_attn_stream_k_fixup_generalILi128ELi1ELi1EEvPfPK15HIP_vector_typeIfLj2EEiiiiS1_IjLj3EES5_S5_S5_
	.p2align	8
	.type	_ZL33flash_attn_stream_k_fixup_generalILi128ELi1ELi1EEvPfPK15HIP_vector_typeIfLj2EEiiiiS1_IjLj3EES5_S5_S5_,@function
_ZL33flash_attn_stream_k_fixup_generalILi128ELi1ELi1EEvPfPK15HIP_vector_typeIfLj2EEiiiiS1_IjLj3EES5_S5_S5_: ; @_ZL33flash_attn_stream_k_fixup_generalILi128ELi1ELi1EEvPfPK15HIP_vector_typeIfLj2EEiiiiS1_IjLj3EES5_S5_S5_
; %bb.0:
	s_clause 0x1
	s_load_b128 s[4:7], s[0:1], 0x10
	s_load_b32 s20, s[0:1], 0x50
	s_mov_b32 s2, 0
	s_waitcnt lgkmcnt(0)
	s_mul_hi_i32 s3, s7, s13
	s_mul_i32 s12, s7, s13
	s_cmp_lg_u64 s[2:3], 0
	s_cbranch_scc0 .LBB16_21
; %bb.1:
	v_cvt_f32_ubyte0_e32 v1, 0
	v_cvt_f32_u32_e32 v2, s20
	s_sub_u32 s10, 0, s20
	s_subb_u32 s11, 0, 0
	s_delay_alu instid0(VALU_DEP_1) | instskip(NEXT) | instid1(VALU_DEP_1)
	v_fmamk_f32 v1, v1, 0x4f800000, v2
	v_rcp_f32_e32 v1, v1
	s_waitcnt_depctr 0xfff
	v_mul_f32_e32 v1, 0x5f7ffffc, v1
	s_delay_alu instid0(VALU_DEP_1) | instskip(NEXT) | instid1(VALU_DEP_1)
	v_mul_f32_e32 v2, 0x2f800000, v1
	v_trunc_f32_e32 v2, v2
	s_delay_alu instid0(VALU_DEP_1) | instskip(SKIP_1) | instid1(VALU_DEP_2)
	v_fmamk_f32 v1, v2, 0xcf800000, v1
	v_cvt_u32_f32_e32 v2, v2
	v_cvt_u32_f32_e32 v1, v1
	s_delay_alu instid0(VALU_DEP_2) | instskip(NEXT) | instid1(VALU_DEP_2)
	v_readfirstlane_b32 s8, v2
	v_readfirstlane_b32 s9, v1
	s_delay_alu instid0(VALU_DEP_2) | instskip(NEXT) | instid1(VALU_DEP_1)
	s_mul_i32 s16, s10, s8
	s_mul_hi_u32 s18, s10, s9
	s_mul_i32 s17, s11, s9
	s_add_i32 s16, s18, s16
	s_mul_i32 s19, s10, s9
	s_add_i32 s16, s16, s17
	s_mul_hi_u32 s18, s9, s19
	s_mul_hi_u32 s21, s8, s19
	s_mul_i32 s17, s8, s19
	s_mul_hi_u32 s19, s9, s16
	s_mul_i32 s9, s9, s16
	s_mul_hi_u32 s22, s8, s16
	s_add_u32 s9, s18, s9
	s_addc_u32 s18, 0, s19
	s_add_u32 s9, s9, s17
	s_mul_i32 s16, s8, s16
	s_addc_u32 s9, s18, s21
	s_addc_u32 s17, s22, 0
	s_add_u32 s9, s9, s16
	s_addc_u32 s16, 0, s17
	v_add_co_u32 v1, s9, v1, s9
	s_delay_alu instid0(VALU_DEP_1) | instskip(SKIP_1) | instid1(VALU_DEP_1)
	s_cmp_lg_u32 s9, 0
	s_addc_u32 s8, s8, s16
	v_readfirstlane_b32 s9, v1
	s_mul_i32 s16, s10, s8
	s_delay_alu instid0(VALU_DEP_1)
	s_mul_hi_u32 s17, s10, s9
	s_mul_i32 s11, s11, s9
	s_add_i32 s16, s17, s16
	s_mul_i32 s10, s10, s9
	s_add_i32 s16, s16, s11
	s_mul_hi_u32 s17, s8, s10
	s_mul_i32 s18, s8, s10
	s_mul_hi_u32 s10, s9, s10
	s_mul_hi_u32 s19, s9, s16
	s_mul_i32 s9, s9, s16
	s_mul_hi_u32 s11, s8, s16
	s_add_u32 s9, s10, s9
	s_addc_u32 s10, 0, s19
	s_add_u32 s9, s9, s18
	s_mul_i32 s16, s8, s16
	s_addc_u32 s9, s10, s17
	s_addc_u32 s10, s11, 0
	s_add_u32 s9, s9, s16
	s_addc_u32 s10, 0, s10
	v_add_co_u32 v1, s9, v1, s9
	s_delay_alu instid0(VALU_DEP_1) | instskip(SKIP_2) | instid1(SALU_CYCLE_1)
	s_cmp_lg_u32 s9, 0
	s_addc_u32 s16, s8, s10
	s_ashr_i32 s8, s3, 31
	s_add_u32 s10, s12, s8
	s_addc_u32 s11, s3, s8
	v_readfirstlane_b32 s3, v1
	s_mov_b32 s9, s8
	s_delay_alu instid0(SALU_CYCLE_1) | instskip(NEXT) | instid1(SALU_CYCLE_1)
	s_xor_b64 s[10:11], s[10:11], s[8:9]
	s_mul_i32 s18, s10, s16
	s_delay_alu instid0(VALU_DEP_1)
	s_mul_hi_u32 s19, s10, s3
	s_mul_hi_u32 s17, s10, s16
	;; [unrolled: 1-line block ×3, first 2 shown]
	s_mul_i32 s3, s11, s3
	s_add_u32 s18, s19, s18
	s_addc_u32 s17, 0, s17
	s_mul_hi_u32 s21, s11, s16
	s_add_u32 s3, s18, s3
	s_mul_i32 s16, s11, s16
	s_addc_u32 s3, s17, s22
	s_addc_u32 s17, s21, 0
	s_add_u32 s3, s3, s16
	s_addc_u32 s16, 0, s17
	s_mul_i32 s18, s20, s3
	s_add_u32 s17, s3, 1
	v_sub_co_u32 v1, s10, s10, s18
	s_mul_hi_u32 s18, s20, s3
	s_addc_u32 s19, s16, 0
	s_mul_i32 s21, s20, s16
	s_delay_alu instid0(VALU_DEP_1)
	v_sub_co_u32 v2, s22, v1, s20
	s_add_u32 s23, s3, 2
	s_addc_u32 s24, s16, 0
	s_add_i32 s18, s18, s21
	s_cmp_lg_u32 s10, 0
	v_readfirstlane_b32 s10, v2
	s_subb_u32 s11, s11, s18
	s_cmp_lg_u32 s22, 0
	s_subb_u32 s18, s11, 0
	s_delay_alu instid0(VALU_DEP_1) | instskip(SKIP_4) | instid1(SALU_CYCLE_1)
	s_cmp_ge_u32 s10, s20
	s_cselect_b32 s10, -1, 0
	s_cmp_eq_u32 s18, 0
	v_readfirstlane_b32 s18, v1
	s_cselect_b32 s10, s10, -1
	s_cmp_lg_u32 s10, 0
	s_cselect_b32 s10, s23, s17
	s_cselect_b32 s17, s24, s19
	s_cmp_ge_u32 s18, s20
	s_cselect_b32 s18, -1, 0
	s_cmp_eq_u32 s11, 0
	s_cselect_b32 s11, s18, -1
	s_delay_alu instid0(SALU_CYCLE_1) | instskip(SKIP_2) | instid1(SALU_CYCLE_1)
	s_cmp_lg_u32 s11, 0
	s_cselect_b32 s11, s17, s16
	s_cselect_b32 s10, s10, s3
	s_xor_b64 s[10:11], s[10:11], s[8:9]
	s_delay_alu instid0(SALU_CYCLE_1)
	s_sub_u32 s16, s10, s8
	s_load_b128 s[8:11], s[0:1], 0x44
	s_and_not1_b32 vcc_lo, exec_lo, s2
	s_cbranch_vccnz .LBB16_3
.LBB16_2:
	v_cvt_f32_u32_e32 v1, s20
	s_sub_i32 s3, 0, s20
	s_delay_alu instid0(VALU_DEP_1) | instskip(SKIP_2) | instid1(VALU_DEP_1)
	v_rcp_iflag_f32_e32 v1, v1
	s_waitcnt_depctr 0xfff
	v_mul_f32_e32 v1, 0x4f7ffffe, v1
	v_cvt_u32_f32_e32 v1, v1
	s_delay_alu instid0(VALU_DEP_1) | instskip(NEXT) | instid1(VALU_DEP_1)
	v_readfirstlane_b32 s2, v1
	s_mul_i32 s3, s3, s2
	s_delay_alu instid0(SALU_CYCLE_1) | instskip(NEXT) | instid1(SALU_CYCLE_1)
	s_mul_hi_u32 s3, s2, s3
	s_add_i32 s2, s2, s3
	s_delay_alu instid0(SALU_CYCLE_1) | instskip(NEXT) | instid1(SALU_CYCLE_1)
	s_mul_hi_u32 s2, s12, s2
	s_mul_i32 s3, s2, s20
	s_waitcnt lgkmcnt(0)
	s_add_i32 s11, s2, 1
	s_sub_i32 s3, s12, s3
	s_delay_alu instid0(SALU_CYCLE_1)
	s_sub_i32 s12, s3, s20
	s_cmp_ge_u32 s3, s20
	s_cselect_b32 s2, s11, s2
	s_cselect_b32 s3, s12, s3
	s_add_i32 s11, s2, 1
	s_cmp_ge_u32 s3, s20
	s_cselect_b32 s16, s11, s2
.LBB16_3:
	s_waitcnt lgkmcnt(0)
	s_add_i32 s11, s13, 1
	s_mov_b32 s2, 0
	s_mul_hi_i32 s3, s7, s11
	s_mul_i32 s11, s7, s11
	s_cmp_lg_u64 s[2:3], 0
	s_cbranch_scc0 .LBB16_22
; %bb.4:
	v_cvt_f32_ubyte0_e32 v1, 0
	v_cvt_f32_u32_e32 v2, s20
	s_sub_u32 s18, 0, s20
	s_subb_u32 s19, 0, 0
	s_delay_alu instid0(VALU_DEP_1) | instskip(NEXT) | instid1(VALU_DEP_1)
	v_fmamk_f32 v1, v1, 0x4f800000, v2
	v_rcp_f32_e32 v1, v1
	s_waitcnt_depctr 0xfff
	v_mul_f32_e32 v1, 0x5f7ffffc, v1
	s_delay_alu instid0(VALU_DEP_1) | instskip(NEXT) | instid1(VALU_DEP_1)
	v_mul_f32_e32 v2, 0x2f800000, v1
	v_trunc_f32_e32 v2, v2
	s_delay_alu instid0(VALU_DEP_1) | instskip(SKIP_1) | instid1(VALU_DEP_2)
	v_fmamk_f32 v1, v2, 0xcf800000, v1
	v_cvt_u32_f32_e32 v2, v2
	v_cvt_u32_f32_e32 v1, v1
	s_delay_alu instid0(VALU_DEP_2) | instskip(NEXT) | instid1(VALU_DEP_2)
	v_readfirstlane_b32 s12, v2
	v_readfirstlane_b32 s17, v1
	s_delay_alu instid0(VALU_DEP_2) | instskip(NEXT) | instid1(VALU_DEP_1)
	s_mul_i32 s21, s18, s12
	s_mul_hi_u32 s23, s18, s17
	s_mul_i32 s22, s19, s17
	s_add_i32 s21, s23, s21
	s_mul_i32 s24, s18, s17
	s_add_i32 s21, s21, s22
	s_mul_hi_u32 s23, s17, s24
	s_mul_hi_u32 s25, s12, s24
	s_mul_i32 s22, s12, s24
	s_mul_hi_u32 s24, s17, s21
	s_mul_i32 s17, s17, s21
	s_mul_hi_u32 s26, s12, s21
	s_add_u32 s17, s23, s17
	s_addc_u32 s23, 0, s24
	s_add_u32 s17, s17, s22
	s_mul_i32 s21, s12, s21
	s_addc_u32 s17, s23, s25
	s_addc_u32 s22, s26, 0
	s_add_u32 s17, s17, s21
	s_addc_u32 s21, 0, s22
	v_add_co_u32 v1, s17, v1, s17
	s_delay_alu instid0(VALU_DEP_1) | instskip(SKIP_1) | instid1(VALU_DEP_1)
	s_cmp_lg_u32 s17, 0
	s_addc_u32 s12, s12, s21
	v_readfirstlane_b32 s17, v1
	s_mul_i32 s21, s18, s12
	s_delay_alu instid0(VALU_DEP_1)
	s_mul_hi_u32 s22, s18, s17
	s_mul_i32 s19, s19, s17
	s_add_i32 s21, s22, s21
	s_mul_i32 s18, s18, s17
	s_add_i32 s21, s21, s19
	s_mul_hi_u32 s22, s12, s18
	s_mul_i32 s23, s12, s18
	s_mul_hi_u32 s18, s17, s18
	s_mul_hi_u32 s24, s17, s21
	s_mul_i32 s17, s17, s21
	s_mul_hi_u32 s19, s12, s21
	s_add_u32 s17, s18, s17
	s_addc_u32 s18, 0, s24
	s_add_u32 s17, s17, s23
	s_mul_i32 s21, s12, s21
	s_addc_u32 s17, s18, s22
	s_addc_u32 s18, s19, 0
	s_add_u32 s17, s17, s21
	s_addc_u32 s18, 0, s18
	v_add_co_u32 v1, s17, v1, s17
	s_delay_alu instid0(VALU_DEP_1) | instskip(SKIP_2) | instid1(SALU_CYCLE_1)
	s_cmp_lg_u32 s17, 0
	s_addc_u32 s12, s12, s18
	s_ashr_i32 s18, s3, 31
	s_add_u32 s22, s11, s18
	s_addc_u32 s23, s3, s18
	v_readfirstlane_b32 s3, v1
	s_mov_b32 s19, s18
	s_delay_alu instid0(SALU_CYCLE_1) | instskip(NEXT) | instid1(SALU_CYCLE_1)
	s_xor_b64 s[22:23], s[22:23], s[18:19]
	s_mul_i32 s21, s22, s12
	s_delay_alu instid0(VALU_DEP_1)
	s_mul_hi_u32 s24, s22, s3
	s_mul_hi_u32 s17, s22, s12
	;; [unrolled: 1-line block ×3, first 2 shown]
	s_mul_i32 s3, s23, s3
	s_add_u32 s21, s24, s21
	s_addc_u32 s17, 0, s17
	s_mul_hi_u32 s25, s23, s12
	s_add_u32 s3, s21, s3
	s_mul_i32 s12, s23, s12
	s_addc_u32 s3, s17, s26
	s_addc_u32 s17, s25, 0
	s_add_u32 s3, s3, s12
	s_addc_u32 s12, 0, s17
	s_mul_i32 s21, s20, s3
	s_add_u32 s17, s3, 1
	v_sub_co_u32 v1, s21, s22, s21
	s_mul_hi_u32 s22, s20, s3
	s_addc_u32 s24, s12, 0
	s_mul_i32 s25, s20, s12
	s_delay_alu instid0(VALU_DEP_1)
	v_sub_co_u32 v2, s26, v1, s20
	s_add_u32 s27, s3, 2
	s_addc_u32 s28, s12, 0
	s_add_i32 s22, s22, s25
	s_cmp_lg_u32 s21, 0
	v_readfirstlane_b32 s21, v2
	s_subb_u32 s22, s23, s22
	s_cmp_lg_u32 s26, 0
	s_subb_u32 s23, s22, 0
	s_delay_alu instid0(VALU_DEP_1) | instskip(SKIP_4) | instid1(SALU_CYCLE_1)
	s_cmp_ge_u32 s21, s20
	s_cselect_b32 s21, -1, 0
	s_cmp_eq_u32 s23, 0
	v_readfirstlane_b32 s23, v1
	s_cselect_b32 s21, s21, -1
	s_cmp_lg_u32 s21, 0
	s_cselect_b32 s17, s27, s17
	s_cselect_b32 s21, s28, s24
	s_cmp_ge_u32 s23, s20
	s_cselect_b32 s23, -1, 0
	s_cmp_eq_u32 s22, 0
	s_cselect_b32 s22, s23, -1
	s_delay_alu instid0(SALU_CYCLE_1) | instskip(SKIP_2) | instid1(SALU_CYCLE_1)
	s_cmp_lg_u32 s22, 0
	s_cselect_b32 s23, s21, s12
	s_cselect_b32 s22, s17, s3
	s_xor_b64 s[22:23], s[22:23], s[18:19]
	s_delay_alu instid0(SALU_CYCLE_1)
	s_sub_u32 s18, s22, s18
	s_and_not1_b32 vcc_lo, exec_lo, s2
	s_cbranch_vccnz .LBB16_6
.LBB16_5:
	v_cvt_f32_u32_e32 v1, s20
	s_sub_i32 s3, 0, s20
	s_delay_alu instid0(VALU_DEP_1) | instskip(SKIP_2) | instid1(VALU_DEP_1)
	v_rcp_iflag_f32_e32 v1, v1
	s_waitcnt_depctr 0xfff
	v_mul_f32_e32 v1, 0x4f7ffffe, v1
	v_cvt_u32_f32_e32 v1, v1
	s_delay_alu instid0(VALU_DEP_1) | instskip(NEXT) | instid1(VALU_DEP_1)
	v_readfirstlane_b32 s2, v1
	s_mul_i32 s3, s3, s2
	s_delay_alu instid0(SALU_CYCLE_1) | instskip(NEXT) | instid1(SALU_CYCLE_1)
	s_mul_hi_u32 s3, s2, s3
	s_add_i32 s2, s2, s3
	s_delay_alu instid0(SALU_CYCLE_1) | instskip(NEXT) | instid1(SALU_CYCLE_1)
	s_mul_hi_u32 s2, s11, s2
	s_mul_i32 s3, s2, s20
	s_delay_alu instid0(SALU_CYCLE_1)
	s_sub_i32 s3, s11, s3
	s_add_i32 s11, s2, 1
	s_sub_i32 s12, s3, s20
	s_cmp_ge_u32 s3, s20
	s_cselect_b32 s2, s11, s2
	s_cselect_b32 s3, s12, s3
	s_add_i32 s11, s2, 1
	s_cmp_ge_u32 s3, s20
	s_cselect_b32 s18, s11, s2
.LBB16_6:
	s_delay_alu instid0(SALU_CYCLE_1) | instskip(SKIP_3) | instid1(SALU_CYCLE_1)
	s_cmp_eq_u32 s16, s18
	s_mul_hi_u32 s2, s16, s8
	s_cselect_b32 s3, -1, 0
	s_add_i32 s2, s2, s16
	s_lshr_b32 s11, s2, s9
	s_delay_alu instid0(SALU_CYCLE_1) | instskip(NEXT) | instid1(SALU_CYCLE_1)
	s_mul_i32 s2, s11, s10
	s_cmp_eq_u32 s2, s16
	s_mul_hi_u32 s2, s18, s8
	s_cselect_b32 s12, -1, 0
	s_add_i32 s2, s2, s18
	s_delay_alu instid0(SALU_CYCLE_1) | instskip(NEXT) | instid1(SALU_CYCLE_1)
	s_lshr_b32 s2, s2, s9
	s_cmp_eq_u32 s11, s2
	s_mul_i32 s2, s2, s10
	s_cselect_b32 s17, -1, 0
	s_cmp_lg_u32 s2, s18
	s_cselect_b32 s2, -1, 0
	s_or_b32 s3, s3, s12
	s_and_b32 s2, s17, s2
	s_delay_alu instid0(SALU_CYCLE_1) | instskip(NEXT) | instid1(SALU_CYCLE_1)
	s_or_b32 s2, s3, s2
	s_and_b32 vcc_lo, exec_lo, s2
	s_cbranch_vccnz .LBB16_24
; %bb.7:
	s_load_b256 s[24:31], s[0:1], 0x20
	s_waitcnt lgkmcnt(0)
	s_mul_hi_u32 s2, s16, s24
	s_delay_alu instid0(SALU_CYCLE_1) | instskip(NEXT) | instid1(SALU_CYCLE_1)
	s_add_i32 s2, s2, s16
	s_lshr_b32 s17, s2, s25
	s_load_b32 s2, s[0:1], 0x40
	s_mul_i32 s3, s17, s26
	s_delay_alu instid0(SALU_CYCLE_1) | instskip(NEXT) | instid1(SALU_CYCLE_1)
	s_sub_i32 s3, s16, s3
	s_mul_hi_u32 s12, s3, s27
	s_delay_alu instid0(SALU_CYCLE_1) | instskip(NEXT) | instid1(SALU_CYCLE_1)
	s_add_i32 s12, s3, s12
	s_lshr_b32 s18, s12, s28
	s_delay_alu instid0(SALU_CYCLE_1) | instskip(NEXT) | instid1(SALU_CYCLE_1)
	s_mul_i32 s12, s18, s29
	s_sub_i32 s3, s3, s12
	s_delay_alu instid0(SALU_CYCLE_1) | instskip(NEXT) | instid1(SALU_CYCLE_1)
	s_mul_hi_u32 s12, s3, s30
	s_add_i32 s12, s3, s12
	s_delay_alu instid0(SALU_CYCLE_1) | instskip(SKIP_3) | instid1(SALU_CYCLE_1)
	s_lshr_b32 s21, s12, s31
	s_mov_b32 s12, 0
	s_waitcnt lgkmcnt(0)
	s_mul_i32 s2, s21, s2
	s_sub_i32 s2, s3, s2
	s_delay_alu instid0(SALU_CYCLE_1) | instskip(NEXT) | instid1(SALU_CYCLE_1)
	s_mul_hi_u32 s3, s2, s8
	s_add_i32 s2, s2, s3
	s_delay_alu instid0(SALU_CYCLE_1) | instskip(NEXT) | instid1(SALU_CYCLE_1)
	s_lshr_b32 s19, s2, s9
	s_add_i32 s19, s19, s14
	s_delay_alu instid0(SALU_CYCLE_1) | instskip(SKIP_2) | instid1(SALU_CYCLE_1)
	s_cmp_lt_i32 s19, s4
	s_cselect_b32 s2, -1, 0
	s_add_i32 s21, s21, s15
	s_cmp_lt_i32 s21, s6
	s_cselect_b32 s3, -1, 0
	s_delay_alu instid0(SALU_CYCLE_1) | instskip(NEXT) | instid1(SALU_CYCLE_1)
	s_and_b32 s2, s2, s3
	s_and_not1_b32 vcc_lo, exec_lo, s2
	s_cbranch_vccnz .LBB16_24
; %bb.8:
	s_load_b128 s[0:3], s[0:1], 0x0
	s_lshl_b32 s22, s20, 2
	s_mov_b32 s23, s12
	s_add_i32 s14, s14, s15
	s_lshl_b64 s[22:23], s[22:23], 2
	s_mul_i32 s17, s17, s4
	s_mul_i32 s18, s18, s6
	v_cvt_f32_ubyte0_e32 v4, 0
	v_cvt_f32_u32_e32 v5, s20
	s_waitcnt lgkmcnt(0)
	s_add_u32 s6, s2, s22
	s_addc_u32 s15, s3, s23
	s_add_i32 s4, s19, s17
	s_add_i32 s17, s21, s18
	s_mul_i32 s4, s4, s5
	s_delay_alu instid0(SALU_CYCLE_1) | instskip(NEXT) | instid1(SALU_CYCLE_1)
	s_add_i32 s17, s17, s4
	v_lshl_or_b32 v1, s17, 7, v0
	s_delay_alu instid0(VALU_DEP_1) | instskip(NEXT) | instid1(VALU_DEP_1)
	v_ashrrev_i32_e32 v2, 31, v1
	v_lshlrev_b64 v[1:2], 2, v[1:2]
	s_delay_alu instid0(VALU_DEP_1) | instskip(NEXT) | instid1(VALU_DEP_2)
	v_add_co_u32 v1, vcc_lo, s0, v1
	v_add_co_ci_u32_e32 v2, vcc_lo, s1, v2, vcc_lo
	s_add_i32 s0, s14, s13
	s_delay_alu instid0(SALU_CYCLE_1) | instskip(SKIP_2) | instid1(SALU_CYCLE_1)
	s_ashr_i32 s1, s0, 31
	global_load_b32 v3, v[1:2], off
	s_lshl_b64 s[0:1], s[0:1], 3
	s_add_u32 s0, s2, s0
	s_addc_u32 s1, s3, s1
	s_add_i32 s18, s13, -1
	s_load_b64 s[0:1], s[0:1], 0x0
	v_fmac_f32_e32 v5, 0x4f800000, v4
	s_sub_i32 s17, 0, s20
	s_waitcnt lgkmcnt(0)
	v_mov_b32_e32 v8, s0
	s_delay_alu instid0(VALU_DEP_2) | instskip(SKIP_2) | instid1(VALU_DEP_2)
	v_rcp_f32_e32 v4, v5
	v_cvt_f32_u32_e32 v5, s20
	v_mov_b32_e32 v7, s1
	v_rcp_iflag_f32_e32 v5, v5
	s_waitcnt_depctr 0xfff
	v_mul_f32_e32 v4, 0x5f7ffffc, v4
	s_delay_alu instid0(VALU_DEP_1) | instskip(SKIP_1) | instid1(VALU_DEP_2)
	v_mul_f32_e32 v6, 0x2f800000, v4
	v_mul_f32_e32 v9, 0x4f7ffffe, v5
	v_trunc_f32_e32 v6, v6
	s_delay_alu instid0(VALU_DEP_1) | instskip(SKIP_1) | instid1(VALU_DEP_4)
	v_fmac_f32_e32 v4, 0xcf800000, v6
	v_cvt_u32_f32_e32 v5, v6
	v_cvt_u32_f32_e32 v6, v9
	s_delay_alu instid0(VALU_DEP_3)
	v_cvt_u32_f32_e32 v4, v4
.LBB16_9:                               ; =>This Inner Loop Header: Depth=1
	s_mul_hi_i32 s13, s18, s7
	s_mul_i32 s4, s18, s7
	s_cmp_lg_u64 s[12:13], 0
	s_mov_b32 s5, -1
                                        ; implicit-def: $sgpr0_sgpr1
	s_cbranch_scc0 .LBB16_11
; %bb.10:                               ;   in Loop: Header=BB16_9 Depth=1
	v_readfirstlane_b32 s0, v4
	v_readfirstlane_b32 s1, v5
	s_sub_u32 s5, 0, s20
	s_subb_u32 s19, 0, 0
	s_delay_alu instid0(VALU_DEP_2) | instskip(NEXT) | instid1(VALU_DEP_1)
	s_mul_hi_u32 s21, s5, s0
	s_mul_i32 s22, s5, s1
	s_mul_i32 s23, s19, s0
	s_add_i32 s21, s21, s22
	s_mul_i32 s22, s5, s0
	s_add_i32 s21, s21, s23
	s_mul_hi_u32 s23, s0, s22
	s_mul_i32 s24, s0, s21
	s_mul_hi_u32 s0, s0, s21
	s_add_u32 s23, s23, s24
	s_mul_i32 s25, s1, s22
	s_addc_u32 s0, 0, s0
	s_mul_hi_u32 s22, s1, s22
	s_mul_hi_u32 s24, s1, s21
	s_add_u32 s23, s23, s25
	s_addc_u32 s0, s0, s22
	s_mul_i32 s21, s1, s21
	s_addc_u32 s22, s24, 0
	s_add_u32 s0, s0, s21
	s_addc_u32 s21, 0, s22
	v_add_co_u32 v9, s0, v4, s0
	s_delay_alu instid0(VALU_DEP_1) | instskip(SKIP_1) | instid1(VALU_DEP_1)
	s_cmp_lg_u32 s0, 0
	s_addc_u32 s1, s1, s21
	v_readfirstlane_b32 s0, v9
	s_mul_i32 s21, s5, s1
	s_delay_alu instid0(VALU_DEP_1)
	s_mul_hi_u32 s22, s5, s0
	s_mul_i32 s19, s19, s0
	s_add_i32 s21, s22, s21
	s_mul_i32 s5, s5, s0
	s_add_i32 s21, s21, s19
	s_mul_hi_u32 s19, s1, s5
	s_mul_i32 s23, s1, s5
	s_mul_i32 s24, s0, s21
	s_mul_hi_u32 s5, s0, s5
	s_mul_hi_u32 s0, s0, s21
	s_add_u32 s5, s5, s24
	s_addc_u32 s0, 0, s0
	s_mul_hi_u32 s22, s1, s21
	s_add_u32 s5, s5, s23
	s_addc_u32 s0, s0, s19
	s_mul_i32 s5, s1, s21
	s_addc_u32 s19, s22, 0
	s_add_u32 s0, s0, s5
	s_addc_u32 s5, 0, s19
	v_add_co_u32 v9, s0, v9, s0
	s_delay_alu instid0(VALU_DEP_1) | instskip(SKIP_2) | instid1(SALU_CYCLE_1)
	s_cmp_lg_u32 s0, 0
	s_addc_u32 s5, s1, s5
	s_ashr_i32 s0, s13, 31
	s_add_u32 s22, s4, s0
	s_addc_u32 s23, s13, s0
	v_readfirstlane_b32 s13, v9
	s_mov_b32 s1, s0
	s_delay_alu instid0(SALU_CYCLE_1) | instskip(NEXT) | instid1(SALU_CYCLE_1)
	s_xor_b64 s[22:23], s[22:23], s[0:1]
	s_mul_i32 s19, s22, s5
	s_delay_alu instid0(VALU_DEP_1)
	s_mul_hi_u32 s21, s22, s13
	s_mul_hi_u32 s24, s22, s5
	s_add_u32 s19, s21, s19
	s_mul_i32 s25, s23, s13
	s_addc_u32 s21, 0, s24
	s_mul_hi_u32 s13, s23, s13
	s_mul_hi_u32 s24, s23, s5
	s_add_u32 s19, s19, s25
	s_addc_u32 s13, s21, s13
	s_mul_i32 s5, s23, s5
	s_addc_u32 s19, s24, 0
	s_add_u32 s5, s13, s5
	s_addc_u32 s13, 0, s19
	s_mul_i32 s21, s20, s5
	s_add_u32 s19, s5, 1
	v_sub_co_u32 v9, s21, s22, s21
	s_addc_u32 s22, s13, 0
	s_mul_i32 s25, s20, s13
	s_mul_hi_u32 s27, s20, s5
	s_delay_alu instid0(VALU_DEP_1)
	v_sub_co_u32 v10, s26, v9, s20
	s_add_u32 s24, s5, 2
	s_addc_u32 s28, s13, 0
	s_add_i32 s27, s27, s25
	s_cmp_lg_u32 s21, 0
	v_readfirstlane_b32 s21, v10
	s_subb_u32 s23, s23, s27
	s_cmp_lg_u32 s26, 0
	s_subb_u32 s25, s23, 0
	s_delay_alu instid0(VALU_DEP_1) | instskip(SKIP_4) | instid1(SALU_CYCLE_1)
	s_cmp_ge_u32 s21, s20
	s_cselect_b32 s21, -1, 0
	s_cmp_eq_u32 s25, 0
	v_readfirstlane_b32 s25, v9
	s_cselect_b32 s21, s21, -1
	s_cmp_lg_u32 s21, 0
	s_cselect_b32 s19, s24, s19
	s_cselect_b32 s21, s28, s22
	s_cmp_ge_u32 s25, s20
	s_cselect_b32 s22, -1, 0
	s_cmp_eq_u32 s23, 0
	s_cselect_b32 s22, s22, -1
	s_delay_alu instid0(SALU_CYCLE_1) | instskip(SKIP_4) | instid1(SALU_CYCLE_1)
	s_cmp_lg_u32 s22, 0
	s_cselect_b32 s23, s21, s13
	s_cselect_b32 s22, s19, s5
	s_mov_b32 s5, 0
	s_xor_b64 s[22:23], s[22:23], s[0:1]
	s_sub_u32 s0, s22, s0
.LBB16_11:                              ;   in Loop: Header=BB16_9 Depth=1
	s_and_not1_b32 vcc_lo, exec_lo, s5
	s_cbranch_vccnz .LBB16_13
; %bb.12:                               ;   in Loop: Header=BB16_9 Depth=1
	v_readfirstlane_b32 s0, v6
	s_delay_alu instid0(VALU_DEP_1) | instskip(NEXT) | instid1(SALU_CYCLE_1)
	s_mul_i32 s1, s17, s0
	s_mul_hi_u32 s1, s0, s1
	s_delay_alu instid0(SALU_CYCLE_1) | instskip(NEXT) | instid1(SALU_CYCLE_1)
	s_add_i32 s0, s0, s1
	s_mul_hi_u32 s0, s4, s0
	s_delay_alu instid0(SALU_CYCLE_1) | instskip(NEXT) | instid1(SALU_CYCLE_1)
	s_mul_i32 s1, s0, s20
	s_sub_i32 s1, s4, s1
	s_add_i32 s4, s0, 1
	s_sub_i32 s5, s1, s20
	s_cmp_ge_u32 s1, s20
	s_cselect_b32 s0, s4, s0
	s_cselect_b32 s1, s5, s1
	s_add_i32 s4, s0, 1
	s_cmp_ge_u32 s1, s20
	s_cselect_b32 s0, s4, s0
.LBB16_13:                              ;   in Loop: Header=BB16_9 Depth=1
	s_delay_alu instid0(SALU_CYCLE_1)
	s_cmp_lg_u32 s16, s0
	s_cbranch_scc0 .LBB16_17
; %bb.14:                               ;   in Loop: Header=BB16_9 Depth=1
	s_add_i32 s21, s18, s14
	s_mov_b32 s5, s12
	s_add_i32 s4, s21, s20
	s_mul_hi_u32 s1, s0, s8
	s_lshl_b64 s[4:5], s[4:5], 3
	s_mov_b32 s19, s16
	s_add_u32 s4, s2, s4
	s_addc_u32 s5, s3, s5
	s_add_i32 s1, s1, s0
	s_delay_alu instid0(SALU_CYCLE_1) | instskip(NEXT) | instid1(SALU_CYCLE_1)
	s_lshr_b32 s1, s1, s9
	s_mul_i32 s13, s1, s10
	s_delay_alu instid0(SALU_CYCLE_1) | instskip(SKIP_3) | instid1(SALU_CYCLE_1)
	s_cmp_eq_u32 s13, s0
	s_cselect_b32 s13, -1, 0
	s_cmp_lt_u32 s1, s11
	s_cselect_b32 s1, -1, 0
	s_or_b32 s1, s1, s13
	s_mov_b32 s13, -1
	s_and_b32 vcc_lo, exec_lo, s1
	s_mov_b32 s1, s18
	s_cbranch_vccnz .LBB16_16
; %bb.15:                               ;   in Loop: Header=BB16_9 Depth=1
	s_add_i32 s1, s18, -1
	s_mov_b32 s13, 0
	s_mov_b32 s19, s0
.LBB16_16:                              ;   in Loop: Header=BB16_9 Depth=1
	v_lshl_or_b32 v9, s21, 7, v0
	s_load_b64 s[4:5], s[4:5], 0x0
	s_delay_alu instid0(VALU_DEP_1) | instskip(NEXT) | instid1(VALU_DEP_1)
	v_ashrrev_i32_e32 v10, 31, v9
	v_lshlrev_b64 v[9:10], 2, v[9:10]
	s_delay_alu instid0(VALU_DEP_1) | instskip(NEXT) | instid1(VALU_DEP_2)
	v_add_co_u32 v9, vcc_lo, s6, v9
	v_add_co_ci_u32_e32 v10, vcc_lo, s15, v10, vcc_lo
	s_waitcnt lgkmcnt(0)
	v_max_f32_e64 v11, s4, s4
	global_load_b32 v10, v[9:10], off
	v_max_f32_e32 v9, v8, v8
	s_delay_alu instid0(VALU_DEP_1) | instskip(NEXT) | instid1(VALU_DEP_1)
	v_max_f32_e32 v9, v9, v11
	v_sub_f32_e32 v12, v8, v9
	s_delay_alu instid0(VALU_DEP_1) | instskip(NEXT) | instid1(VALU_DEP_1)
	v_dual_mul_f32 v14, 0x3fb8aa3b, v12 :: v_dual_sub_f32 v11, s4, v9
	v_rndne_f32_e32 v18, v14
	s_delay_alu instid0(VALU_DEP_2) | instskip(SKIP_2) | instid1(VALU_DEP_4)
	v_mul_f32_e32 v13, 0x3fb8aa3b, v11
	v_fma_f32 v17, 0x3fb8aa3b, v12, -v14
	v_cmp_ngt_f32_e32 vcc_lo, 0xc2ce8ed0, v11
	v_sub_f32_e32 v14, v14, v18
	s_delay_alu instid0(VALU_DEP_4) | instskip(SKIP_2) | instid1(VALU_DEP_3)
	v_fma_f32 v15, 0x3fb8aa3b, v11, -v13
	v_rndne_f32_e32 v16, v13
	v_fmac_f32_e32 v17, 0x32a5705f, v12
	v_fmac_f32_e32 v15, 0x32a5705f, v11
	s_delay_alu instid0(VALU_DEP_2) | instskip(NEXT) | instid1(VALU_DEP_1)
	v_dual_sub_f32 v13, v13, v16 :: v_dual_add_f32 v14, v14, v17
	v_add_f32_e32 v13, v13, v15
	s_delay_alu instid0(VALU_DEP_2) | instskip(SKIP_2) | instid1(VALU_DEP_3)
	v_exp_f32_e32 v14, v14
	v_cvt_i32_f32_e32 v15, v16
	v_cvt_i32_f32_e32 v16, v18
	v_exp_f32_e32 v13, v13
	s_waitcnt_depctr 0xfff
	v_ldexp_f32 v14, v14, v16
	v_ldexp_f32 v13, v13, v15
	s_delay_alu instid0(VALU_DEP_1) | instskip(SKIP_1) | instid1(VALU_DEP_4)
	v_cndmask_b32_e32 v13, 0, v13, vcc_lo
	v_cmp_ngt_f32_e32 vcc_lo, 0xc2ce8ed0, v12
	v_cndmask_b32_e32 v14, 0, v14, vcc_lo
	v_cmp_nlt_f32_e32 vcc_lo, 0x42b17218, v11
	s_delay_alu instid0(VALU_DEP_4) | instskip(SKIP_1) | instid1(VALU_DEP_4)
	v_cndmask_b32_e32 v13, 0x7f800000, v13, vcc_lo
	v_cmp_nlt_f32_e32 vcc_lo, 0x42b17218, v12
	v_cndmask_b32_e32 v14, 0x7f800000, v14, vcc_lo
	v_cmp_le_f32_e32 vcc_lo, 0xc1a00000, v11
	s_delay_alu instid0(VALU_DEP_4) | instskip(SKIP_1) | instid1(VALU_DEP_4)
	v_cndmask_b32_e32 v11, 0, v13, vcc_lo
	v_cmp_le_f32_e32 vcc_lo, 0xc1a00000, v12
	v_cndmask_b32_e32 v12, 0, v14, vcc_lo
	s_waitcnt vmcnt(0)
	s_delay_alu instid0(VALU_DEP_3) | instskip(NEXT) | instid1(VALU_DEP_1)
	v_mul_f32_e32 v10, v10, v11
	v_dual_mul_f32 v11, s5, v11 :: v_dual_fmac_f32 v10, v3, v12
	s_delay_alu instid0(VALU_DEP_1)
	v_fmac_f32_e32 v11, v7, v12
	s_cbranch_execz .LBB16_18
	s_branch .LBB16_19
.LBB16_17:                              ;   in Loop: Header=BB16_9 Depth=1
                                        ; implicit-def: $sgpr13
                                        ; implicit-def: $vgpr10
                                        ; implicit-def: $vgpr9
                                        ; implicit-def: $vgpr11
                                        ; implicit-def: $sgpr1
                                        ; implicit-def: $sgpr19
.LBB16_18:                              ;   in Loop: Header=BB16_9 Depth=1
	v_mov_b32_e32 v11, v7
	s_waitcnt vmcnt(0)
	v_dual_mov_b32 v9, v8 :: v_dual_mov_b32 v10, v3
	s_add_i32 s1, s18, -1
	s_mov_b32 s13, 0
	s_mov_b32 s19, s16
.LBB16_19:                              ;   in Loop: Header=BB16_9 Depth=1
	s_and_not1_b32 vcc_lo, exec_lo, s13
	s_cbranch_vccz .LBB16_23
; %bb.20:                               ;   in Loop: Header=BB16_9 Depth=1
	v_dual_mov_b32 v7, v11 :: v_dual_mov_b32 v8, v9
	s_waitcnt vmcnt(0)
	v_mov_b32_e32 v3, v10
	s_mov_b32 s16, s19
	s_mov_b32 s18, s1
	s_branch .LBB16_9
.LBB16_21:
                                        ; implicit-def: $sgpr16_sgpr17
	s_load_b128 s[8:11], s[0:1], 0x44
	s_branch .LBB16_2
.LBB16_22:
                                        ; implicit-def: $sgpr18_sgpr19
	s_branch .LBB16_5
.LBB16_23:
	v_div_scale_f32 v0, null, v11, v11, v10
	s_waitcnt vmcnt(0)
	s_delay_alu instid0(VALU_DEP_1) | instskip(SKIP_2) | instid1(VALU_DEP_1)
	v_rcp_f32_e32 v3, v0
	s_waitcnt_depctr 0xfff
	v_fma_f32 v4, -v0, v3, 1.0
	v_fmac_f32_e32 v3, v4, v3
	v_div_scale_f32 v4, vcc_lo, v10, v11, v10
	s_delay_alu instid0(VALU_DEP_1) | instskip(NEXT) | instid1(VALU_DEP_1)
	v_mul_f32_e32 v5, v4, v3
	v_fma_f32 v6, -v0, v5, v4
	s_delay_alu instid0(VALU_DEP_1) | instskip(NEXT) | instid1(VALU_DEP_1)
	v_fmac_f32_e32 v5, v6, v3
	v_fma_f32 v0, -v0, v5, v4
	s_delay_alu instid0(VALU_DEP_1) | instskip(NEXT) | instid1(VALU_DEP_1)
	v_div_fmas_f32 v0, v0, v3, v5
	v_div_fixup_f32 v0, v0, v11, v10
	global_store_b32 v[1:2], v0, off
.LBB16_24:
	s_nop 0
	s_sendmsg sendmsg(MSG_DEALLOC_VGPRS)
	s_endpgm
	.section	.rodata,"a",@progbits
	.p2align	6, 0x0
	.amdhsa_kernel _ZL33flash_attn_stream_k_fixup_generalILi128ELi1ELi1EEvPfPK15HIP_vector_typeIfLj2EEiiiiS1_IjLj3EES5_S5_S5_
		.amdhsa_group_segment_fixed_size 0
		.amdhsa_private_segment_fixed_size 0
		.amdhsa_kernarg_size 336
		.amdhsa_user_sgpr_count 13
		.amdhsa_user_sgpr_dispatch_ptr 0
		.amdhsa_user_sgpr_queue_ptr 0
		.amdhsa_user_sgpr_kernarg_segment_ptr 1
		.amdhsa_user_sgpr_dispatch_id 0
		.amdhsa_user_sgpr_private_segment_size 0
		.amdhsa_wavefront_size32 1
		.amdhsa_uses_dynamic_stack 0
		.amdhsa_enable_private_segment 0
		.amdhsa_system_sgpr_workgroup_id_x 1
		.amdhsa_system_sgpr_workgroup_id_y 1
		.amdhsa_system_sgpr_workgroup_id_z 1
		.amdhsa_system_sgpr_workgroup_info 0
		.amdhsa_system_vgpr_workitem_id 0
		.amdhsa_next_free_vgpr 19
		.amdhsa_next_free_sgpr 32
		.amdhsa_reserve_vcc 1
		.amdhsa_float_round_mode_32 0
		.amdhsa_float_round_mode_16_64 0
		.amdhsa_float_denorm_mode_32 3
		.amdhsa_float_denorm_mode_16_64 3
		.amdhsa_dx10_clamp 1
		.amdhsa_ieee_mode 1
		.amdhsa_fp16_overflow 0
		.amdhsa_workgroup_processor_mode 1
		.amdhsa_memory_ordered 1
		.amdhsa_forward_progress 0
		.amdhsa_shared_vgpr_count 0
		.amdhsa_exception_fp_ieee_invalid_op 0
		.amdhsa_exception_fp_denorm_src 0
		.amdhsa_exception_fp_ieee_div_zero 0
		.amdhsa_exception_fp_ieee_overflow 0
		.amdhsa_exception_fp_ieee_underflow 0
		.amdhsa_exception_fp_ieee_inexact 0
		.amdhsa_exception_int_div_zero 0
	.end_amdhsa_kernel
	.section	.text._ZL33flash_attn_stream_k_fixup_generalILi128ELi1ELi1EEvPfPK15HIP_vector_typeIfLj2EEiiiiS1_IjLj3EES5_S5_S5_,"axG",@progbits,_ZL33flash_attn_stream_k_fixup_generalILi128ELi1ELi1EEvPfPK15HIP_vector_typeIfLj2EEiiiiS1_IjLj3EES5_S5_S5_,comdat
.Lfunc_end16:
	.size	_ZL33flash_attn_stream_k_fixup_generalILi128ELi1ELi1EEvPfPK15HIP_vector_typeIfLj2EEiiiiS1_IjLj3EES5_S5_S5_, .Lfunc_end16-_ZL33flash_attn_stream_k_fixup_generalILi128ELi1ELi1EEvPfPK15HIP_vector_typeIfLj2EEiiiiS1_IjLj3EES5_S5_S5_
                                        ; -- End function
	.section	.AMDGPU.csdata,"",@progbits
; Kernel info:
; codeLenInByte = 3168
; NumSgprs: 34
; NumVgprs: 19
; ScratchSize: 0
; MemoryBound: 0
; FloatMode: 240
; IeeeMode: 1
; LDSByteSize: 0 bytes/workgroup (compile time only)
; SGPRBlocks: 4
; VGPRBlocks: 2
; NumSGPRsForWavesPerEU: 34
; NumVGPRsForWavesPerEU: 19
; Occupancy: 16
; WaveLimiterHint : 0
; COMPUTE_PGM_RSRC2:SCRATCH_EN: 0
; COMPUTE_PGM_RSRC2:USER_SGPR: 13
; COMPUTE_PGM_RSRC2:TRAP_HANDLER: 0
; COMPUTE_PGM_RSRC2:TGID_X_EN: 1
; COMPUTE_PGM_RSRC2:TGID_Y_EN: 1
; COMPUTE_PGM_RSRC2:TGID_Z_EN: 1
; COMPUTE_PGM_RSRC2:TIDIG_COMP_CNT: 0
	.section	.text._ZL26flash_attn_combine_resultsILi128EEvPKfPK15HIP_vector_typeIfLj2EEPfi,"axG",@progbits,_ZL26flash_attn_combine_resultsILi128EEvPKfPK15HIP_vector_typeIfLj2EEPfi,comdat
	.globl	_ZL26flash_attn_combine_resultsILi128EEvPKfPK15HIP_vector_typeIfLj2EEPfi ; -- Begin function _ZL26flash_attn_combine_resultsILi128EEvPKfPK15HIP_vector_typeIfLj2EEPfi
	.p2align	8
	.type	_ZL26flash_attn_combine_resultsILi128EEvPKfPK15HIP_vector_typeIfLj2EEPfi,@function
_ZL26flash_attn_combine_resultsILi128EEvPKfPK15HIP_vector_typeIfLj2EEPfi: ; @_ZL26flash_attn_combine_resultsILi128EEvPKfPK15HIP_vector_typeIfLj2EEPfi
; %bb.0:
	s_clause 0x3
	s_load_b64 s[2:3], s[0:1], 0x20
	s_load_b32 s11, s[0:1], 0x18
	s_load_b128 s[4:7], s[0:1], 0x0
	s_load_b64 s[8:9], s[0:1], 0x10
	v_lshlrev_b32_e32 v5, 2, v0
	s_mov_b32 s12, exec_lo
	s_waitcnt lgkmcnt(0)
	s_mul_i32 s0, s2, s15
	s_lshl_b32 s1, s11, 1
	s_add_i32 s0, s0, s13
	s_delay_alu instid0(SALU_CYCLE_1) | instskip(NEXT) | instid1(SALU_CYCLE_1)
	s_mul_i32 s10, s0, s3
	s_add_i32 s10, s10, s14
	s_delay_alu instid0(SALU_CYCLE_1)
	s_mul_i32 s2, s10, s11
	v_cmpx_gt_i32_e64 s1, v0
	s_cbranch_execz .LBB17_3
; %bb.1:
	s_ashr_i32 s3, s2, 31
	v_dual_mov_b32 v4, v0 :: v_dual_add_nc_u32 v3, 0, v5
	s_lshl_b64 s[14:15], s[2:3], 3
	s_delay_alu instid0(SALU_CYCLE_1) | instskip(SKIP_2) | instid1(VALU_DEP_1)
	s_add_u32 s0, s6, s14
	s_addc_u32 s3, s7, s15
	v_add_co_u32 v1, s0, s0, v5
	v_add_co_ci_u32_e64 v2, null, s3, 0, s0
	s_mov_b32 s3, 0
	.p2align	6
.LBB17_2:                               ; =>This Inner Loop Header: Depth=1
	global_load_b32 v6, v[1:2], off
	v_add_nc_u32_e32 v4, 0x80, v4
	v_add_co_u32 v1, vcc_lo, 0x200, v1
	v_add_co_ci_u32_e32 v2, vcc_lo, 0, v2, vcc_lo
	s_delay_alu instid0(VALU_DEP_3) | instskip(NEXT) | instid1(VALU_DEP_1)
	v_cmp_le_i32_e64 s0, s1, v4
	s_or_b32 s3, s0, s3
	s_waitcnt vmcnt(0)
	ds_store_b32 v3, v6
	v_add_nc_u32_e32 v3, 0x200, v3
	s_and_not1_b32 exec_lo, exec_lo, s3
	s_cbranch_execnz .LBB17_2
.LBB17_3:
	s_or_b32 exec_lo, exec_lo, s12
	v_mov_b32_e32 v1, 0
	s_waitcnt lgkmcnt(0)
	s_barrier
	buffer_gl0_inv
	s_cmp_lt_i32 s11, 2
	ds_load_b32 v6, v1
	s_cbranch_scc1 .LBB17_11
; %bb.4:
	s_add_i32 s1, s11, -2
	s_add_i32 s0, s11, -1
	s_cmp_lt_u32 s1, 7
	s_cbranch_scc1 .LBB17_8
; %bb.5:
	s_mov_b32 s3, 0
	s_add_i32 s1, 0, 8
	s_and_b32 s6, s0, -8
	.p2align	6
.LBB17_6:                               ; =>This Inner Loop Header: Depth=1
	v_mov_b32_e32 v9, s1
	s_mov_b32 s7, s3
	s_add_i32 s3, s3, 8
	s_add_i32 s1, s1, 64
	s_cmp_eq_u32 s6, s3
	ds_load_2addr_b32 v[1:2], v9 offset1:2
	ds_load_2addr_b32 v[3:4], v9 offset0:4 offset1:6
	ds_load_2addr_b32 v[7:8], v9 offset0:8 offset1:10
	;; [unrolled: 1-line block ×3, first 2 shown]
	s_waitcnt lgkmcnt(3)
	v_max3_f32 v1, v6, v1, v2
	s_waitcnt lgkmcnt(2)
	s_delay_alu instid0(VALU_DEP_1) | instskip(SKIP_1) | instid1(VALU_DEP_1)
	v_max3_f32 v1, v1, v3, v4
	s_waitcnt lgkmcnt(1)
	v_max3_f32 v1, v1, v7, v8
	s_waitcnt lgkmcnt(0)
	s_delay_alu instid0(VALU_DEP_1)
	v_max3_f32 v6, v1, v9, v10
	s_cbranch_scc0 .LBB17_6
; %bb.7:
	s_add_i32 s1, s7, 9
	s_and_b32 s0, s0, 7
	s_delay_alu instid0(SALU_CYCLE_1)
	s_cmp_eq_u32 s0, 0
	s_cbranch_scc0 .LBB17_9
	s_branch .LBB17_11
.LBB17_8:
	s_mov_b32 s1, 1
	s_and_b32 s0, s0, 7
	s_delay_alu instid0(SALU_CYCLE_1)
	s_cmp_eq_u32 s0, 0
	s_cbranch_scc1 .LBB17_11
.LBB17_9:
	s_lshl_b32 s1, s1, 3
	s_delay_alu instid0(SALU_CYCLE_1)
	s_add_i32 s1, s1, 0
.LBB17_10:                              ; =>This Inner Loop Header: Depth=1
	s_waitcnt lgkmcnt(0)
	s_delay_alu instid0(VALU_DEP_1)
	v_dual_mov_b32 v1, s1 :: v_dual_max_f32 v2, v6, v6
	s_add_i32 s0, s0, -1
	s_add_i32 s1, s1, 8
	s_cmp_lg_u32 s0, 0
	ds_load_b32 v1, v1
	s_waitcnt lgkmcnt(0)
	v_max_f32_e32 v1, v1, v1
	s_delay_alu instid0(VALU_DEP_1)
	v_max_f32_e32 v6, v2, v1
	s_cbranch_scc1 .LBB17_10
.LBB17_11:
	s_cmp_lt_i32 s11, 1
	s_cbranch_scc1 .LBB17_16
; %bb.12:
	s_lshl_b32 s0, s2, 7
	v_mov_b32_e32 v7, 0
	s_ashr_i32 s1, s0, 31
	s_mov_b32 s13, 0
	s_lshl_b64 s[0:1], s[0:1], 2
	s_delay_alu instid0(SALU_CYCLE_1)
	s_add_u32 s6, s4, s0
	s_addc_u32 s7, s5, s1
	s_cmp_lt_u32 s11, 8
	s_cbranch_scc1 .LBB17_17
; %bb.13:
	v_or_b32_e32 v1, 0x380, v0
	v_dual_mov_b32 v4, 0 :: v_dual_mov_b32 v7, 0
	v_mov_b32_e32 v8, 0
	s_and_b32 s12, s11, 0x7ffffff8
	s_mov_b32 s14, 0
.LBB17_14:                              ; =>This Inner Loop Header: Depth=1
	s_delay_alu instid0(VALU_DEP_2) | instskip(SKIP_3) | instid1(VALU_DEP_2)
	v_dual_mov_b32 v2, v4 :: v_dual_add_nc_u32 v3, 0xfffffc80, v1
	v_mov_b32_e32 v21, s13
	s_add_i32 s14, s14, 8
	s_add_i32 s13, s13, 64
	v_lshlrev_b64 v[9:10], 2, v[3:4]
	v_add_nc_u32_e32 v3, 0xfffffd00, v1
	v_lshlrev_b64 v[11:12], 2, v[1:2]
	s_cmp_eq_u32 s12, s14
	s_delay_alu instid0(VALU_DEP_2) | instskip(NEXT) | instid1(VALU_DEP_4)
	v_lshlrev_b64 v[13:14], 2, v[3:4]
	v_add_co_u32 v9, vcc_lo, s6, v9
	v_add_co_ci_u32_e32 v10, vcc_lo, s7, v10, vcc_lo
	v_add_nc_u32_e32 v3, 0xfffffd80, v1
	s_delay_alu instid0(VALU_DEP_4)
	v_add_co_u32 v13, vcc_lo, s6, v13
	global_load_b32 v25, v[9:10], off
	v_add_co_ci_u32_e32 v14, vcc_lo, s7, v14, vcc_lo
	v_lshlrev_b64 v[15:16], 2, v[3:4]
	v_add_nc_u32_e32 v3, 0xfffffe00, v1
	global_load_b32 v26, v[13:14], off
	v_add_co_u32 v13, vcc_lo, s6, v15
	v_add_co_ci_u32_e32 v14, vcc_lo, s7, v16, vcc_lo
	v_lshlrev_b64 v[9:10], 2, v[3:4]
	v_add_nc_u32_e32 v3, 0xfffffe80, v1
	global_load_b32 v27, v[13:14], off
	v_add_co_u32 v9, vcc_lo, s6, v9
	v_lshlrev_b64 v[15:16], 2, v[3:4]
	v_add_nc_u32_e32 v3, 0xffffff00, v1
	v_add_co_ci_u32_e32 v10, vcc_lo, s7, v10, vcc_lo
	global_load_b32 v28, v[9:10], off
	v_lshlrev_b64 v[13:14], 2, v[3:4]
	v_add_nc_u32_e32 v3, 0xffffff80, v1
	v_add_co_u32 v9, vcc_lo, s6, v15
	v_add_co_ci_u32_e32 v10, vcc_lo, s7, v16, vcc_lo
	s_delay_alu instid0(VALU_DEP_4) | instskip(NEXT) | instid1(VALU_DEP_4)
	v_add_co_u32 v13, vcc_lo, s6, v13
	v_lshlrev_b64 v[2:3], 2, v[3:4]
	v_add_co_ci_u32_e32 v14, vcc_lo, s7, v14, vcc_lo
	s_clause 0x1
	global_load_b32 v29, v[9:10], off
	global_load_b32 v30, v[13:14], off
	v_add_co_u32 v2, vcc_lo, s6, v2
	v_add_co_ci_u32_e32 v3, vcc_lo, s7, v3, vcc_lo
	v_add_co_u32 v9, vcc_lo, s6, v11
	v_add_co_ci_u32_e32 v10, vcc_lo, s7, v12, vcc_lo
	s_clause 0x1
	global_load_b32 v2, v[2:3], off
	global_load_b32 v3, v[9:10], off
	ds_load_2addr_b64 v[9:12], v21 offset1:1
	ds_load_2addr_b64 v[13:16], v21 offset0:2 offset1:3
	ds_load_2addr_b64 v[17:20], v21 offset0:4 offset1:5
	;; [unrolled: 1-line block ×3, first 2 shown]
	v_add_nc_u32_e32 v1, 0x400, v1
	s_waitcnt lgkmcnt(1)
	v_sub_f32_e32 v19, v19, v6
	v_sub_f32_e32 v11, v11, v6
	s_waitcnt lgkmcnt(0)
	v_sub_f32_e32 v23, v23, v6
	s_delay_alu instid0(VALU_DEP_3) | instskip(NEXT) | instid1(VALU_DEP_3)
	v_dual_sub_f32 v13, v13, v6 :: v_dual_mul_f32 v36, 0x3fb8aa3b, v19
	v_mul_f32_e32 v32, 0x3fb8aa3b, v11
	s_delay_alu instid0(VALU_DEP_2) | instskip(SKIP_1) | instid1(VALU_DEP_4)
	v_dual_mul_f32 v38, 0x3fb8aa3b, v23 :: v_dual_mul_f32 v33, 0x3fb8aa3b, v13
	v_cmp_ngt_f32_e32 vcc_lo, 0xc2ce8ed0, v13
	v_fma_f32 v49, 0x3fb8aa3b, v19, -v36
	s_delay_alu instid0(VALU_DEP_4) | instskip(SKIP_4) | instid1(VALU_DEP_4)
	v_fma_f32 v41, 0x3fb8aa3b, v11, -v32
	v_rndne_f32_e32 v42, v32
	v_fma_f32 v43, 0x3fb8aa3b, v13, -v33
	v_rndne_f32_e32 v44, v33
	v_rndne_f32_e32 v50, v36
	v_dual_fmac_f32 v41, 0x32a5705f, v11 :: v_dual_sub_f32 v32, v32, v42
	v_sub_f32_e32 v15, v15, v6
	v_fmac_f32_e32 v43, 0x32a5705f, v13
	v_sub_f32_e32 v33, v33, v44
	v_cvt_i32_f32_e32 v42, v42
	v_dual_add_f32 v32, v32, v41 :: v_dual_sub_f32 v9, v9, v6
	v_mul_f32_e32 v34, 0x3fb8aa3b, v15
	s_delay_alu instid0(VALU_DEP_4) | instskip(SKIP_1) | instid1(VALU_DEP_4)
	v_add_f32_e32 v33, v33, v43
	v_cvt_i32_f32_e32 v44, v44
	v_exp_f32_e32 v32, v32
	v_mul_f32_e32 v31, 0x3fb8aa3b, v9
	v_fma_f32 v45, 0x3fb8aa3b, v15, -v34
	v_rndne_f32_e32 v46, v34
	v_exp_f32_e32 v33, v33
	v_cmp_ngt_f32_e64 s5, 0xc2ce8ed0, v9
	v_fma_f32 v39, 0x3fb8aa3b, v9, -v31
	v_rndne_f32_e32 v40, v31
	v_dual_fmac_f32 v45, 0x32a5705f, v15 :: v_dual_sub_f32 v34, v34, v46
	v_sub_f32_e32 v17, v17, v6
	s_delay_alu instid0(VALU_DEP_4) | instskip(NEXT) | instid1(VALU_DEP_4)
	v_fmac_f32_e32 v39, 0x32a5705f, v9
	v_sub_f32_e32 v31, v31, v40
	v_cvt_i32_f32_e32 v40, v40
	v_add_f32_e32 v34, v34, v45
	v_ldexp_f32 v32, v32, v42
	v_ldexp_f32 v33, v33, v44
	v_add_f32_e32 v31, v31, v39
	v_cvt_i32_f32_e32 v46, v46
	v_exp_f32_e32 v34, v34
	v_cmp_ngt_f32_e64 s0, 0xc2ce8ed0, v15
	v_fmac_f32_e32 v49, 0x32a5705f, v19
	v_exp_f32_e32 v31, v31
	v_sub_f32_e32 v36, v36, v50
	v_cvt_i32_f32_e32 v50, v50
	v_cmp_ngt_f32_e64 s1, 0xc2ce8ed0, v17
	v_rndne_f32_e32 v54, v38
	s_delay_alu instid0(VALU_DEP_4) | instskip(NEXT) | instid1(TRANS32_DEP_2)
	v_add_f32_e32 v36, v36, v49
	v_ldexp_f32 v34, v34, v46
	v_cmp_ngt_f32_e64 s2, 0xc2ce8ed0, v19
	s_delay_alu instid0(TRANS32_DEP_1) | instskip(NEXT) | instid1(VALU_DEP_4)
	v_ldexp_f32 v31, v31, v40
	v_exp_f32_e32 v36, v36
	s_delay_alu instid0(VALU_DEP_1) | instskip(SKIP_1) | instid1(VALU_DEP_1)
	v_cndmask_b32_e64 v31, 0, v31, s5
	v_cmp_ngt_f32_e64 s5, 0xc2ce8ed0, v11
	v_cndmask_b32_e64 v32, 0, v32, s5
	v_cmp_nlt_f32_e64 s5, 0x42b17218, v9
	s_waitcnt_depctr 0xfff
	v_ldexp_f32 v36, v36, v50
	v_cndmask_b32_e64 v9, 0x7f800000, v31, s5
	v_cndmask_b32_e32 v31, 0, v33, vcc_lo
	v_cmp_nlt_f32_e32 vcc_lo, 0x42b17218, v11
	s_delay_alu instid0(VALU_DEP_3) | instskip(SKIP_1) | instid1(VALU_DEP_2)
	v_dual_fmac_f32 v8, v9, v10 :: v_dual_cndmask_b32 v11, 0x7f800000, v32
	v_cmp_nlt_f32_e32 vcc_lo, 0x42b17218, v13
	v_fmac_f32_e32 v8, v11, v12
	v_cndmask_b32_e32 v10, 0x7f800000, v31, vcc_lo
	v_cmp_nlt_f32_e32 vcc_lo, 0x42b17218, v15
	v_fma_f32 v53, 0x3fb8aa3b, v23, -v38
	v_sub_f32_e32 v38, v38, v54
	v_cvt_i32_f32_e32 v54, v54
	v_fmac_f32_e32 v8, v10, v14
	v_cmp_ngt_f32_e64 s4, 0xc2ce8ed0, v23
	v_fmac_f32_e32 v53, 0x32a5705f, v23
	s_delay_alu instid0(VALU_DEP_1) | instskip(NEXT) | instid1(VALU_DEP_1)
	v_dual_sub_f32 v21, v21, v6 :: v_dual_add_f32 v38, v38, v53
	v_cmp_ngt_f32_e64 s3, 0xc2ce8ed0, v21
	s_delay_alu instid0(VALU_DEP_2)
	v_exp_f32_e32 v38, v38
	s_waitcnt_depctr 0xfff
	v_ldexp_f32 v38, v38, v54
	s_waitcnt vmcnt(7)
	v_fmac_f32_e32 v7, v25, v9
	v_cndmask_b32_e64 v9, 0, v34, s0
	s_delay_alu instid0(VALU_DEP_1) | instskip(SKIP_1) | instid1(VALU_DEP_3)
	v_cndmask_b32_e32 v9, 0x7f800000, v9, vcc_lo
	s_waitcnt vmcnt(6)
	v_fmac_f32_e32 v7, v26, v11
	v_cmp_nlt_f32_e32 vcc_lo, 0x42b17218, v17
	s_delay_alu instid0(VALU_DEP_3) | instskip(SKIP_1) | instid1(VALU_DEP_3)
	v_dual_fmac_f32 v8, v9, v16 :: v_dual_mul_f32 v35, 0x3fb8aa3b, v17
	s_waitcnt vmcnt(5)
	v_fmac_f32_e32 v7, v27, v10
	s_delay_alu instid0(VALU_DEP_2) | instskip(SKIP_2) | instid1(VALU_DEP_3)
	v_fma_f32 v47, 0x3fb8aa3b, v17, -v35
	v_rndne_f32_e32 v48, v35
	v_cndmask_b32_e64 v10, 0, v36, s2
	v_fmac_f32_e32 v47, 0x32a5705f, v17
	s_delay_alu instid0(VALU_DEP_3) | instskip(SKIP_1) | instid1(VALU_DEP_2)
	v_sub_f32_e32 v35, v35, v48
	v_cvt_i32_f32_e32 v48, v48
	v_add_f32_e32 v35, v35, v47
	s_waitcnt vmcnt(4)
	v_fmac_f32_e32 v7, v28, v9
	s_delay_alu instid0(VALU_DEP_2) | instskip(SKIP_2) | instid1(VALU_DEP_1)
	v_exp_f32_e32 v35, v35
	s_waitcnt_depctr 0xfff
	v_ldexp_f32 v35, v35, v48
	v_cndmask_b32_e64 v11, 0, v35, s1
	s_delay_alu instid0(VALU_DEP_1) | instskip(SKIP_1) | instid1(VALU_DEP_2)
	v_cndmask_b32_e32 v11, 0x7f800000, v11, vcc_lo
	v_cmp_nlt_f32_e32 vcc_lo, 0x42b17218, v19
	v_fmac_f32_e32 v8, v11, v18
	v_cndmask_b32_e32 v10, 0x7f800000, v10, vcc_lo
	v_mul_f32_e32 v37, 0x3fb8aa3b, v21
	s_waitcnt vmcnt(3)
	v_fmac_f32_e32 v7, v29, v11
	v_cmp_nlt_f32_e32 vcc_lo, 0x42b17218, v21
	v_cndmask_b32_e64 v11, 0, v38, s4
	v_fmac_f32_e32 v8, v10, v20
	v_fma_f32 v51, 0x3fb8aa3b, v21, -v37
	v_rndne_f32_e32 v52, v37
	s_waitcnt vmcnt(2)
	v_fmac_f32_e32 v7, v30, v10
	s_delay_alu instid0(VALU_DEP_3) | instskip(NEXT) | instid1(VALU_DEP_3)
	v_fmac_f32_e32 v51, 0x32a5705f, v21
	v_sub_f32_e32 v37, v37, v52
	v_cvt_i32_f32_e32 v52, v52
	s_delay_alu instid0(VALU_DEP_2) | instskip(NEXT) | instid1(VALU_DEP_1)
	v_add_f32_e32 v37, v37, v51
	v_exp_f32_e32 v37, v37
	s_waitcnt_depctr 0xfff
	v_ldexp_f32 v37, v37, v52
	s_delay_alu instid0(VALU_DEP_1) | instskip(NEXT) | instid1(VALU_DEP_1)
	v_cndmask_b32_e64 v9, 0, v37, s3
	v_cndmask_b32_e32 v9, 0x7f800000, v9, vcc_lo
	v_cmp_nlt_f32_e32 vcc_lo, 0x42b17218, v23
	s_delay_alu instid0(VALU_DEP_2) | instskip(SKIP_3) | instid1(VALU_DEP_1)
	v_fmac_f32_e32 v8, v9, v22
	s_waitcnt vmcnt(1)
	v_dual_cndmask_b32 v10, 0x7f800000, v11 :: v_dual_fmac_f32 v7, v2, v9
	s_waitcnt vmcnt(0)
	v_dual_fmac_f32 v8, v10, v24 :: v_dual_fmac_f32 v7, v3, v10
	s_cbranch_scc0 .LBB17_14
; %bb.15:
	s_and_b32 s0, s11, 7
	s_delay_alu instid0(SALU_CYCLE_1)
	s_cmp_eq_u32 s0, 0
	s_cbranch_scc0 .LBB17_18
	s_branch .LBB17_20
.LBB17_16:
	v_mov_b32_e32 v0, 0x7fc00000
	s_branch .LBB17_21
.LBB17_17:
	v_mov_b32_e32 v8, 0
	s_mov_b32 s12, 0
	s_and_b32 s0, s11, 7
	s_delay_alu instid0(SALU_CYCLE_1)
	s_cmp_eq_u32 s0, 0
	s_cbranch_scc1 .LBB17_20
.LBB17_18:
	v_lshl_or_b32 v0, s12, 7, v0
	v_mov_b32_e32 v1, 0
	s_lshl_b32 s1, s12, 3
	s_delay_alu instid0(SALU_CYCLE_1)
	s_add_i32 s1, s1, 0
	s_set_inst_prefetch_distance 0x1
	.p2align	6
.LBB17_19:                              ; =>This Inner Loop Header: Depth=1
	s_delay_alu instid0(VALU_DEP_1) | instskip(SKIP_2) | instid1(VALU_DEP_2)
	v_lshlrev_b64 v[2:3], 2, v[0:1]
	s_add_i32 s0, s0, -1
	v_add_nc_u32_e32 v0, 0x80, v0
	v_add_co_u32 v2, vcc_lo, s6, v2
	s_delay_alu instid0(VALU_DEP_3)
	v_add_co_ci_u32_e32 v3, vcc_lo, s7, v3, vcc_lo
	global_load_b32 v4, v[2:3], off
	v_mov_b32_e32 v2, s1
	s_add_i32 s1, s1, 8
	s_cmp_lg_u32 s0, 0
	ds_load_b64 v[2:3], v2
	s_waitcnt lgkmcnt(0)
	v_sub_f32_e32 v2, v2, v6
	s_delay_alu instid0(VALU_DEP_1) | instskip(SKIP_1) | instid1(VALU_DEP_2)
	v_mul_f32_e32 v9, 0x3fb8aa3b, v2
	v_cmp_ngt_f32_e32 vcc_lo, 0xc2ce8ed0, v2
	v_fma_f32 v10, 0x3fb8aa3b, v2, -v9
	v_rndne_f32_e32 v11, v9
	s_delay_alu instid0(VALU_DEP_1) | instskip(NEXT) | instid1(VALU_DEP_1)
	v_dual_fmac_f32 v10, 0x32a5705f, v2 :: v_dual_sub_f32 v9, v9, v11
	v_add_f32_e32 v9, v9, v10
	v_cvt_i32_f32_e32 v10, v11
	s_delay_alu instid0(VALU_DEP_2) | instskip(SKIP_2) | instid1(VALU_DEP_1)
	v_exp_f32_e32 v9, v9
	s_waitcnt_depctr 0xfff
	v_ldexp_f32 v9, v9, v10
	v_cndmask_b32_e32 v9, 0, v9, vcc_lo
	v_cmp_nlt_f32_e32 vcc_lo, 0x42b17218, v2
	s_delay_alu instid0(VALU_DEP_2) | instskip(SKIP_1) | instid1(VALU_DEP_1)
	v_cndmask_b32_e32 v2, 0x7f800000, v9, vcc_lo
	s_waitcnt vmcnt(0)
	v_dual_fmac_f32 v8, v2, v3 :: v_dual_fmac_f32 v7, v4, v2
	s_cbranch_scc1 .LBB17_19
.LBB17_20:
	s_set_inst_prefetch_distance 0x2
	s_delay_alu instid0(VALU_DEP_1) | instskip(NEXT) | instid1(VALU_DEP_1)
	v_div_scale_f32 v0, null, v8, v8, v7
	v_rcp_f32_e32 v1, v0
	s_waitcnt_depctr 0xfff
	v_fma_f32 v2, -v0, v1, 1.0
	s_delay_alu instid0(VALU_DEP_1) | instskip(SKIP_1) | instid1(VALU_DEP_1)
	v_fmac_f32_e32 v1, v2, v1
	v_div_scale_f32 v2, vcc_lo, v7, v8, v7
	v_mul_f32_e32 v3, v2, v1
	s_delay_alu instid0(VALU_DEP_1) | instskip(NEXT) | instid1(VALU_DEP_1)
	v_fma_f32 v4, -v0, v3, v2
	v_fmac_f32_e32 v3, v4, v1
	s_delay_alu instid0(VALU_DEP_1) | instskip(NEXT) | instid1(VALU_DEP_1)
	v_fma_f32 v0, -v0, v3, v2
	v_div_fmas_f32 v0, v0, v1, v3
	s_delay_alu instid0(VALU_DEP_1)
	v_div_fixup_f32 v0, v0, v8, v7
.LBB17_21:
	s_lshl_b32 s0, s10, 7
	s_delay_alu instid0(SALU_CYCLE_1) | instskip(NEXT) | instid1(SALU_CYCLE_1)
	s_ashr_i32 s1, s0, 31
	s_lshl_b64 s[0:1], s[0:1], 2
	s_delay_alu instid0(SALU_CYCLE_1)
	s_add_u32 s0, s8, s0
	s_addc_u32 s1, s9, s1
	global_store_b32 v5, v0, s[0:1]
	s_nop 0
	s_sendmsg sendmsg(MSG_DEALLOC_VGPRS)
	s_endpgm
	.section	.rodata,"a",@progbits
	.p2align	6, 0x0
	.amdhsa_kernel _ZL26flash_attn_combine_resultsILi128EEvPKfPK15HIP_vector_typeIfLj2EEPfi
		.amdhsa_group_segment_fixed_size 0
		.amdhsa_private_segment_fixed_size 0
		.amdhsa_kernarg_size 288
		.amdhsa_user_sgpr_count 13
		.amdhsa_user_sgpr_dispatch_ptr 0
		.amdhsa_user_sgpr_queue_ptr 0
		.amdhsa_user_sgpr_kernarg_segment_ptr 1
		.amdhsa_user_sgpr_dispatch_id 0
		.amdhsa_user_sgpr_private_segment_size 0
		.amdhsa_wavefront_size32 1
		.amdhsa_uses_dynamic_stack 0
		.amdhsa_enable_private_segment 0
		.amdhsa_system_sgpr_workgroup_id_x 1
		.amdhsa_system_sgpr_workgroup_id_y 1
		.amdhsa_system_sgpr_workgroup_id_z 1
		.amdhsa_system_sgpr_workgroup_info 0
		.amdhsa_system_vgpr_workitem_id 0
		.amdhsa_next_free_vgpr 55
		.amdhsa_next_free_sgpr 16
		.amdhsa_reserve_vcc 1
		.amdhsa_float_round_mode_32 0
		.amdhsa_float_round_mode_16_64 0
		.amdhsa_float_denorm_mode_32 3
		.amdhsa_float_denorm_mode_16_64 3
		.amdhsa_dx10_clamp 1
		.amdhsa_ieee_mode 1
		.amdhsa_fp16_overflow 0
		.amdhsa_workgroup_processor_mode 1
		.amdhsa_memory_ordered 1
		.amdhsa_forward_progress 0
		.amdhsa_shared_vgpr_count 0
		.amdhsa_exception_fp_ieee_invalid_op 0
		.amdhsa_exception_fp_denorm_src 0
		.amdhsa_exception_fp_ieee_div_zero 0
		.amdhsa_exception_fp_ieee_overflow 0
		.amdhsa_exception_fp_ieee_underflow 0
		.amdhsa_exception_fp_ieee_inexact 0
		.amdhsa_exception_int_div_zero 0
	.end_amdhsa_kernel
	.section	.text._ZL26flash_attn_combine_resultsILi128EEvPKfPK15HIP_vector_typeIfLj2EEPfi,"axG",@progbits,_ZL26flash_attn_combine_resultsILi128EEvPKfPK15HIP_vector_typeIfLj2EEPfi,comdat
.Lfunc_end17:
	.size	_ZL26flash_attn_combine_resultsILi128EEvPKfPK15HIP_vector_typeIfLj2EEPfi, .Lfunc_end17-_ZL26flash_attn_combine_resultsILi128EEvPKfPK15HIP_vector_typeIfLj2EEPfi
                                        ; -- End function
	.section	.AMDGPU.csdata,"",@progbits
; Kernel info:
; codeLenInByte = 2352
; NumSgprs: 18
; NumVgprs: 55
; ScratchSize: 0
; MemoryBound: 0
; FloatMode: 240
; IeeeMode: 1
; LDSByteSize: 0 bytes/workgroup (compile time only)
; SGPRBlocks: 2
; VGPRBlocks: 6
; NumSGPRsForWavesPerEU: 18
; NumVGPRsForWavesPerEU: 55
; Occupancy: 16
; WaveLimiterHint : 0
; COMPUTE_PGM_RSRC2:SCRATCH_EN: 0
; COMPUTE_PGM_RSRC2:USER_SGPR: 13
; COMPUTE_PGM_RSRC2:TRAP_HANDLER: 0
; COMPUTE_PGM_RSRC2:TGID_X_EN: 1
; COMPUTE_PGM_RSRC2:TGID_Y_EN: 1
; COMPUTE_PGM_RSRC2:TGID_Z_EN: 1
; COMPUTE_PGM_RSRC2:TIDIG_COMP_CNT: 0
	.section	.text._ZL18flash_attn_ext_vecILi128ELi1EL9ggml_type3ELS0_3ELb1EEvPKcS2_S2_S2_S2_PKiPfP15HIP_vector_typeIfLj2EEffffjfiS6_IjLj3EEiiiiiiiiiiiliiliiiiil,"axG",@progbits,_ZL18flash_attn_ext_vecILi128ELi1EL9ggml_type3ELS0_3ELb1EEvPKcS2_S2_S2_S2_PKiPfP15HIP_vector_typeIfLj2EEffffjfiS6_IjLj3EEiiiiiiiiiiiliiliiiiil,comdat
	.globl	_ZL18flash_attn_ext_vecILi128ELi1EL9ggml_type3ELS0_3ELb1EEvPKcS2_S2_S2_S2_PKiPfP15HIP_vector_typeIfLj2EEffffjfiS6_IjLj3EEiiiiiiiiiiiliiliiiiil ; -- Begin function _ZL18flash_attn_ext_vecILi128ELi1EL9ggml_type3ELS0_3ELb1EEvPKcS2_S2_S2_S2_PKiPfP15HIP_vector_typeIfLj2EEffffjfiS6_IjLj3EEiiiiiiiiiiiliiliiiiil
	.p2align	8
	.type	_ZL18flash_attn_ext_vecILi128ELi1EL9ggml_type3ELS0_3ELb1EEvPKcS2_S2_S2_S2_PKiPfP15HIP_vector_typeIfLj2EEffffjfiS6_IjLj3EEiiiiiiiiiiiliiliiiiil,@function
_ZL18flash_attn_ext_vecILi128ELi1EL9ggml_type3ELS0_3ELb1EEvPKcS2_S2_S2_S2_PKiPfP15HIP_vector_typeIfLj2EEffffjfiS6_IjLj3EEiiiiiiiiiiiliiliiiiil: ; @_ZL18flash_attn_ext_vecILi128ELi1EL9ggml_type3ELS0_3ELb1EEvPKcS2_S2_S2_S2_PKiPfP15HIP_vector_typeIfLj2EEffffjfiS6_IjLj3EEiiiiiiiiiiiliiliiiiil
; %bb.0:
	s_clause 0x4
	s_load_b64 s[34:35], s[0:1], 0x64
	s_load_b64 s[38:39], s[0:1], 0x80
	;; [unrolled: 1-line block ×3, first 2 shown]
	s_load_b128 s[8:11], s[0:1], 0x40
	s_load_b64 s[40:41], s[0:1], 0x50
	v_mov_b32_e32 v45, 1.0
	s_waitcnt lgkmcnt(0)
	v_cvt_f32_u32_e32 v1, s35
	s_sub_i32 s3, 0, s35
	s_delay_alu instid0(VALU_DEP_1) | instskip(SKIP_2) | instid1(VALU_DEP_1)
	v_rcp_iflag_f32_e32 v1, v1
	s_waitcnt_depctr 0xfff
	v_mul_f32_e32 v1, 0x4f7ffffe, v1
	v_cvt_u32_f32_e32 v1, v1
	s_delay_alu instid0(VALU_DEP_1) | instskip(NEXT) | instid1(VALU_DEP_1)
	v_readfirstlane_b32 s2, v1
	s_mul_i32 s3, s3, s2
	s_delay_alu instid0(SALU_CYCLE_1) | instskip(NEXT) | instid1(SALU_CYCLE_1)
	s_mul_hi_u32 s3, s2, s3
	s_add_i32 s2, s2, s3
	s_delay_alu instid0(SALU_CYCLE_1) | instskip(NEXT) | instid1(SALU_CYCLE_1)
	s_mul_hi_u32 s2, s15, s2
	s_mul_i32 s3, s2, s35
	s_add_i32 s4, s2, 1
	s_sub_i32 s3, s15, s3
	s_delay_alu instid0(SALU_CYCLE_1)
	s_sub_i32 s5, s3, s35
	s_cmp_ge_u32 s3, s35
	s_cselect_b32 s2, s4, s2
	s_cselect_b32 s3, s5, s3
	s_add_i32 s4, s2, 1
	s_cmp_ge_u32 s3, s35
	s_cselect_b32 s12, s4, s2
	s_abs_i32 s2, s39
	s_abs_i32 s6, s35
	v_cvt_f32_u32_e32 v1, s2
	s_sub_i32 s4, 0, s2
	s_xor_b32 s5, s35, s39
	s_delay_alu instid0(SALU_CYCLE_1) | instskip(NEXT) | instid1(VALU_DEP_1)
	s_ashr_i32 s5, s5, 31
	v_rcp_iflag_f32_e32 v1, v1
	s_waitcnt_depctr 0xfff
	v_mul_f32_e32 v1, 0x4f7ffffe, v1
	s_delay_alu instid0(VALU_DEP_1) | instskip(NEXT) | instid1(VALU_DEP_1)
	v_cvt_u32_f32_e32 v1, v1
	v_readfirstlane_b32 s3, v1
	s_delay_alu instid0(VALU_DEP_1) | instskip(NEXT) | instid1(SALU_CYCLE_1)
	s_mul_i32 s4, s4, s3
	s_mul_hi_u32 s4, s3, s4
	s_delay_alu instid0(SALU_CYCLE_1) | instskip(SKIP_4) | instid1(SALU_CYCLE_1)
	s_add_i32 s3, s3, s4
	s_mul_i32 s4, s12, s35
	s_mul_hi_u32 s3, s6, s3
	s_sub_i32 s36, s15, s4
	s_mul_i32 s7, s3, s2
	s_sub_i32 s4, s6, s7
	s_add_i32 s6, s3, 1
	s_sub_i32 s7, s4, s2
	s_cmp_ge_u32 s4, s2
	s_cselect_b32 s3, s6, s3
	s_cselect_b32 s4, s7, s4
	s_add_i32 s6, s3, 1
	s_cmp_ge_u32 s4, s2
	s_cselect_b32 s2, s6, s3
	s_abs_i32 s15, s42
	s_xor_b32 s2, s2, s5
	v_cvt_f32_u32_e32 v1, s15
	s_sub_i32 s6, s2, s5
	v_cmp_le_f32_e64 s2, s9, 0
	s_abs_i32 s33, s6
	s_abs_i32 s42, s36
	v_cvt_f32_u32_e32 v2, s33
	v_rcp_iflag_f32_e32 v1, v1
	s_and_b32 vcc_lo, exec_lo, s2
	s_sub_i32 s2, 0, s15
	s_sub_i32 s3, 0, s33
	v_rcp_iflag_f32_e32 v2, v2
	s_abs_i32 s39, s12
	s_waitcnt_depctr 0xfff
	v_dual_mul_f32 v1, 0x4f7ffffe, v1 :: v_dual_mul_f32 v2, 0x4f7ffffe, v2
	s_delay_alu instid0(VALU_DEP_1) | instskip(NEXT) | instid1(VALU_DEP_2)
	v_cvt_u32_f32_e32 v1, v1
	v_cvt_u32_f32_e32 v2, v2
	s_delay_alu instid0(VALU_DEP_2) | instskip(NEXT) | instid1(VALU_DEP_2)
	v_readfirstlane_b32 s5, v1
	v_readfirstlane_b32 s7, v2
	s_delay_alu instid0(VALU_DEP_2) | instskip(NEXT) | instid1(SALU_CYCLE_1)
	s_mul_i32 s2, s2, s5
	s_mul_hi_u32 s2, s5, s2
	s_delay_alu instid0(VALU_DEP_1) | instskip(SKIP_2) | instid1(SALU_CYCLE_1)
	s_mul_i32 s3, s3, s7
	s_add_i32 s5, s5, s2
	s_mul_hi_u32 s3, s7, s3
	s_add_i32 s7, s7, s3
	s_cbranch_vccnz .LBB18_2
; %bb.1:
	s_sub_i32 s2, s36, s40
	s_add_i32 s3, s36, 1
	s_lshl_b32 s2, s2, 1
	v_mov_b32_e32 v1, s10
	s_or_b32 s2, s2, 1
	s_cmp_lt_u32 s36, s40
	s_cselect_b32 vcc_lo, -1, 0
	s_delay_alu instid0(VALU_DEP_1)
	v_cndmask_b32_e32 v3, s11, v1, vcc_lo
	s_and_b32 s4, vcc_lo, exec_lo
	s_cselect_b32 s2, s3, s2
	s_mov_b32 s3, 0x3e76c4e1
	v_cvt_f32_i32_e32 v1, s2
	v_cmp_neq_f32_e32 vcc_lo, 1.0, v3
	s_delay_alu instid0(VALU_DEP_2) | instskip(NEXT) | instid1(VALU_DEP_1)
	v_cndmask_b32_e32 v4, 1.0, v1, vcc_lo
	v_cmp_eq_f32_e32 vcc_lo, 0, v4
	v_cndmask_b32_e64 v5, |v3|, 1.0, vcc_lo
	s_delay_alu instid0(VALU_DEP_1) | instskip(NEXT) | instid1(VALU_DEP_1)
	v_frexp_mant_f32_e32 v1, v5
	v_cmp_gt_f32_e64 s2, 0x3f2aaaab, v1
	s_delay_alu instid0(VALU_DEP_1) | instskip(NEXT) | instid1(VALU_DEP_1)
	v_cndmask_b32_e64 v2, 1.0, 2.0, s2
	v_mul_f32_e32 v1, v1, v2
	s_delay_alu instid0(VALU_DEP_1) | instskip(SKIP_1) | instid1(VALU_DEP_2)
	v_add_f32_e32 v2, 1.0, v1
	v_add_f32_e32 v7, -1.0, v1
	v_rcp_f32_e32 v6, v2
	s_waitcnt_depctr 0xfff
	v_mul_f32_e32 v8, v7, v6
	s_delay_alu instid0(VALU_DEP_1) | instskip(NEXT) | instid1(VALU_DEP_1)
	v_dual_add_f32 v9, -1.0, v2 :: v_dual_mul_f32 v10, v2, v8
	v_sub_f32_e32 v1, v1, v9
	v_cndmask_b32_e64 v3, v3, 1.0, vcc_lo
	s_delay_alu instid0(VALU_DEP_3) | instskip(NEXT) | instid1(VALU_DEP_2)
	v_fma_f32 v2, v8, v2, -v10
	v_cmp_eq_f32_e64 s4, 0, v3
	s_delay_alu instid0(VALU_DEP_2) | instskip(NEXT) | instid1(VALU_DEP_1)
	v_fmac_f32_e32 v2, v8, v1
	v_add_f32_e32 v1, v10, v2
	s_delay_alu instid0(VALU_DEP_1) | instskip(NEXT) | instid1(VALU_DEP_1)
	v_dual_sub_f32 v10, v1, v10 :: v_dual_sub_f32 v9, v7, v1
	v_dual_sub_f32 v2, v10, v2 :: v_dual_sub_f32 v7, v7, v9
	s_delay_alu instid0(VALU_DEP_1) | instskip(NEXT) | instid1(VALU_DEP_1)
	v_sub_f32_e32 v1, v7, v1
	v_add_f32_e32 v1, v2, v1
	s_delay_alu instid0(VALU_DEP_1) | instskip(NEXT) | instid1(VALU_DEP_1)
	v_add_f32_e32 v1, v9, v1
	v_mul_f32_e32 v1, v6, v1
	s_delay_alu instid0(VALU_DEP_1) | instskip(NEXT) | instid1(VALU_DEP_1)
	v_add_f32_e32 v6, v8, v1
	v_sub_f32_e32 v2, v6, v8
	v_mul_f32_e32 v7, v6, v6
	s_delay_alu instid0(VALU_DEP_2) | instskip(NEXT) | instid1(VALU_DEP_2)
	v_sub_f32_e32 v8, v1, v2
	v_fma_f32 v9, v6, v6, -v7
	s_delay_alu instid0(VALU_DEP_2) | instskip(NEXT) | instid1(VALU_DEP_1)
	v_add_f32_e32 v1, v8, v8
	v_fmac_f32_e32 v9, v6, v1
	v_cvt_f64_f32_e32 v[1:2], v5
	s_delay_alu instid0(VALU_DEP_2) | instskip(NEXT) | instid1(VALU_DEP_1)
	v_add_f32_e32 v10, v7, v9
	v_fmaak_f32 v11, s3, v10, 0x3e91f4c4
	v_sub_f32_e32 v7, v10, v7
	v_mul_f32_e32 v14, v6, v10
	s_delay_alu instid0(VALU_DEP_3) | instskip(NEXT) | instid1(VALU_DEP_3)
	v_fmaak_f32 v11, v10, v11, 0x3ecccdef
	v_sub_f32_e32 v7, v9, v7
	s_delay_alu instid0(VALU_DEP_2) | instskip(NEXT) | instid1(VALU_DEP_1)
	v_mul_f32_e32 v12, v10, v11
	v_fma_f32 v9, v10, v11, -v12
	s_delay_alu instid0(VALU_DEP_1) | instskip(NEXT) | instid1(VALU_DEP_1)
	v_fmac_f32_e32 v9, v7, v11
	v_add_f32_e32 v11, v12, v9
	v_frexp_exp_i32_f64_e32 v1, v[1:2]
	s_delay_alu instid0(VALU_DEP_2) | instskip(NEXT) | instid1(VALU_DEP_1)
	v_sub_f32_e32 v12, v11, v12
	v_sub_f32_e32 v2, v9, v12
	v_fma_f32 v12, v10, v6, -v14
	s_delay_alu instid0(VALU_DEP_2) | instskip(NEXT) | instid1(VALU_DEP_2)
	v_add_f32_e32 v2, 0x31739010, v2
	v_dual_add_f32 v13, 0x3f2aaaaa, v11 :: v_dual_fmac_f32 v12, v10, v8
	v_ldexp_f32 v8, v8, 1
	s_delay_alu instid0(VALU_DEP_2) | instskip(NEXT) | instid1(VALU_DEP_1)
	v_dual_add_f32 v9, 0xbf2aaaaa, v13 :: v_dual_fmac_f32 v12, v7, v6
	v_sub_f32_e32 v9, v11, v9
	s_delay_alu instid0(VALU_DEP_1) | instskip(NEXT) | instid1(VALU_DEP_3)
	v_add_f32_e32 v2, v2, v9
	v_add_f32_e32 v9, v14, v12
	s_delay_alu instid0(VALU_DEP_2) | instskip(NEXT) | instid1(VALU_DEP_1)
	v_add_f32_e32 v7, v13, v2
	v_sub_f32_e32 v10, v13, v7
	s_delay_alu instid0(VALU_DEP_3) | instskip(SKIP_2) | instid1(VALU_DEP_4)
	v_mul_f32_e32 v11, v9, v7
	v_sub_f32_e32 v13, v9, v14
	v_subrev_co_ci_u32_e64 v1, s2, 0, v1, s2
	v_add_f32_e32 v2, v2, v10
	s_delay_alu instid0(VALU_DEP_4) | instskip(NEXT) | instid1(VALU_DEP_4)
	v_fma_f32 v10, v9, v7, -v11
	v_sub_f32_e32 v12, v12, v13
	s_delay_alu instid0(VALU_DEP_4) | instskip(NEXT) | instid1(VALU_DEP_3)
	v_cvt_f32_i32_e32 v1, v1
	v_fmac_f32_e32 v10, v9, v2
	v_ldexp_f32 v2, v6, 1
	s_delay_alu instid0(VALU_DEP_2) | instskip(NEXT) | instid1(VALU_DEP_1)
	v_fmac_f32_e32 v10, v12, v7
	v_add_f32_e32 v6, v11, v10
	s_delay_alu instid0(VALU_DEP_1) | instskip(NEXT) | instid1(VALU_DEP_1)
	v_add_f32_e32 v7, v2, v6
	v_dual_sub_f32 v2, v7, v2 :: v_dual_sub_f32 v9, v6, v11
	s_delay_alu instid0(VALU_DEP_1) | instskip(NEXT) | instid1(VALU_DEP_2)
	v_sub_f32_e32 v2, v6, v2
	v_sub_f32_e32 v9, v10, v9
	s_delay_alu instid0(VALU_DEP_1) | instskip(NEXT) | instid1(VALU_DEP_1)
	v_add_f32_e32 v6, v8, v9
	v_dual_mul_f32 v11, 0x3f317218, v1 :: v_dual_add_f32 v2, v6, v2
	s_delay_alu instid0(VALU_DEP_1) | instskip(NEXT) | instid1(VALU_DEP_2)
	v_fma_f32 v10, 0x3f317218, v1, -v11
	v_add_f32_e32 v8, v7, v2
	s_delay_alu instid0(VALU_DEP_1) | instskip(NEXT) | instid1(VALU_DEP_1)
	v_sub_f32_e32 v7, v8, v7
	v_dual_fmamk_f32 v1, v1, 0xb102e308, v10 :: v_dual_sub_f32 v2, v2, v7
	s_delay_alu instid0(VALU_DEP_1) | instskip(NEXT) | instid1(VALU_DEP_1)
	v_add_f32_e32 v6, v11, v1
	v_add_f32_e32 v9, v6, v8
	s_delay_alu instid0(VALU_DEP_1) | instskip(NEXT) | instid1(VALU_DEP_1)
	v_dual_sub_f32 v11, v6, v11 :: v_dual_sub_f32 v10, v9, v6
	v_sub_f32_e32 v12, v9, v10
	s_delay_alu instid0(VALU_DEP_2) | instskip(NEXT) | instid1(VALU_DEP_2)
	v_sub_f32_e32 v1, v1, v11
	v_dual_sub_f32 v7, v8, v10 :: v_dual_sub_f32 v6, v6, v12
	s_delay_alu instid0(VALU_DEP_2) | instskip(NEXT) | instid1(VALU_DEP_2)
	v_add_f32_e32 v8, v1, v2
	v_add_f32_e32 v6, v7, v6
	s_delay_alu instid0(VALU_DEP_1) | instskip(NEXT) | instid1(VALU_DEP_1)
	v_add_f32_e32 v6, v8, v6
	v_dual_sub_f32 v7, v8, v1 :: v_dual_add_f32 v10, v9, v6
	s_delay_alu instid0(VALU_DEP_1) | instskip(SKIP_1) | instid1(VALU_DEP_3)
	v_sub_f32_e32 v8, v8, v7
	v_sub_f32_e32 v2, v2, v7
	;; [unrolled: 1-line block ×3, first 2 shown]
	s_delay_alu instid0(VALU_DEP_3) | instskip(NEXT) | instid1(VALU_DEP_1)
	v_sub_f32_e32 v1, v1, v8
	v_add_f32_e32 v1, v2, v1
	s_delay_alu instid0(VALU_DEP_3) | instskip(NEXT) | instid1(VALU_DEP_1)
	v_sub_f32_e32 v2, v6, v7
	v_add_f32_e32 v1, v1, v2
	s_delay_alu instid0(VALU_DEP_1) | instskip(NEXT) | instid1(VALU_DEP_1)
	v_add_f32_e32 v2, v10, v1
	v_mul_f32_e32 v7, v4, v2
	v_sub_f32_e32 v6, v2, v10
	s_delay_alu instid0(VALU_DEP_2) | instskip(NEXT) | instid1(VALU_DEP_2)
	v_fma_f32 v2, v4, v2, -v7
	v_sub_f32_e32 v1, v1, v6
	v_cmp_class_f32_e64 s2, v7, 0x204
	s_delay_alu instid0(VALU_DEP_2) | instskip(NEXT) | instid1(VALU_DEP_1)
	v_fmac_f32_e32 v2, v4, v1
	v_add_f32_e32 v1, v7, v2
	s_delay_alu instid0(VALU_DEP_1) | instskip(NEXT) | instid1(VALU_DEP_1)
	v_cndmask_b32_e64 v6, v1, v7, s2
	v_cmp_eq_f32_e64 s2, 0x42b17218, v6
	s_delay_alu instid0(VALU_DEP_1) | instskip(SKIP_1) | instid1(VALU_DEP_2)
	v_cndmask_b32_e64 v8, 0, 0x37000000, s2
	v_cmp_neq_f32_e64 s2, 0x7f800000, |v6|
	v_sub_f32_e32 v9, v6, v8
	v_trunc_f32_e32 v6, v4
	s_delay_alu instid0(VALU_DEP_2) | instskip(NEXT) | instid1(VALU_DEP_1)
	v_mul_f32_e32 v10, 0x3fb8aa3b, v9
	v_fma_f32 v11, 0x3fb8aa3b, v9, -v10
	v_rndne_f32_e32 v12, v10
	s_delay_alu instid0(VALU_DEP_1) | instskip(NEXT) | instid1(VALU_DEP_1)
	v_dual_fmamk_f32 v11, v9, 0x32a5705f, v11 :: v_dual_sub_f32 v10, v10, v12
	v_add_f32_e32 v10, v10, v11
	v_sub_f32_e32 v1, v1, v7
	v_cvt_i32_f32_e32 v7, v12
	s_delay_alu instid0(VALU_DEP_3) | instskip(NEXT) | instid1(VALU_DEP_2)
	v_exp_f32_e32 v10, v10
	v_sub_f32_e32 v1, v2, v1
	s_delay_alu instid0(VALU_DEP_1)
	v_cndmask_b32_e64 v1, 0, v1, s2
	v_cmp_ngt_f32_e64 s2, 0xc2ce8ed0, v9
	s_waitcnt_depctr 0xfff
	v_ldexp_f32 v2, v10, v7
	v_mul_f32_e32 v7, 0.5, v4
	v_add_f32_e32 v1, v8, v1
	s_delay_alu instid0(VALU_DEP_3) | instskip(NEXT) | instid1(VALU_DEP_3)
	v_cndmask_b32_e64 v2, 0, v2, s2
	v_trunc_f32_e32 v10, v7
	v_cmp_nlt_f32_e64 s2, 0x42b17218, v9
	s_delay_alu instid0(VALU_DEP_2) | instskip(NEXT) | instid1(VALU_DEP_2)
	v_cmp_neq_f32_e64 s3, v10, v7
	v_cndmask_b32_e64 v2, 0x7f800000, v2, s2
	v_cmp_eq_f32_e64 s2, v6, v4
	s_delay_alu instid0(VALU_DEP_2) | instskip(NEXT) | instid1(VALU_DEP_2)
	v_fma_f32 v1, v2, v1, v2
	s_and_b32 vcc_lo, s2, s3
	v_cmp_class_f32_e64 s3, v2, 0x204
	v_cndmask_b32_e32 v6, 1.0, v3, vcc_lo
	s_delay_alu instid0(VALU_DEP_2) | instskip(SKIP_1) | instid1(VALU_DEP_2)
	v_cndmask_b32_e64 v1, v1, v2, s3
	v_cmp_gt_f32_e64 s3, 0, v4
	v_bfi_b32 v1, 0x7fffffff, v1, v6
	v_cndmask_b32_e32 v6, 0, v3, vcc_lo
	s_delay_alu instid0(VALU_DEP_3)
	s_xor_b32 s3, s3, s4
	v_cmp_eq_f32_e32 vcc_lo, 0x7f800000, v5
	v_cndmask_b32_e64 v2, 0x7f800000, 0, s3
	v_cndmask_b32_e64 v4, 0x7fc00000, v1, s2
	v_cmp_gt_f32_e64 s2, 0, v3
	s_or_b32 vcc_lo, vcc_lo, s4
	s_delay_alu instid0(VALU_DEP_3) | instskip(NEXT) | instid1(VALU_DEP_2)
	v_bfi_b32 v2, 0x7fffffff, v2, v6
	v_cndmask_b32_e64 v1, v1, v4, s2
	s_delay_alu instid0(VALU_DEP_1) | instskip(SKIP_1) | instid1(VALU_DEP_2)
	v_cndmask_b32_e32 v1, v1, v2, vcc_lo
	v_cmp_o_f32_e32 vcc_lo, v3, v3
	v_cndmask_b32_e32 v45, 0x7fc00000, v1, vcc_lo
.LBB18_2:
	s_load_b512 s[16:31], s[0:1], 0x0
	v_bfe_u32 v42, v0, 10, 10
	v_and_b32_e32 v43, 0x3ff, v0
	v_mbcnt_lo_u32_b32 v44, -1, 0
	s_mul_hi_u32 s40, s42, s7
	s_mul_hi_u32 s10, s39, s5
	v_cmp_eq_u32_e64 s2, 0, v42
	s_delay_alu instid0(VALU_DEP_1)
	s_and_saveexec_b32 s7, s2
	s_cbranch_execz .LBB18_7
; %bb.3:
	s_load_b128 s[44:47], s[0:1], 0x70
	v_lshlrev_b32_e32 v0, 4, v43
	v_xor_b32_e32 v10, 2, v44
	v_xor_b32_e32 v11, 1, v44
	s_waitcnt lgkmcnt(0)
	s_mul_i32 s3, s12, s46
	s_mul_i32 s4, s13, s44
	;; [unrolled: 1-line block ×3, first 2 shown]
	s_add_i32 s3, s3, s4
	s_delay_alu instid0(SALU_CYCLE_1) | instskip(NEXT) | instid1(SALU_CYCLE_1)
	s_add_i32 s3, s3, s5
	s_ashr_i32 s5, s3, 31
	s_add_u32 s4, s16, s3
	s_addc_u32 s5, s17, s5
	global_load_b128 v[6:9], v0, s[4:5]
	v_xor_b32_e32 v0, 4, v44
	s_delay_alu instid0(VALU_DEP_1) | instskip(SKIP_4) | instid1(VALU_DEP_4)
	v_cmp_gt_i32_e32 vcc_lo, 32, v0
	v_cndmask_b32_e32 v0, v44, v0, vcc_lo
	v_cmp_gt_i32_e32 vcc_lo, 32, v10
	v_cndmask_b32_e32 v10, v44, v10, vcc_lo
	v_cmp_gt_i32_e32 vcc_lo, 32, v11
	v_dual_cndmask_b32 v11, v44, v11 :: v_dual_lshlrev_b32 v0, 2, v0
	s_delay_alu instid0(VALU_DEP_1) | instskip(SKIP_4) | instid1(VALU_DEP_3)
	v_lshlrev_b32_e32 v11, 2, v11
	s_waitcnt vmcnt(0)
	v_mul_f32_e32 v1, s8, v6
	v_dual_mul_f32 v3, s8, v7 :: v_dual_mul_f32 v6, s8, v8
	v_mul_f32_e32 v5, s8, v9
	v_max_f32_e64 v2, |v1|, |v1|
	v_fma_f32 v7, s8, v7, v1
	v_lshlrev_b32_e32 v10, 2, v10
	s_delay_alu instid0(VALU_DEP_3) | instskip(NEXT) | instid1(VALU_DEP_3)
	v_max_f32_e64 v2, v2, |v3|
	v_fmac_f32_e32 v7, s8, v8
	s_delay_alu instid0(VALU_DEP_2) | instskip(NEXT) | instid1(VALU_DEP_2)
	v_max3_f32 v2, v2, |v6|, |v5|
	v_fmac_f32_e32 v7, s8, v9
	s_mov_b32 s8, exec_lo
	ds_bpermute_b32 v4, v0, v2
	ds_bpermute_b32 v0, v0, v7
	s_waitcnt lgkmcnt(1)
	v_max_f32_e32 v4, v4, v4
	s_waitcnt lgkmcnt(0)
	v_add_f32_e32 v0, v7, v0
	s_delay_alu instid0(VALU_DEP_2) | instskip(SKIP_4) | instid1(VALU_DEP_1)
	v_max_f32_e32 v2, v2, v4
	ds_bpermute_b32 v7, v10, v0
	ds_bpermute_b32 v4, v10, v2
	s_waitcnt lgkmcnt(0)
	v_max_f32_e32 v4, v4, v4
	v_max_f32_e32 v2, v2, v4
	ds_bpermute_b32 v4, v11, v2
	s_waitcnt lgkmcnt(0)
	v_max_f32_e32 v4, v4, v4
	s_delay_alu instid0(VALU_DEP_1) | instskip(NEXT) | instid1(VALU_DEP_1)
	v_max_f32_e32 v8, v2, v4
	v_div_scale_f32 v4, null, 0x42fe0000, 0x42fe0000, v8
	v_div_scale_f32 v10, vcc_lo, v8, 0x42fe0000, v8
	s_delay_alu instid0(VALU_DEP_2) | instskip(SKIP_2) | instid1(VALU_DEP_1)
	v_rcp_f32_e32 v9, v4
	s_waitcnt_depctr 0xfff
	v_fma_f32 v2, -v4, v9, 1.0
	v_fmac_f32_e32 v9, v2, v9
	s_delay_alu instid0(VALU_DEP_1) | instskip(NEXT) | instid1(VALU_DEP_1)
	v_mul_f32_e32 v12, v10, v9
	v_fma_f32 v2, -v4, v12, v10
	s_delay_alu instid0(VALU_DEP_1) | instskip(SKIP_1) | instid1(VALU_DEP_2)
	v_fmac_f32_e32 v12, v2, v9
	v_dual_add_f32 v2, v0, v7 :: v_dual_mov_b32 v7, 0
	v_fma_f32 v0, -v4, v12, v10
	ds_bpermute_b32 v4, v11, v2
	v_div_fmas_f32 v0, v0, v9, v12
	s_delay_alu instid0(VALU_DEP_1) | instskip(NEXT) | instid1(VALU_DEP_1)
	v_div_fixup_f32 v0, v0, 0x42fe0000, v8
	v_cmpx_neq_f32_e32 0, v0
	s_cbranch_execz .LBB18_5
; %bb.4:
	v_div_scale_f32 v7, null, v0, v0, v1
	v_div_scale_f32 v8, null, v0, v0, v3
	v_div_scale_f32 v10, null, v0, v0, v6
	s_delay_alu instid0(VALU_DEP_3) | instskip(SKIP_1) | instid1(VALU_DEP_3)
	v_rcp_f32_e32 v9, v7
	v_div_scale_f32 v11, null, v0, v0, v5
	v_rcp_f32_e32 v12, v8
	s_delay_alu instid0(VALU_DEP_2) | instskip(SKIP_1) | instid1(VALU_DEP_2)
	v_rcp_f32_e32 v13, v10
	v_div_scale_f32 v17, vcc_lo, v1, v0, v1
	v_rcp_f32_e32 v14, v11
	v_fma_f32 v15, -v7, v9, 1.0
	s_delay_alu instid0(TRANS32_DEP_3)
	v_fma_f32 v16, -v8, v12, 1.0
	s_waitcnt_depctr 0xfff
	v_fma_f32 v18, -v10, v13, 1.0
	v_fmac_f32_e32 v9, v15, v9
	v_div_scale_f32 v15, s3, v3, v0, v3
	v_fmac_f32_e32 v12, v16, v12
	v_fma_f32 v19, -v11, v14, 1.0
	v_fmac_f32_e32 v13, v18, v13
	v_div_scale_f32 v16, s4, v6, v0, v6
	s_delay_alu instid0(VALU_DEP_4) | instskip(NEXT) | instid1(VALU_DEP_4)
	v_mul_f32_e32 v20, v15, v12
	v_dual_fmac_f32 v14, v19, v14 :: v_dual_mul_f32 v19, v17, v9
	v_div_scale_f32 v18, s5, v5, v0, v5
	s_delay_alu instid0(VALU_DEP_4) | instskip(NEXT) | instid1(VALU_DEP_4)
	v_mul_f32_e32 v21, v16, v13
	v_fma_f32 v24, -v8, v20, v15
	s_delay_alu instid0(VALU_DEP_4) | instskip(NEXT) | instid1(VALU_DEP_4)
	v_fma_f32 v23, -v7, v19, v17
	v_mul_f32_e32 v22, v18, v14
	s_delay_alu instid0(VALU_DEP_4) | instskip(NEXT) | instid1(VALU_DEP_3)
	v_fma_f32 v25, -v10, v21, v16
	v_dual_fmac_f32 v20, v24, v12 :: v_dual_fmac_f32 v19, v23, v9
	s_delay_alu instid0(VALU_DEP_3) | instskip(NEXT) | instid1(VALU_DEP_3)
	v_fma_f32 v26, -v11, v22, v18
	v_fmac_f32_e32 v21, v25, v13
	s_delay_alu instid0(VALU_DEP_3) | instskip(NEXT) | instid1(VALU_DEP_4)
	v_fma_f32 v8, -v8, v20, v15
	v_fma_f32 v7, -v7, v19, v17
	s_delay_alu instid0(VALU_DEP_4) | instskip(NEXT) | instid1(VALU_DEP_4)
	v_fmac_f32_e32 v22, v26, v14
	v_fma_f32 v10, -v10, v21, v16
	s_delay_alu instid0(VALU_DEP_3) | instskip(SKIP_3) | instid1(VALU_DEP_2)
	v_div_fmas_f32 v7, v7, v9, v19
	s_mov_b32 vcc_lo, s3
	v_div_fmas_f32 v8, v8, v12, v20
	s_mov_b32 vcc_lo, s4
	v_div_fixup_f32 v1, v7, v0, v1
	v_div_fmas_f32 v9, v10, v13, v21
	v_fma_f32 v10, -v11, v22, v18
	s_mov_b32 vcc_lo, s5
	v_div_fixup_f32 v3, v8, v0, v3
	v_trunc_f32_e32 v12, v1
	v_div_fixup_f32 v6, v9, v0, v6
	v_div_fmas_f32 v9, v10, v14, v22
	s_delay_alu instid0(VALU_DEP_2) | instskip(NEXT) | instid1(VALU_DEP_2)
	v_trunc_f32_e32 v8, v6
	v_div_fixup_f32 v5, v9, v0, v5
	v_trunc_f32_e32 v9, v3
	s_delay_alu instid0(VALU_DEP_3) | instskip(NEXT) | instid1(VALU_DEP_3)
	v_sub_f32_e32 v10, v6, v8
	v_trunc_f32_e32 v7, v5
	s_delay_alu instid0(VALU_DEP_3) | instskip(NEXT) | instid1(VALU_DEP_3)
	v_sub_f32_e32 v11, v3, v9
	v_cmp_ge_f32_e64 s3, |v10|, 0.5
	s_delay_alu instid0(VALU_DEP_1) | instskip(NEXT) | instid1(VALU_DEP_3)
	v_cndmask_b32_e64 v10, 0, 1.0, s3
	v_cmp_ge_f32_e64 s3, |v11|, 0.5
	s_delay_alu instid0(VALU_DEP_2) | instskip(SKIP_1) | instid1(VALU_DEP_3)
	v_bfi_b32 v6, 0x7fffffff, v10, v6
	v_sub_f32_e32 v13, v5, v7
	v_cndmask_b32_e64 v11, 0, 1.0, s3
	s_delay_alu instid0(VALU_DEP_3) | instskip(NEXT) | instid1(VALU_DEP_3)
	v_add_f32_e32 v6, v8, v6
	v_cmp_ge_f32_e64 s3, |v13|, 0.5
	s_delay_alu instid0(VALU_DEP_3) | instskip(NEXT) | instid1(VALU_DEP_3)
	v_bfi_b32 v3, 0x7fffffff, v11, v3
	v_cvt_i32_f32_e32 v6, v6
	s_delay_alu instid0(VALU_DEP_3) | instskip(NEXT) | instid1(VALU_DEP_2)
	v_cndmask_b32_e64 v13, 0, 1.0, s3
	v_dual_add_f32 v3, v9, v3 :: v_dual_and_b32 v6, 0xff, v6
	s_delay_alu instid0(VALU_DEP_2) | instskip(SKIP_1) | instid1(VALU_DEP_3)
	v_bfi_b32 v5, 0x7fffffff, v13, v5
	v_sub_f32_e32 v10, v1, v12
	v_cvt_i32_f32_e32 v3, v3
	s_delay_alu instid0(VALU_DEP_3) | instskip(NEXT) | instid1(VALU_DEP_3)
	v_dual_add_f32 v5, v7, v5 :: v_dual_lshlrev_b32 v6, 16, v6
	v_cmp_ge_f32_e64 s3, |v10|, 0.5
	s_delay_alu instid0(VALU_DEP_3) | instskip(NEXT) | instid1(VALU_DEP_3)
	v_and_b32_e32 v3, 0xff, v3
	v_cvt_i32_f32_e32 v5, v5
	s_delay_alu instid0(VALU_DEP_3) | instskip(NEXT) | instid1(VALU_DEP_3)
	v_cndmask_b32_e64 v8, 0, 1.0, s3
	v_lshlrev_b32_e32 v3, 8, v3
	s_delay_alu instid0(VALU_DEP_3) | instskip(NEXT) | instid1(VALU_DEP_3)
	v_lshl_or_b32 v5, v5, 24, v6
	v_bfi_b32 v1, 0x7fffffff, v8, v1
	s_delay_alu instid0(VALU_DEP_1) | instskip(NEXT) | instid1(VALU_DEP_1)
	v_add_f32_e32 v1, v12, v1
	v_cvt_i32_f32_e32 v1, v1
	s_delay_alu instid0(VALU_DEP_1) | instskip(NEXT) | instid1(VALU_DEP_1)
	v_and_b32_e32 v1, 0xff, v1
	v_or3_b32 v7, v5, v3, v1
.LBB18_5:
	s_or_b32 exec_lo, exec_lo, s8
	v_and_b32_e32 v1, 7, v43
	v_lshlrev_b32_e32 v3, 2, v43
	s_delay_alu instid0(VALU_DEP_2)
	v_cmp_eq_u32_e32 vcc_lo, 0, v1
	ds_store_b32 v3, v7
	s_and_b32 exec_lo, exec_lo, vcc_lo
	s_cbranch_execz .LBB18_7
; %bb.6:
	s_waitcnt lgkmcnt(1)
	v_add_f32_e32 v1, v2, v4
	ds_store_b64 v43, v[0:1] offset:128
.LBB18_7:
	s_or_b32 exec_lo, exec_lo, s7
	v_dual_mov_b32 v193, 0 :: v_dual_and_b32 v10, 1, v43
	s_waitcnt lgkmcnt(0)
	s_barrier
	buffer_gl0_inv
	v_lshlrev_b32_e32 v8, 2, v10
	s_ashr_i32 s37, s36, 31
	s_ashr_i32 s3, s6, 31
	;; [unrolled: 1-line block ×3, first 2 shown]
	s_cmp_eq_u64 s[26:27], 0
	ds_load_2addr_b32 v[24:25], v8 offset1:2
	ds_load_2addr_b32 v[26:27], v8 offset0:4 offset1:6
	ds_load_2addr_b32 v[28:29], v8 offset0:8 offset1:10
	;; [unrolled: 1-line block ×3, first 2 shown]
	ds_load_b128 v[0:3], v193 offset:128
	ds_load_b128 v[4:7], v193 offset:144
	ds_load_2addr_b32 v[32:33], v8 offset0:16 offset1:18
	ds_load_2addr_b32 v[34:35], v8 offset0:20 offset1:22
	ds_load_2addr_b32 v[36:37], v8 offset0:24 offset1:26
	ds_load_2addr_b32 v[38:39], v8 offset0:28 offset1:30
	s_waitcnt lgkmcnt(0)
	s_barrier
	buffer_gl0_inv
	s_cbranch_scc1 .LBB18_9
; %bb.8:
	s_load_b32 s4, s[0:1], 0xd0
	s_mov_b32 s5, 0
	s_waitcnt lgkmcnt(0)
	s_mul_i32 s4, s4, s12
	s_delay_alu instid0(SALU_CYCLE_1) | instskip(NEXT) | instid1(SALU_CYCLE_1)
	s_add_i32 s4, s4, s13
	s_lshl_b64 s[4:5], s[4:5], 2
	s_delay_alu instid0(SALU_CYCLE_1)
	s_add_u32 s4, s26, s4
	s_addc_u32 s5, s27, s5
	s_load_b32 s38, s[4:5], 0x0
.LBB18_9:
	v_dual_mov_b32 v194, 0xfeffffff :: v_dual_lshlrev_b32 v9, 5, v42
	v_lshlrev_b32_e32 v48, 2, v43
	s_lshl_b32 s8, s14, 7
	s_mov_b32 s9, 0
	s_delay_alu instid0(VALU_DEP_2) | instskip(SKIP_2) | instid1(VALU_DEP_1)
	v_dual_mov_b32 v197, 0 :: v_dual_add_nc_u32 v46, v9, v43
	s_waitcnt lgkmcnt(0)
	s_cmp_ge_i32 s8, s38
	v_dual_mov_b32 v196, 0 :: v_dual_lshlrev_b32 v47, 1, v46
	s_cbranch_scc1 .LBB18_25
; %bb.10:
	s_clause 0x1
	s_load_b128 s[4:7], s[0:1], 0x98
	s_load_b64 s[16:17], s[0:1], 0x8c
	s_xor_b32 s27, s37, s3
	s_mul_i32 s3, s40, s33
	s_add_i32 s45, s40, 1
	s_sub_i32 s42, s42, s3
	s_mul_i32 s48, s10, s15
	s_sub_i32 s50, s42, s33
	s_mul_i32 s49, s13, s43
	s_clause 0x2
	s_load_b64 s[46:47], s[0:1], 0xa8
	s_load_b64 s[10:11], s[0:1], 0xc8
	s_load_b32 s43, s[0:1], 0xd4
	v_bfe_u32 v12, v43, 3, 27
	v_and_b32_e32 v11, 0x7e, v43
	v_cmp_eq_u32_e64 s3, 0, v10
	v_and_b32_e32 v20, 12, v48
	v_add_nc_u32_e32 v75, 31, v9
	v_mul_hi_u32_u24_e32 v13, 20, v12
	v_mul_u32_u24_e32 v12, 20, v12
	v_add_nc_u32_e32 v10, v9, v11
	v_add_nc_u32_e32 v74, 29, v9
	;; [unrolled: 1-line block ×3, first 2 shown]
	s_waitcnt lgkmcnt(0)
	s_mul_i32 s5, s12, s5
	s_mul_hi_u32 s26, s12, s4
	s_mul_i32 s51, s44, s4
	s_add_i32 s26, s26, s5
	v_mul_lo_u32 v21, v9, s6
	s_add_i32 s26, s26, s51
	s_cmp_ge_u32 s42, s33
	v_mad_u64_u32 v[17:18], null, s12, s46, v[12:13]
	s_cselect_b32 s5, s45, s40
	s_cselect_b32 s40, s50, s42
	s_add_i32 s42, s5, 1
	s_cmp_ge_u32 s40, s33
	v_lshlrev_b32_e32 v40, 1, v10
	s_cselect_b32 s5, s42, s5
	s_sub_i32 s45, s39, s48
	s_xor_b32 s5, s5, s27
	s_mul_i32 s42, s12, s47
	s_sub_i32 s39, s5, s27
	s_sub_i32 s5, s45, s15
	s_mul_i32 s27, s39, s17
	s_mul_i32 s39, s39, s7
	s_ashr_i32 s33, s27, 31
	s_ashr_i32 s40, s39, 31
	s_cmp_ge_u32 s45, s15
	s_mul_i32 s7, s44, s46
	s_cselect_b32 s5, s5, s45
	v_add3_u32 v18, s42, s7, v18
	s_sub_i32 s17, s5, s15
	s_cmp_ge_u32 s5, s15
	v_ashrrev_i32_e32 v69, 31, v21
	s_cselect_b32 s5, s17, s5
	s_ashr_i32 s15, s49, 31
	s_xor_b32 s5, s5, s44
	v_add_co_u32 v12, vcc_lo, v17, v21
	s_sub_i32 s5, s5, s44
	v_add_co_ci_u32_e32 v13, vcc_lo, v18, v69, vcc_lo
	s_mul_i32 s7, s5, s11
	s_mul_hi_u32 s11, s5, s10
	s_ashr_i32 s17, s5, 31
	s_add_i32 s7, s11, s7
	s_mul_i32 s17, s17, s10
	s_mul_i32 s5, s5, s10
	s_add_i32 s11, s7, s17
	s_cmp_lg_u64 s[22:23], 0
	v_add_nc_u32_e32 v68, s6, v21
	s_cselect_b32 s7, -1, 0
	s_lshl_b32 s10, s43, 7
	s_add_u32 s42, s18, s27
	s_addc_u32 s43, s19, s33
	s_lshl_b64 s[44:45], s[8:9], 1
	v_ashrrev_i32_e32 v73, 31, v68
	s_add_u32 s5, s5, s44
	s_addc_u32 s11, s11, s45
	s_add_u32 s17, s22, s49
	s_addc_u32 s15, s23, s15
	;; [unrolled: 2-line block ×3, first 2 shown]
	v_add_co_u32 v40, s5, s5, v40
	s_delay_alu instid0(VALU_DEP_1) | instskip(SKIP_1) | instid1(VALU_DEP_3)
	v_add_co_ci_u32_e64 v41, null, s11, 0, s5
	v_mul_lo_u32 v75, s6, v75
	v_add_co_u32 v40, vcc_lo, v40, 2
	s_delay_alu instid0(VALU_DEP_3) | instskip(SKIP_4) | instid1(VALU_DEP_4)
	v_add_co_ci_u32_e32 v41, vcc_lo, 0, v41, vcc_lo
	v_add_co_u32 v71, vcc_lo, v17, v20
	v_add_co_ci_u32_e32 v72, vcc_lo, 0, v18, vcc_lo
	v_add_co_u32 v55, vcc_lo, v17, s39
	;; [unrolled: 2-line block ×3, first 2 shown]
	s_delay_alu instid0(VALU_DEP_4) | instskip(NEXT) | instid1(VALU_DEP_4)
	v_add_co_ci_u32_e32 v21, vcc_lo, v72, v69, vcc_lo
	v_add_co_u32 v17, vcc_lo, v55, v68
	v_add_nc_u32_e32 v11, s6, v68
	v_add_nc_u32_e32 v69, 30, v9
	v_add_co_ci_u32_e32 v18, vcc_lo, v56, v73, vcc_lo
	v_add_co_u32 v71, vcc_lo, v71, s39
	v_add_co_ci_u32_e32 v72, vcc_lo, s40, v72, vcc_lo
	v_add_nc_u32_e32 v14, s6, v11
	v_mul_lo_u32 v76, s6, v69
	s_delay_alu instid0(VALU_DEP_4)
	v_add_co_u32 v68, vcc_lo, v71, v68
	v_ashrrev_i32_e32 v106, 31, v75
	v_add_nc_u32_e32 v78, 27, v9
	v_add_co_ci_u32_e32 v69, vcc_lo, v72, v73, vcc_lo
	v_add_nc_u32_e32 v15, s6, v14
	v_add_co_u32 v108, vcc_lo, v71, v75
	v_mul_lo_u32 v74, s6, v74
	v_add_co_ci_u32_e32 v109, vcc_lo, v72, v106, vcc_lo
	v_mul_lo_u32 v73, s6, v77
	v_mul_lo_u32 v77, s6, v78
	v_ashrrev_i32_e32 v78, 31, v76
	v_add_co_u32 v75, vcc_lo, v55, v75
	v_add_nc_u32_e32 v16, s6, v15
	v_add_co_ci_u32_e32 v106, vcc_lo, v56, v106, vcc_lo
	v_add_co_u32 v110, vcc_lo, v71, v76
	v_add_co_ci_u32_e32 v111, vcc_lo, v72, v78, vcc_lo
	v_ashrrev_i32_e32 v79, 31, v74
	v_add_co_u32 v112, vcc_lo, v55, v76
	v_add_nc_u32_e32 v19, s6, v16
	v_add_co_ci_u32_e32 v78, vcc_lo, v56, v78, vcc_lo
	v_add_co_u32 v113, vcc_lo, v71, v74
	v_add_nc_u32_e32 v80, 26, v9
	v_add_co_ci_u32_e32 v114, vcc_lo, v72, v79, vcc_lo
	v_add_nc_u32_e32 v22, s6, v19
	v_ashrrev_i32_e32 v83, 31, v73
	v_add_co_u32 v115, vcc_lo, v55, v74
	v_add_co_ci_u32_e32 v116, vcc_lo, v56, v79, vcc_lo
	v_add_co_u32 v117, vcc_lo, v71, v73
	v_mul_lo_u32 v80, s6, v80
	v_add_nc_u32_e32 v23, s6, v22
	v_add_nc_u32_e32 v81, 25, v9
	v_add_co_ci_u32_e32 v118, vcc_lo, v72, v83, vcc_lo
	v_ashrrev_i32_e32 v84, 31, v77
	v_add_co_u32 v119, vcc_lo, v55, v73
	v_add_co_ci_u32_e32 v120, vcc_lo, v56, v83, vcc_lo
	v_add_co_u32 v121, vcc_lo, v71, v77
	v_add_nc_u32_e32 v49, s6, v23
	v_mul_lo_u32 v81, s6, v81
	v_add_nc_u32_e32 v82, 24, v9
	v_add_co_ci_u32_e32 v122, vcc_lo, v72, v84, vcc_lo
	v_ashrrev_i32_e32 v90, 31, v80
	v_add_co_u32 v123, vcc_lo, v55, v77
	v_add_co_ci_u32_e32 v124, vcc_lo, v56, v84, vcc_lo
	v_add_nc_u32_e32 v50, s6, v49
	v_add_co_u32 v125, vcc_lo, v71, v80
	v_mul_lo_u32 v82, s6, v82
	v_add_nc_u32_e32 v85, 23, v9
	v_add_co_ci_u32_e32 v126, vcc_lo, v72, v90, vcc_lo
	v_ashrrev_i32_e32 v91, 31, v81
	v_add_co_u32 v127, vcc_lo, v55, v80
	v_add_nc_u32_e32 v51, s6, v50
	v_add_co_ci_u32_e32 v128, vcc_lo, v56, v90, vcc_lo
	v_add_co_u32 v129, vcc_lo, v71, v81
	v_mul_lo_u32 v85, s6, v85
	v_add_nc_u32_e32 v86, 22, v9
	v_add_co_ci_u32_e32 v130, vcc_lo, v72, v91, vcc_lo
	v_ashrrev_i32_e32 v92, 31, v82
	v_add_co_u32 v131, vcc_lo, v55, v81
	v_add_nc_u32_e32 v52, s6, v51
	v_add_co_ci_u32_e32 v132, vcc_lo, v56, v91, vcc_lo
	v_add_co_u32 v133, vcc_lo, v71, v82
	v_mul_lo_u32 v86, s6, v86
	v_add_nc_u32_e32 v87, 21, v9
	v_add_co_ci_u32_e32 v134, vcc_lo, v72, v92, vcc_lo
	v_add_nc_u32_e32 v53, s6, v52
	v_ashrrev_i32_e32 v93, 31, v85
	v_add_co_u32 v135, vcc_lo, v55, v82
	v_add_co_ci_u32_e32 v136, vcc_lo, v56, v92, vcc_lo
	v_add_co_u32 v137, vcc_lo, v71, v85
	v_mul_lo_u32 v87, s6, v87
	v_add_nc_u32_e32 v58, s6, v53
	v_add_nc_u32_e32 v88, 20, v9
	v_add_co_ci_u32_e32 v138, vcc_lo, v72, v93, vcc_lo
	v_ashrrev_i32_e32 v94, 31, v86
	v_add_co_u32 v139, vcc_lo, v55, v85
	v_add_co_ci_u32_e32 v140, vcc_lo, v56, v93, vcc_lo
	v_add_co_u32 v141, vcc_lo, v71, v86
	v_add_nc_u32_e32 v60, s6, v58
	v_mul_lo_u32 v88, s6, v88
	v_add_nc_u32_e32 v89, 19, v9
	v_add_co_ci_u32_e32 v142, vcc_lo, v72, v94, vcc_lo
	v_ashrrev_i32_e32 v95, 31, v87
	v_add_co_u32 v143, vcc_lo, v55, v86
	v_add_co_ci_u32_e32 v144, vcc_lo, v56, v94, vcc_lo
	v_add_nc_u32_e32 v63, s6, v60
	v_add_co_u32 v145, vcc_lo, v71, v87
	v_mul_lo_u32 v89, s6, v89
	v_add_co_ci_u32_e32 v146, vcc_lo, v72, v95, vcc_lo
	v_ashrrev_i32_e32 v96, 31, v88
	v_add_co_u32 v147, vcc_lo, v55, v87
	v_add_nc_u32_e32 v66, s6, v63
	v_add_co_ci_u32_e32 v148, vcc_lo, v56, v95, vcc_lo
	v_add_co_u32 v149, vcc_lo, v71, v88
	v_add_co_ci_u32_e32 v150, vcc_lo, v72, v96, vcc_lo
	v_ashrrev_i32_e32 v97, 31, v89
	v_add_co_u32 v151, vcc_lo, v55, v88
	v_add_nc_u32_e32 v70, s6, v66
	v_add_co_ci_u32_e32 v152, vcc_lo, v56, v96, vcc_lo
	v_add_co_u32 v153, vcc_lo, v71, v89
	v_add_co_ci_u32_e32 v154, vcc_lo, v72, v97, vcc_lo
	s_delay_alu instid0(VALU_DEP_4) | instskip(SKIP_3) | instid1(VALU_DEP_4)
	v_ashrrev_i32_e32 v98, 31, v70
	v_add_co_u32 v155, vcc_lo, v55, v89
	v_add_co_ci_u32_e32 v156, vcc_lo, v56, v97, vcc_lo
	v_add_co_u32 v157, vcc_lo, v71, v70
	v_add_co_ci_u32_e32 v158, vcc_lo, v72, v98, vcc_lo
	v_ashrrev_i32_e32 v67, 31, v66
	v_add_co_u32 v159, vcc_lo, v55, v70
	v_add_co_ci_u32_e32 v160, vcc_lo, v56, v98, vcc_lo
	v_add_co_u32 v161, vcc_lo, v71, v66
	s_delay_alu instid0(VALU_DEP_4) | instskip(SKIP_4) | instid1(VALU_DEP_4)
	v_add_co_ci_u32_e32 v162, vcc_lo, v72, v67, vcc_lo
	v_ashrrev_i32_e32 v65, 31, v63
	v_add_co_u32 v163, vcc_lo, v55, v66
	v_add_co_ci_u32_e32 v164, vcc_lo, v56, v67, vcc_lo
	v_add_co_u32 v165, vcc_lo, v71, v63
	v_add_co_ci_u32_e32 v166, vcc_lo, v72, v65, vcc_lo
	v_ashrrev_i32_e32 v64, 31, v60
	v_add_co_u32 v167, vcc_lo, v55, v63
	v_add_co_ci_u32_e32 v168, vcc_lo, v56, v65, vcc_lo
	v_add_co_u32 v169, vcc_lo, v71, v60
	s_delay_alu instid0(VALU_DEP_4) | instskip(SKIP_4) | instid1(VALU_DEP_4)
	v_add_co_ci_u32_e32 v170, vcc_lo, v72, v64, vcc_lo
	;; [unrolled: 11-line block ×7, first 2 shown]
	v_ashrrev_i32_e32 v104, 31, v15
	v_add_co_u32 v16, vcc_lo, v55, v16
	v_add_co_ci_u32_e32 v208, vcc_lo, v56, v103, vcc_lo
	v_add_co_u32 v209, vcc_lo, v71, v15
	v_add_co_ci_u32_e32 v210, vcc_lo, v72, v104, vcc_lo
	v_ashrrev_i32_e32 v105, 31, v14
	v_add_co_u32 v15, vcc_lo, v55, v15
	v_add_co_ci_u32_e32 v211, vcc_lo, v56, v104, vcc_lo
	v_and_b32_e32 v49, 30, v44
	v_add_co_u32 v212, vcc_lo, v71, v14
	v_add_co_ci_u32_e32 v213, vcc_lo, v72, v105, vcc_lo
	v_ashrrev_i32_e32 v107, 31, v11
	v_add_co_u32 v14, vcc_lo, v55, v14
	v_add_nc_u32_e32 v49, 2, v49
	v_xor_b32_e32 v50, 1, v44
	v_add_co_ci_u32_e32 v214, vcc_lo, v56, v105, vcc_lo
	v_add_co_u32 v215, vcc_lo, v71, v11
	v_add_co_ci_u32_e32 v216, vcc_lo, v72, v107, vcc_lo
	s_delay_alu instid0(VALU_DEP_4)
	v_cmp_lt_i32_e32 vcc_lo, v50, v49
	v_xor_b32_e32 v51, 4, v44
	v_xor_b32_e32 v52, 8, v44
	;; [unrolled: 1-line block ×3, first 2 shown]
	s_mul_i32 s22, s12, s4
	v_cndmask_b32_e32 v49, v44, v50, vcc_lo
	v_xor_b32_e32 v50, 2, v44
	v_add_co_u32 v11, vcc_lo, v55, v11
	v_add_co_ci_u32_e32 v217, vcc_lo, v56, v107, vcc_lo
	s_delay_alu instid0(VALU_DEP_3) | instskip(SKIP_1) | instid1(VALU_DEP_1)
	v_cmp_gt_i32_e32 vcc_lo, 32, v50
	v_add_co_u32 v8, s4, s22, v8
	v_add_co_ci_u32_e64 v61, null, s26, 0, s4
	v_cndmask_b32_e32 v50, v44, v50, vcc_lo
	v_cmp_gt_i32_e32 vcc_lo, 32, v51
	s_mov_b32 s11, s9
	v_lshlrev_b32_e32 v54, 1, v9
	s_lshl_b64 s[4:5], s[10:11], 1
	s_add_u32 s9, s20, s39
	v_cndmask_b32_e32 v51, v44, v51, vcc_lo
	v_cmp_gt_i32_e32 vcc_lo, 32, v52
	s_addc_u32 s11, s21, s40
	s_add_u32 s23, s42, s22
	s_addc_u32 s39, s43, s26
	v_dual_cndmask_b32 v52, v44, v52 :: v_dual_lshlrev_b32 v49, 2, v49
	v_cmp_gt_i32_e32 vcc_lo, 32, v53
	v_lshlrev_b32_e32 v50, 2, v50
	v_lshlrev_b32_e32 v51, 2, v51
	s_mul_i32 s15, s8, s6
	v_dual_cndmask_b32 v53, v44, v53 :: v_dual_lshlrev_b32 v52, 2, v52
	v_mul_lo_u32 v10, v10, s16
	s_mul_i32 s17, s8, s16
	s_mul_i32 s6, s10, s6
	s_delay_alu instid0(VALU_DEP_2) | instskip(NEXT) | instid1(VALU_DEP_2)
	v_lshlrev_b32_e32 v53, 2, v53
	v_add_nc_u32_e32 v59, s16, v10
	s_delay_alu instid0(VALU_DEP_1) | instskip(SKIP_1) | instid1(VALU_DEP_2)
	v_ashrrev_i32_e32 v60, 31, v59
	v_add_co_u32 v55, vcc_lo, v8, v59
	v_add_co_ci_u32_e32 v56, vcc_lo, v61, v60, vcc_lo
	s_delay_alu instid0(VALU_DEP_2) | instskip(NEXT) | instid1(VALU_DEP_2)
	v_add_co_u32 v55, vcc_lo, s42, v55
	v_add_co_ci_u32_e32 v56, vcc_lo, s43, v56, vcc_lo
	v_add_co_u32 v57, vcc_lo, s9, v12
	v_add_co_ci_u32_e32 v58, vcc_lo, s11, v13, vcc_lo
	;; [unrolled: 2-line block ×3, first 2 shown]
	v_ashrrev_i32_e32 v12, 31, v10
	v_add_co_u32 v59, vcc_lo, s23, v59
	v_add_co_ci_u32_e32 v60, vcc_lo, s39, v60, vcc_lo
	v_add_co_u32 v8, vcc_lo, v8, v10
	s_delay_alu instid0(VALU_DEP_4) | instskip(SKIP_2) | instid1(VALU_DEP_4)
	v_add_co_ci_u32_e32 v9, vcc_lo, v9, v12, vcc_lo
	v_add_co_u32 v13, vcc_lo, s9, v20
	v_add_co_ci_u32_e32 v20, vcc_lo, s11, v21, vcc_lo
	v_add_co_u32 v61, vcc_lo, s18, v8
	s_delay_alu instid0(VALU_DEP_4) | instskip(NEXT) | instid1(VALU_DEP_4)
	v_add_co_ci_u32_e32 v62, vcc_lo, s19, v9, vcc_lo
	v_add_co_u32 v63, vcc_lo, v13, 4
	s_delay_alu instid0(VALU_DEP_4)
	v_add_co_ci_u32_e32 v64, vcc_lo, 0, v20, vcc_lo
	v_add_co_u32 v8, vcc_lo, v68, s20
	v_add_co_ci_u32_e32 v9, vcc_lo, s21, v69, vcc_lo
	v_add_co_u32 v65, vcc_lo, s20, v17
	v_add_co_ci_u32_e32 v66, vcc_lo, s21, v18, vcc_lo
	s_add_u32 s9, s22, s27
	v_add_co_u32 v67, vcc_lo, v8, 4
	s_addc_u32 s11, s26, s33
	s_add_u32 s9, s18, s9
	v_add_co_ci_u32_e32 v68, vcc_lo, 0, v9, vcc_lo
	s_addc_u32 s11, s19, s11
	v_add_co_u32 v8, vcc_lo, s9, v10
	v_add_co_ci_u32_e32 v9, vcc_lo, s11, v12, vcc_lo
	v_add_co_u32 v10, vcc_lo, v108, s20
	v_add_co_ci_u32_e32 v12, vcc_lo, s21, v109, vcc_lo
	s_delay_alu instid0(VALU_DEP_4) | instskip(NEXT) | instid1(VALU_DEP_4)
	v_add_co_u32 v69, vcc_lo, v8, 60
	v_add_co_ci_u32_e32 v70, vcc_lo, 0, v9, vcc_lo
	s_delay_alu instid0(VALU_DEP_4) | instskip(NEXT) | instid1(VALU_DEP_4)
	v_add_co_u32 v71, vcc_lo, v10, 4
	v_add_co_ci_u32_e32 v72, vcc_lo, 0, v12, vcc_lo
	v_add_co_u32 v8, vcc_lo, v110, s20
	v_add_co_ci_u32_e32 v9, vcc_lo, s21, v111, vcc_lo
	v_add_co_u32 v73, vcc_lo, s20, v75
	v_add_co_ci_u32_e32 v74, vcc_lo, s21, v106, vcc_lo
	s_delay_alu instid0(VALU_DEP_4) | instskip(NEXT) | instid1(VALU_DEP_4)
	v_add_co_u32 v75, vcc_lo, v8, 4
	v_add_co_ci_u32_e32 v76, vcc_lo, 0, v9, vcc_lo
	v_add_co_u32 v8, vcc_lo, v113, s20
	v_add_co_ci_u32_e32 v9, vcc_lo, s21, v114, vcc_lo
	;; [unrolled: 7-line block ×22, first 2 shown]
	v_add_co_u32 v157, vcc_lo, s20, v191
	v_add_co_ci_u32_e32 v158, vcc_lo, s21, v192, vcc_lo
	v_mov_b32_e32 v192, 0
	v_add_co_u32 v159, vcc_lo, v8, 4
	v_add_co_ci_u32_e32 v160, vcc_lo, 0, v9, vcc_lo
	v_add_co_u32 v8, vcc_lo, v197, s20
	v_add_co_ci_u32_e32 v9, vcc_lo, s21, v198, vcc_lo
	v_add_co_u32 v161, vcc_lo, s20, v195
	v_add_co_ci_u32_e32 v162, vcc_lo, s21, v196, vcc_lo
	s_delay_alu instid0(VALU_DEP_4) | instskip(NEXT) | instid1(VALU_DEP_4)
	v_add_co_u32 v163, vcc_lo, v8, 4
	v_add_co_ci_u32_e32 v164, vcc_lo, 0, v9, vcc_lo
	v_add_co_u32 v8, vcc_lo, v200, s20
	v_add_co_ci_u32_e32 v9, vcc_lo, s21, v201, vcc_lo
	v_add_co_u32 v165, vcc_lo, s20, v23
	v_add_co_ci_u32_e32 v166, vcc_lo, s21, v199, vcc_lo
	s_delay_alu instid0(VALU_DEP_4) | instskip(NEXT) | instid1(VALU_DEP_4)
	v_add_co_u32 v167, vcc_lo, v8, 4
	v_add_co_ci_u32_e32 v168, vcc_lo, 0, v9, vcc_lo
	v_add_co_u32 v8, vcc_lo, v203, s20
	v_add_co_ci_u32_e32 v9, vcc_lo, s21, v204, vcc_lo
	v_add_co_u32 v169, vcc_lo, s20, v22
	v_add_co_ci_u32_e32 v170, vcc_lo, s21, v202, vcc_lo
	s_delay_alu instid0(VALU_DEP_4) | instskip(NEXT) | instid1(VALU_DEP_4)
	v_add_co_u32 v171, vcc_lo, v8, 4
	v_add_co_ci_u32_e32 v172, vcc_lo, 0, v9, vcc_lo
	v_add_co_u32 v8, vcc_lo, v206, s20
	v_add_co_ci_u32_e32 v9, vcc_lo, s21, v207, vcc_lo
	v_add_co_u32 v173, vcc_lo, s20, v19
	v_add_co_ci_u32_e32 v174, vcc_lo, s21, v205, vcc_lo
	s_delay_alu instid0(VALU_DEP_4) | instskip(NEXT) | instid1(VALU_DEP_4)
	v_add_co_u32 v175, vcc_lo, v8, 4
	v_add_co_ci_u32_e32 v176, vcc_lo, 0, v9, vcc_lo
	v_add_co_u32 v8, vcc_lo, v209, s20
	v_add_co_ci_u32_e32 v9, vcc_lo, s21, v210, vcc_lo
	v_add_co_u32 v177, vcc_lo, s20, v16
	v_add_co_ci_u32_e32 v178, vcc_lo, s21, v208, vcc_lo
	s_delay_alu instid0(VALU_DEP_4) | instskip(NEXT) | instid1(VALU_DEP_4)
	v_add_co_u32 v179, vcc_lo, v8, 4
	v_add_co_ci_u32_e32 v180, vcc_lo, 0, v9, vcc_lo
	v_add_co_u32 v8, vcc_lo, v212, s20
	v_add_co_ci_u32_e32 v9, vcc_lo, s21, v213, vcc_lo
	v_add_co_u32 v181, vcc_lo, s20, v15
	v_add_co_ci_u32_e32 v182, vcc_lo, s21, v211, vcc_lo
	s_delay_alu instid0(VALU_DEP_4) | instskip(NEXT) | instid1(VALU_DEP_4)
	v_add_co_u32 v183, vcc_lo, v8, 4
	v_add_co_ci_u32_e32 v184, vcc_lo, 0, v9, vcc_lo
	v_add_co_u32 v8, vcc_lo, v215, s20
	v_add_co_ci_u32_e32 v9, vcc_lo, s21, v216, vcc_lo
	v_add_co_u32 v185, vcc_lo, s20, v14
	v_add_co_ci_u32_e32 v186, vcc_lo, s21, v214, vcc_lo
	s_delay_alu instid0(VALU_DEP_4) | instskip(NEXT) | instid1(VALU_DEP_4)
	v_add_co_u32 v187, vcc_lo, v8, 4
	v_add_co_ci_u32_e32 v188, vcc_lo, 0, v9, vcc_lo
	v_add_co_u32 v189, vcc_lo, s20, v11
	v_add_co_ci_u32_e32 v190, vcc_lo, s21, v217, vcc_lo
	v_dual_mov_b32 v196, 0 :: v_dual_and_b32 v191, 4, v43
	v_dual_mov_b32 v8, 0xfeffffff :: v_dual_mov_b32 v197, 0
	s_mul_i32 s9, s10, s16
	s_mov_b32 s11, 0xbbbac73d
.LBB18_11:                              ; =>This Inner Loop Header: Depth=1
	v_add_co_u32 v9, vcc_lo, v69, s17
	v_add_co_ci_u32_e32 v10, vcc_lo, 0, v70, vcc_lo
	v_add_co_u32 v11, vcc_lo, v61, s17
	v_add_co_ci_u32_e32 v12, vcc_lo, 0, v62, vcc_lo
	global_load_b32 v15, v[9:10], off offset:-60
	s_clause 0x1
	global_load_b32 v13, v[11:12], off offset:4
	global_load_b32 v17, v[11:12], off offset:12
	s_waitcnt vmcnt(2)
	v_cvt_f32_f16_e32 v16, v15
	v_lshrrev_b32_e32 v15, 16, v15
	s_delay_alu instid0(VALU_DEP_1) | instskip(SKIP_3) | instid1(VALU_DEP_3)
	v_cvt_f32_f16_e32 v15, v15
	s_waitcnt vmcnt(1)
	v_and_b32_e32 v14, 0xf0f0f0f, v13
	v_lshrrev_b32_e32 v13, 4, v13
	v_mul_f32_e32 v15, v1, v15
	s_delay_alu instid0(VALU_DEP_3) | instskip(NEXT) | instid1(VALU_DEP_3)
	v_dot4_i32_iu8 v14, v14, v24, 0 neg_lo:[1,1,0]
	v_dual_mul_f32 v16, v0, v16 :: v_dual_and_b32 v13, 0xf0f0f0f, v13
	s_delay_alu instid0(VALU_DEP_3) | instskip(NEXT) | instid1(VALU_DEP_3)
	v_mul_f32_e32 v15, 0x3e000000, v15
	v_cvt_f32_i32_e32 v14, v14
	s_waitcnt vmcnt(0)
	v_and_b32_e32 v18, 0xf0f0f0f, v17
	v_dot4_i32_iu8 v13, v13, v26, 0 neg_lo:[1,1,0]
	s_delay_alu instid0(VALU_DEP_3) | instskip(NEXT) | instid1(VALU_DEP_3)
	v_fma_f32 v14, v16, v14, v15
	v_dot4_i32_iu8 v18, v18, v25, 0 neg_lo:[1,1,0]
	s_delay_alu instid0(VALU_DEP_3) | instskip(NEXT) | instid1(VALU_DEP_3)
	v_cvt_f32_i32_e32 v13, v13
	v_add_f32_e32 v14, 0, v14
	s_delay_alu instid0(VALU_DEP_3) | instskip(NEXT) | instid1(VALU_DEP_3)
	v_cvt_f32_i32_e32 v18, v18
	v_fma_f32 v13, v16, v13, v15
	s_delay_alu instid0(VALU_DEP_2) | instskip(NEXT) | instid1(VALU_DEP_1)
	v_fma_f32 v18, v16, v18, v15
	v_add_f32_e32 v14, v14, v18
	s_delay_alu instid0(VALU_DEP_1) | instskip(SKIP_1) | instid1(VALU_DEP_1)
	v_add_f32_e32 v13, v14, v13
	v_lshrrev_b32_e32 v14, 4, v17
	v_and_b32_e32 v14, 0xf0f0f0f, v14
	s_delay_alu instid0(VALU_DEP_1) | instskip(NEXT) | instid1(VALU_DEP_1)
	v_dot4_i32_iu8 v14, v14, v27, 0 neg_lo:[1,1,0]
	v_cvt_f32_i32_e32 v14, v14
	s_delay_alu instid0(VALU_DEP_1)
	v_fmac_f32_e32 v15, v16, v14
	global_load_b32 v16, v[9:10], off offset:-40
	global_load_b32 v14, v[11:12], off offset:24
	v_add_f32_e32 v13, v13, v15
	s_waitcnt vmcnt(1)
	v_cvt_f32_f16_e32 v17, v16
	v_lshrrev_b32_e32 v16, 16, v16
	s_delay_alu instid0(VALU_DEP_1) | instskip(SKIP_3) | instid1(VALU_DEP_3)
	v_cvt_f32_f16_e32 v16, v16
	s_waitcnt vmcnt(0)
	v_and_b32_e32 v15, 0xf0f0f0f, v14
	v_lshrrev_b32_e32 v14, 4, v14
	v_mul_f32_e32 v16, v3, v16
	s_delay_alu instid0(VALU_DEP_3) | instskip(NEXT) | instid1(VALU_DEP_3)
	v_dot4_i32_iu8 v15, v15, v28, 0 neg_lo:[1,1,0]
	v_dual_mul_f32 v17, v2, v17 :: v_dual_and_b32 v14, 0xf0f0f0f, v14
	s_delay_alu instid0(VALU_DEP_3) | instskip(NEXT) | instid1(VALU_DEP_3)
	v_mul_f32_e32 v16, 0x3e000000, v16
	v_cvt_f32_i32_e32 v15, v15
	s_delay_alu instid0(VALU_DEP_3) | instskip(NEXT) | instid1(VALU_DEP_2)
	v_dot4_i32_iu8 v14, v14, v30, 0 neg_lo:[1,1,0]
	v_fma_f32 v15, v17, v15, v16
	s_delay_alu instid0(VALU_DEP_2) | instskip(NEXT) | instid1(VALU_DEP_2)
	v_cvt_f32_i32_e32 v14, v14
	v_add_f32_e32 v13, v13, v15
	global_load_b32 v15, v[11:12], off offset:32
	v_fma_f32 v14, v17, v14, v16
	s_waitcnt vmcnt(0)
	v_and_b32_e32 v18, 0xf0f0f0f, v15
	s_delay_alu instid0(VALU_DEP_1) | instskip(NEXT) | instid1(VALU_DEP_1)
	v_dot4_i32_iu8 v18, v18, v29, 0 neg_lo:[1,1,0]
	v_cvt_f32_i32_e32 v18, v18
	s_delay_alu instid0(VALU_DEP_1) | instskip(NEXT) | instid1(VALU_DEP_1)
	v_fma_f32 v18, v17, v18, v16
	v_add_f32_e32 v13, v13, v18
	s_delay_alu instid0(VALU_DEP_1) | instskip(SKIP_1) | instid1(VALU_DEP_1)
	v_add_f32_e32 v13, v13, v14
	v_lshrrev_b32_e32 v14, 4, v15
	v_and_b32_e32 v14, 0xf0f0f0f, v14
	s_delay_alu instid0(VALU_DEP_1) | instskip(NEXT) | instid1(VALU_DEP_1)
	v_dot4_i32_iu8 v14, v14, v31, 0 neg_lo:[1,1,0]
	v_cvt_f32_i32_e32 v14, v14
	s_delay_alu instid0(VALU_DEP_1)
	v_fmac_f32_e32 v16, v17, v14
	global_load_b32 v14, v[11:12], off offset:44
	v_add_f32_e32 v13, v13, v16
	s_clause 0x1
	global_load_b32 v16, v[9:10], off offset:-20
	global_load_b32 v9, v[9:10], off
	s_waitcnt vmcnt(1)
	v_cvt_f32_f16_e32 v17, v16
	v_lshrrev_b32_e32 v16, 16, v16
	s_waitcnt vmcnt(0)
	v_cvt_f32_f16_e32 v10, v9
	v_lshrrev_b32_e32 v9, 16, v9
	v_mul_f32_e32 v17, v4, v17
	v_cvt_f32_f16_e32 v16, v16
	v_and_b32_e32 v15, 0xf0f0f0f, v14
	v_lshrrev_b32_e32 v14, 4, v14
	v_cvt_f32_f16_e32 v9, v9
	s_delay_alu instid0(VALU_DEP_4) | instskip(NEXT) | instid1(VALU_DEP_4)
	v_mul_f32_e32 v16, v5, v16
	v_dot4_i32_iu8 v15, v15, v32, 0 neg_lo:[1,1,0]
	s_delay_alu instid0(VALU_DEP_3) | instskip(SKIP_1) | instid1(VALU_DEP_4)
	v_dual_mul_f32 v9, v7, v9 :: v_dual_and_b32 v14, 0xf0f0f0f, v14
	v_mul_f32_e32 v10, v6, v10
	v_mul_f32_e32 v16, 0x3e000000, v16
	s_delay_alu instid0(VALU_DEP_4) | instskip(NEXT) | instid1(VALU_DEP_4)
	v_cvt_f32_i32_e32 v15, v15
	v_dot4_i32_iu8 v14, v14, v34, 0 neg_lo:[1,1,0]
	v_mul_f32_e32 v9, 0x3e000000, v9
	s_delay_alu instid0(VALU_DEP_3) | instskip(NEXT) | instid1(VALU_DEP_3)
	v_fma_f32 v15, v17, v15, v16
	v_cvt_f32_i32_e32 v14, v14
	s_delay_alu instid0(VALU_DEP_2) | instskip(SKIP_4) | instid1(VALU_DEP_1)
	v_add_f32_e32 v13, v13, v15
	global_load_b32 v15, v[11:12], off offset:52
	v_fma_f32 v14, v17, v14, v16
	s_waitcnt vmcnt(0)
	v_and_b32_e32 v18, 0xf0f0f0f, v15
	v_dot4_i32_iu8 v18, v18, v33, 0 neg_lo:[1,1,0]
	s_delay_alu instid0(VALU_DEP_1) | instskip(NEXT) | instid1(VALU_DEP_1)
	v_cvt_f32_i32_e32 v18, v18
	v_fma_f32 v18, v17, v18, v16
	s_delay_alu instid0(VALU_DEP_1) | instskip(NEXT) | instid1(VALU_DEP_1)
	v_add_f32_e32 v13, v13, v18
	v_add_f32_e32 v13, v13, v14
	v_lshrrev_b32_e32 v14, 4, v15
	s_delay_alu instid0(VALU_DEP_1) | instskip(NEXT) | instid1(VALU_DEP_1)
	v_and_b32_e32 v14, 0xf0f0f0f, v14
	v_dot4_i32_iu8 v14, v14, v35, 0 neg_lo:[1,1,0]
	s_delay_alu instid0(VALU_DEP_1) | instskip(NEXT) | instid1(VALU_DEP_1)
	v_cvt_f32_i32_e32 v14, v14
	v_fmac_f32_e32 v16, v17, v14
	s_clause 0x1
	global_load_b32 v14, v[11:12], off offset:64
	global_load_b32 v11, v[11:12], off offset:72
	s_waitcnt vmcnt(0)
	v_dual_add_f32 v13, v13, v16 :: v_dual_and_b32 v12, 0xf0f0f0f, v11
	v_lshrrev_b32_e32 v11, 4, v11
	s_delay_alu instid0(VALU_DEP_2) | instskip(NEXT) | instid1(VALU_DEP_2)
	v_dot4_i32_iu8 v12, v12, v37, 0 neg_lo:[1,1,0]
	v_and_b32_e32 v11, 0xf0f0f0f, v11
	s_delay_alu instid0(VALU_DEP_2) | instskip(NEXT) | instid1(VALU_DEP_2)
	v_cvt_f32_i32_e32 v12, v12
	v_dot4_i32_iu8 v11, v11, v39, 0 neg_lo:[1,1,0]
	s_delay_alu instid0(VALU_DEP_2) | instskip(SKIP_1) | instid1(VALU_DEP_3)
	v_fma_f32 v12, v10, v12, v9
	v_and_b32_e32 v15, 0xf0f0f0f, v14
	v_cvt_f32_i32_e32 v11, v11
	s_delay_alu instid0(VALU_DEP_2) | instskip(NEXT) | instid1(VALU_DEP_1)
	v_dot4_i32_iu8 v15, v15, v36, 0 neg_lo:[1,1,0]
	v_cvt_f32_i32_e32 v15, v15
	s_delay_alu instid0(VALU_DEP_1) | instskip(NEXT) | instid1(VALU_DEP_1)
	v_fma_f32 v15, v10, v15, v9
	v_add_f32_e32 v13, v13, v15
	s_delay_alu instid0(VALU_DEP_1) | instskip(SKIP_1) | instid1(VALU_DEP_1)
	v_add_f32_e32 v12, v13, v12
	v_lshrrev_b32_e32 v13, 4, v14
	v_and_b32_e32 v13, 0xf0f0f0f, v13
	s_delay_alu instid0(VALU_DEP_1) | instskip(NEXT) | instid1(VALU_DEP_1)
	v_dot4_i32_iu8 v13, v13, v38, 0 neg_lo:[1,1,0]
	v_cvt_f32_i32_e32 v13, v13
	s_delay_alu instid0(VALU_DEP_1) | instskip(NEXT) | instid1(VALU_DEP_1)
	v_fma_f32 v13, v10, v13, v9
	v_dual_fmac_f32 v9, v10, v11 :: v_dual_add_f32 v12, v12, v13
	s_delay_alu instid0(VALU_DEP_1) | instskip(SKIP_3) | instid1(VALU_DEP_1)
	v_add_f32_e32 v9, v12, v9
	ds_bpermute_b32 v10, v49, v9
	s_waitcnt lgkmcnt(0)
	v_add_f32_e32 v9, v9, v10
                                        ; implicit-def: $vgpr10
	v_cmp_ngt_f32_e64 s16, 0x3f200000, |v9|
	s_delay_alu instid0(VALU_DEP_1) | instskip(NEXT) | instid1(SALU_CYCLE_1)
	s_and_saveexec_b32 s18, s16
	s_xor_b32 s16, exec_lo, s18
	s_cbranch_execz .LBB18_13
; %bb.12:                               ;   in Loop: Header=BB18_11 Depth=1
	v_add_f32_e64 v10, |v9|, |v9|
	s_delay_alu instid0(VALU_DEP_1) | instskip(SKIP_1) | instid1(VALU_DEP_2)
	v_mul_f32_e32 v11, 0x3fb8aa3b, v10
	v_cmp_ngt_f32_e32 vcc_lo, 0xc2ce8ed0, v10
	v_rndne_f32_e32 v12, v11
	v_fma_f32 v13, 0x3fb8aa3b, v10, -v11
	s_delay_alu instid0(VALU_DEP_2) | instskip(NEXT) | instid1(VALU_DEP_2)
	v_sub_f32_e32 v11, v11, v12
	v_fmac_f32_e32 v13, 0x32a5705f, v10
	v_cvt_i32_f32_e32 v12, v12
	s_delay_alu instid0(VALU_DEP_2) | instskip(NEXT) | instid1(VALU_DEP_1)
	v_add_f32_e32 v11, v11, v13
	v_exp_f32_e32 v11, v11
	s_waitcnt_depctr 0xfff
	v_ldexp_f32 v11, v11, v12
	s_delay_alu instid0(VALU_DEP_1) | instskip(SKIP_1) | instid1(VALU_DEP_2)
	v_cndmask_b32_e32 v11, 0, v11, vcc_lo
	v_cmp_nlt_f32_e32 vcc_lo, 0x42b17218, v10
	v_cndmask_b32_e32 v10, 0x7f800000, v11, vcc_lo
	s_delay_alu instid0(VALU_DEP_1) | instskip(NEXT) | instid1(VALU_DEP_1)
	v_add_f32_e32 v10, 1.0, v10
	v_rcp_f32_e32 v10, v10
	s_waitcnt_depctr 0xfff
	v_fma_f32 v10, v10, -2.0, 1.0
.LBB18_13:                              ;   in Loop: Header=BB18_11 Depth=1
	s_and_not1_saveexec_b32 s16, s16
; %bb.14:                               ;   in Loop: Header=BB18_11 Depth=1
	v_mul_f32_e32 v10, v9, v9
	s_delay_alu instid0(VALU_DEP_1) | instskip(NEXT) | instid1(VALU_DEP_1)
	v_fmaak_f32 v11, s11, v10, 0x3ca908c9
	v_fmaak_f32 v11, v10, v11, 0xbd5c1c4e
	s_delay_alu instid0(VALU_DEP_1) | instskip(NEXT) | instid1(VALU_DEP_1)
	v_fmaak_f32 v11, v10, v11, 0x3e088382
	v_fmaak_f32 v11, v10, v11, 0xbeaaaa99
	s_delay_alu instid0(VALU_DEP_1) | instskip(NEXT) | instid1(VALU_DEP_1)
	v_mul_f32_e64 v11, |v9|, v11
	v_fma_f32 v10, v10, v11, |v9|
; %bb.15:                               ;   in Loop: Header=BB18_11 Depth=1
	s_or_b32 exec_lo, exec_lo, s16
	s_delay_alu instid0(VALU_DEP_1) | instskip(SKIP_1) | instid1(VALU_DEP_1)
	v_bfi_b32 v9, 0x7fffffff, v10, v9
	s_and_not1_b32 vcc_lo, exec_lo, s7
	v_mul_f32_e32 v9, s41, v9
	s_cbranch_vccnz .LBB18_17
; %bb.16:                               ;   in Loop: Header=BB18_11 Depth=1
	global_load_u16 v10, v[40:41], off offset:-2
	s_waitcnt vmcnt(0)
	v_fma_mix_f32 v9, v45, v10, v9 op_sel_hi:[0,1,0]
.LBB18_17:                              ;   in Loop: Header=BB18_11 Depth=1
	v_add_co_u32 v10, vcc_lo, v55, s17
	v_add_co_ci_u32_e32 v11, vcc_lo, 0, v56, vcc_lo
	v_add_co_u32 v12, vcc_lo, v59, s17
	v_add_co_ci_u32_e32 v13, vcc_lo, 0, v60, vcc_lo
	global_load_b32 v14, v[10:11], off offset:4
	global_load_b32 v15, v[12:13], off
	s_clause 0x1
	global_load_b32 v16, v[10:11], off offset:12
	global_load_b32 v17, v[10:11], off offset:24
	global_load_b32 v18, v[12:13], off offset:20
	s_clause 0x1
	global_load_b32 v19, v[10:11], off offset:32
	global_load_b32 v20, v[10:11], off offset:44
	global_load_b32 v21, v[12:13], off offset:40
	;; [unrolled: 4-line block ×3, first 2 shown]
	global_load_b32 v10, v[10:11], off offset:72
	s_waitcnt vmcnt(10)
	v_cvt_f32_f16_e32 v13, v15
	v_lshrrev_b32_e32 v15, 16, v15
	s_waitcnt vmcnt(7)
	v_cvt_f32_f16_e64 v195, v18
	v_lshrrev_b32_e32 v18, 16, v18
	s_waitcnt vmcnt(6)
	v_dual_mul_f32 v13, v0, v13 :: v_dual_and_b32 v198, 0xf0f0f0f, v19
	s_waitcnt vmcnt(4)
	v_cvt_f32_f16_e64 v200, v21
	v_lshrrev_b32_e32 v21, 16, v21
	v_cvt_f32_f16_e32 v15, v15
	v_and_b32_e32 v194, 0xf0f0f0f, v17
	v_cvt_f32_f16_e32 v18, v18
	v_and_b32_e32 v193, 0xf0f0f0f, v16
	;; [unrolled: 2-line block ×3, first 2 shown]
	v_mul_f32_e32 v15, v1, v15
	v_lshrrev_b32_e32 v14, 4, v14
	v_mul_f32_e32 v18, v3, v18
	v_dot4_i32_iu8 v193, v193, v25, 0 neg_lo:[1,1,0]
	v_dot4_i32_iu8 v11, v11, v24, 0 neg_lo:[1,1,0]
	v_mul_f32_e32 v15, 0x3e000000, v15
	v_lshrrev_b32_e32 v16, 4, v16
	v_mul_f32_e32 v18, 0x3e000000, v18
	v_cvt_f32_i32_e32 v193, v193
	v_cvt_f32_i32_e32 v11, v11
	s_waitcnt vmcnt(1)
	v_cvt_f32_f16_e64 v203, v12
	v_lshrrev_b32_e32 v12, 16, v12
	s_waitcnt vmcnt(0)
	v_dual_mul_f32 v195, v2, v195 :: v_dual_and_b32 v204, 0xf0f0f0f, v10
	v_fma_f32 v11, v13, v11, v15
	v_and_b32_e32 v14, 0xf0f0f0f, v14
	v_fma_f32 v193, v13, v193, v15
	v_lshrrev_b32_e32 v10, 4, v10
	v_lshrrev_b32_e32 v17, 4, v17
	v_add_f32_e32 v11, 0, v11
	v_dot4_i32_iu8 v14, v14, v26, 0 neg_lo:[1,1,0]
	v_and_b32_e32 v202, 0xf0f0f0f, v23
	v_cvt_f32_f16_e32 v12, v12
	s_delay_alu instid0(VALU_DEP_4) | instskip(NEXT) | instid1(VALU_DEP_4)
	v_dual_add_f32 v11, v11, v193 :: v_dual_and_b32 v10, 0xf0f0f0f, v10
	v_cvt_f32_i32_e32 v14, v14
	v_mul_f32_e32 v193, v4, v200
	v_dot4_i32_iu8 v194, v194, v28, 0 neg_lo:[1,1,0]
	v_dual_mul_f32 v12, v7, v12 :: v_dual_and_b32 v17, 0xf0f0f0f, v17
	s_delay_alu instid0(VALU_DEP_4) | instskip(SKIP_3) | instid1(VALU_DEP_4)
	v_fma_f32 v14, v13, v14, v15
	v_and_b32_e32 v16, 0xf0f0f0f, v16
	v_dot4_i32_iu8 v10, v10, v39, 0 neg_lo:[1,1,0]
	v_cvt_f32_i32_e32 v194, v194
	v_dual_mul_f32 v12, 0x3e000000, v12 :: v_dual_add_f32 v11, v11, v14
	s_delay_alu instid0(VALU_DEP_4) | instskip(NEXT) | instid1(VALU_DEP_4)
	v_dot4_i32_iu8 v16, v16, v27, 0 neg_lo:[1,1,0]
	v_cvt_f32_i32_e32 v10, v10
	v_and_b32_e32 v201, 0xf0f0f0f, v22
	v_lshrrev_b32_e32 v22, 4, v22
	v_lshrrev_b32_e32 v19, 4, v19
	v_cvt_f32_i32_e32 v16, v16
	v_dot4_i32_iu8 v198, v198, v29, 0 neg_lo:[1,1,0]
	v_lshrrev_b32_e32 v23, 4, v23
	s_delay_alu instid0(VALU_DEP_3) | instskip(SKIP_3) | instid1(VALU_DEP_4)
	v_fmac_f32_e32 v15, v13, v16
	v_dot4_i32_iu8 v16, v17, v30, 0 neg_lo:[1,1,0]
	v_fma_f32 v17, v195, v194, v18
	v_cvt_f32_i32_e32 v14, v198
	v_add_f32_e32 v11, v11, v15
	s_delay_alu instid0(VALU_DEP_4) | instskip(NEXT) | instid1(VALU_DEP_3)
	v_cvt_f32_i32_e32 v16, v16
	v_fma_f32 v14, v195, v14, v18
	s_delay_alu instid0(VALU_DEP_3) | instskip(SKIP_1) | instid1(VALU_DEP_4)
	v_add_f32_e32 v11, v11, v17
	v_and_b32_e32 v17, 0xf0f0f0f, v22
	v_fma_f32 v16, v195, v16, v18
	s_delay_alu instid0(VALU_DEP_3) | instskip(NEXT) | instid1(VALU_DEP_3)
	v_add_f32_e32 v11, v11, v14
	v_dot4_i32_iu8 v17, v17, v35, 0 neg_lo:[1,1,0]
	v_dot4_i32_iu8 v14, v202, v36, 0 neg_lo:[1,1,0]
	s_delay_alu instid0(VALU_DEP_3) | instskip(NEXT) | instid1(VALU_DEP_3)
	v_add_f32_e32 v11, v11, v16
	v_cvt_f32_i32_e32 v17, v17
	v_and_b32_e32 v19, 0xf0f0f0f, v19
	s_delay_alu instid0(VALU_DEP_4) | instskip(NEXT) | instid1(VALU_DEP_2)
	v_cvt_f32_i32_e32 v14, v14
	v_dot4_i32_iu8 v19, v19, v31, 0 neg_lo:[1,1,0]
	s_delay_alu instid0(VALU_DEP_1) | instskip(SKIP_2) | instid1(VALU_DEP_3)
	v_cvt_f32_i32_e32 v19, v19
	v_and_b32_e32 v199, 0xf0f0f0f, v20
	v_lshrrev_b32_e32 v20, 4, v20
	v_fmac_f32_e32 v18, v195, v19
	s_delay_alu instid0(VALU_DEP_3) | instskip(NEXT) | instid1(VALU_DEP_3)
	v_dot4_i32_iu8 v199, v199, v32, 0 neg_lo:[1,1,0]
	v_dual_mul_f32 v20, v5, v21 :: v_dual_and_b32 v15, 0xf0f0f0f, v20
	s_delay_alu instid0(VALU_DEP_3) | instskip(NEXT) | instid1(VALU_DEP_3)
	v_add_f32_e32 v11, v11, v18
	v_cvt_f32_i32_e32 v21, v199
	v_mul_f32_e32 v18, v6, v203
	v_dot4_i32_iu8 v13, v201, v33, 0 neg_lo:[1,1,0]
	v_mul_f32_e32 v20, 0x3e000000, v20
	v_dot4_i32_iu8 v15, v15, v34, 0 neg_lo:[1,1,0]
	s_delay_alu instid0(VALU_DEP_3) | instskip(NEXT) | instid1(VALU_DEP_3)
	v_cvt_f32_i32_e32 v13, v13
	v_fma_f32 v16, v193, v21, v20
	s_delay_alu instid0(VALU_DEP_3) | instskip(NEXT) | instid1(VALU_DEP_3)
	v_cvt_f32_i32_e32 v15, v15
	v_fma_f32 v13, v193, v13, v20
	s_delay_alu instid0(VALU_DEP_3) | instskip(NEXT) | instid1(VALU_DEP_3)
	v_add_f32_e32 v11, v11, v16
	v_fma_f32 v15, v193, v15, v20
	v_dot4_i32_iu8 v16, v204, v37, 0 neg_lo:[1,1,0]
	v_fmac_f32_e32 v20, v193, v17
	s_delay_alu instid0(VALU_DEP_4) | instskip(SKIP_1) | instid1(VALU_DEP_2)
	v_add_f32_e32 v11, v11, v13
	v_and_b32_e32 v13, 0xf0f0f0f, v23
	v_add_f32_e32 v11, v11, v15
	v_cvt_f32_i32_e32 v15, v16
	s_delay_alu instid0(VALU_DEP_3) | instskip(SKIP_1) | instid1(VALU_DEP_4)
	v_dot4_i32_iu8 v13, v13, v38, 0 neg_lo:[1,1,0]
	v_fma_f32 v14, v18, v14, v12
	v_add_f32_e32 v11, v11, v20
	s_delay_alu instid0(VALU_DEP_4) | instskip(NEXT) | instid1(VALU_DEP_4)
	v_fma_f32 v15, v18, v15, v12
	v_cvt_f32_i32_e32 v13, v13
	s_delay_alu instid0(VALU_DEP_3) | instskip(NEXT) | instid1(VALU_DEP_2)
	v_add_f32_e32 v11, v11, v14
	v_fma_f32 v13, v18, v13, v12
	s_delay_alu instid0(VALU_DEP_2) | instskip(NEXT) | instid1(VALU_DEP_1)
	v_dual_fmac_f32 v12, v18, v10 :: v_dual_add_f32 v11, v11, v15
	v_add_f32_e32 v11, v11, v13
	s_delay_alu instid0(VALU_DEP_1) | instskip(SKIP_3) | instid1(VALU_DEP_1)
	v_add_f32_e32 v10, v11, v12
	ds_bpermute_b32 v11, v49, v10
	s_waitcnt lgkmcnt(0)
	v_add_f32_e32 v10, v10, v11
                                        ; implicit-def: $vgpr11
	v_cmp_ngt_f32_e64 s16, 0x3f200000, |v10|
	s_delay_alu instid0(VALU_DEP_1) | instskip(NEXT) | instid1(SALU_CYCLE_1)
	s_and_saveexec_b32 s18, s16
	s_xor_b32 s16, exec_lo, s18
	s_cbranch_execz .LBB18_19
; %bb.18:                               ;   in Loop: Header=BB18_11 Depth=1
	v_add_f32_e64 v11, |v10|, |v10|
	s_delay_alu instid0(VALU_DEP_1) | instskip(SKIP_1) | instid1(VALU_DEP_2)
	v_mul_f32_e32 v12, 0x3fb8aa3b, v11
	v_cmp_ngt_f32_e32 vcc_lo, 0xc2ce8ed0, v11
	v_rndne_f32_e32 v13, v12
	v_fma_f32 v14, 0x3fb8aa3b, v11, -v12
	s_delay_alu instid0(VALU_DEP_2) | instskip(NEXT) | instid1(VALU_DEP_2)
	v_sub_f32_e32 v12, v12, v13
	v_fmac_f32_e32 v14, 0x32a5705f, v11
	v_cvt_i32_f32_e32 v13, v13
	s_delay_alu instid0(VALU_DEP_2) | instskip(NEXT) | instid1(VALU_DEP_1)
	v_add_f32_e32 v12, v12, v14
	v_exp_f32_e32 v12, v12
	s_waitcnt_depctr 0xfff
	v_ldexp_f32 v12, v12, v13
	s_delay_alu instid0(VALU_DEP_1) | instskip(SKIP_1) | instid1(VALU_DEP_2)
	v_cndmask_b32_e32 v12, 0, v12, vcc_lo
	v_cmp_nlt_f32_e32 vcc_lo, 0x42b17218, v11
	v_cndmask_b32_e32 v11, 0x7f800000, v12, vcc_lo
	s_delay_alu instid0(VALU_DEP_1) | instskip(NEXT) | instid1(VALU_DEP_1)
	v_add_f32_e32 v11, 1.0, v11
	v_rcp_f32_e32 v11, v11
	s_waitcnt_depctr 0xfff
	v_fma_f32 v11, v11, -2.0, 1.0
.LBB18_19:                              ;   in Loop: Header=BB18_11 Depth=1
	s_and_not1_saveexec_b32 s16, s16
; %bb.20:                               ;   in Loop: Header=BB18_11 Depth=1
	v_mul_f32_e32 v11, v10, v10
	s_delay_alu instid0(VALU_DEP_1) | instskip(NEXT) | instid1(VALU_DEP_1)
	v_fmaak_f32 v12, s11, v11, 0x3ca908c9
	v_fmaak_f32 v12, v11, v12, 0xbd5c1c4e
	s_delay_alu instid0(VALU_DEP_1) | instskip(NEXT) | instid1(VALU_DEP_1)
	v_fmaak_f32 v12, v11, v12, 0x3e088382
	v_fmaak_f32 v12, v11, v12, 0xbeaaaa99
	s_delay_alu instid0(VALU_DEP_1) | instskip(NEXT) | instid1(VALU_DEP_1)
	v_mul_f32_e64 v12, |v10|, v12
	v_fma_f32 v11, v11, v12, |v10|
; %bb.21:                               ;   in Loop: Header=BB18_11 Depth=1
	s_or_b32 exec_lo, exec_lo, s16
	s_delay_alu instid0(VALU_DEP_1) | instskip(SKIP_1) | instid1(VALU_DEP_1)
	v_bfi_b32 v10, 0x7fffffff, v11, v10
	s_and_not1_b32 vcc_lo, exec_lo, s7
	v_mul_f32_e32 v10, s41, v10
	s_cbranch_vccnz .LBB18_23
; %bb.22:                               ;   in Loop: Header=BB18_11 Depth=1
	global_load_u16 v11, v[40:41], off
	s_waitcnt vmcnt(0)
	v_fma_mix_f32 v10, v45, v11, v10 op_sel_hi:[0,1,0]
.LBB18_23:                              ;   in Loop: Header=BB18_11 Depth=1
	s_delay_alu instid0(VALU_DEP_1) | instskip(SKIP_2) | instid1(SALU_CYCLE_1)
	v_dual_add_f32 v11, 0x40051340, v9 :: v_dual_add_f32 v12, 0x40051340, v10
	v_cndmask_b32_e64 v9, v10, v9, s3
	s_add_i32 s8, s8, s10
	s_cmp_ge_i32 s8, s38
	s_delay_alu instid0(VALU_DEP_2) | instskip(SKIP_3) | instid1(VALU_DEP_1)
	v_max3_f32 v11, v8, v11, v12
	ds_bpermute_b32 v12, v50, v11
	s_waitcnt lgkmcnt(0)
	v_max_f32_e32 v12, v12, v12
	v_max_f32_e32 v11, v11, v12
	ds_bpermute_b32 v12, v51, v11
	s_waitcnt lgkmcnt(0)
	v_max_f32_e32 v12, v12, v12
	s_delay_alu instid0(VALU_DEP_1) | instskip(SKIP_3) | instid1(VALU_DEP_1)
	v_max_f32_e32 v11, v11, v12
	ds_bpermute_b32 v12, v52, v11
	s_waitcnt lgkmcnt(0)
	v_max_f32_e32 v12, v12, v12
	v_max_f32_e32 v11, v11, v12
	ds_bpermute_b32 v12, v53, v11
	s_waitcnt lgkmcnt(0)
	v_max_f32_e32 v12, v12, v12
	s_delay_alu instid0(VALU_DEP_1) | instskip(NEXT) | instid1(VALU_DEP_1)
	v_max_f32_e32 v194, v11, v12
	v_sub_f32_e32 v8, v8, v194
	s_delay_alu instid0(VALU_DEP_1) | instskip(SKIP_1) | instid1(VALU_DEP_2)
	v_mul_f32_e32 v10, 0x3fb8aa3b, v8
	v_cmp_ngt_f32_e32 vcc_lo, 0xc2ce8ed0, v8
	v_fma_f32 v11, 0x3fb8aa3b, v8, -v10
	v_rndne_f32_e32 v12, v10
	s_delay_alu instid0(VALU_DEP_2) | instskip(NEXT) | instid1(VALU_DEP_2)
	v_fmac_f32_e32 v11, 0x32a5705f, v8
	v_sub_f32_e32 v10, v10, v12
	s_delay_alu instid0(VALU_DEP_1) | instskip(SKIP_1) | instid1(VALU_DEP_2)
	v_add_f32_e32 v10, v10, v11
	v_cvt_i32_f32_e32 v11, v12
	v_exp_f32_e32 v10, v10
	s_waitcnt_depctr 0xfff
	v_ldexp_f32 v10, v10, v11
	s_delay_alu instid0(VALU_DEP_1) | instskip(SKIP_2) | instid1(VALU_DEP_3)
	v_cndmask_b32_e32 v10, 0, v10, vcc_lo
	v_cmp_nlt_f32_e32 vcc_lo, 0x42b17218, v8
	v_sub_f32_e32 v8, v9, v194
	v_cndmask_b32_e32 v195, 0x7f800000, v10, vcc_lo
	s_delay_alu instid0(VALU_DEP_2) | instskip(SKIP_1) | instid1(VALU_DEP_3)
	v_mul_f32_e32 v9, 0x3fb8aa3b, v8
	v_cmp_ngt_f32_e32 vcc_lo, 0xc2ce8ed0, v8
	v_cvt_f16_f32_e64 v202, v195
	s_delay_alu instid0(VALU_DEP_3) | instskip(SKIP_1) | instid1(VALU_DEP_1)
	v_fma_f32 v10, 0x3fb8aa3b, v8, -v9
	v_rndne_f32_e32 v11, v9
	v_dual_fmac_f32 v10, 0x32a5705f, v8 :: v_dual_sub_f32 v9, v9, v11
	s_delay_alu instid0(VALU_DEP_1) | instskip(SKIP_1) | instid1(VALU_DEP_2)
	v_add_f32_e32 v9, v9, v10
	v_cvt_i32_f32_e32 v10, v11
	v_exp_f32_e32 v9, v9
	s_waitcnt_depctr 0xfff
	v_ldexp_f32 v9, v9, v10
	s_delay_alu instid0(VALU_DEP_1) | instskip(SKIP_1) | instid1(VALU_DEP_2)
	v_cndmask_b32_e32 v9, 0, v9, vcc_lo
	v_cmp_nlt_f32_e32 vcc_lo, 0x42b17218, v8
	v_cndmask_b32_e32 v193, 0x7f800000, v9, vcc_lo
	v_add_co_u32 v198, vcc_lo, v57, s15
	v_add_co_ci_u32_e32 v199, vcc_lo, 0, v58, vcc_lo
	v_add_co_u32 v200, vcc_lo, v63, s15
	s_delay_alu instid0(VALU_DEP_4)
	v_cvt_f16_f32_e64 v8, v193
	v_add_co_ci_u32_e32 v201, vcc_lo, 0, v64, vcc_lo
	v_fmac_f32_e32 v193, v192, v195
	ds_store_b16 v47, v8
	ds_load_b128 v[20:23], v54
	ds_load_b128 v[16:19], v54 offset:16
	ds_load_b128 v[12:15], v54 offset:32
	;; [unrolled: 1-line block ×3, first 2 shown]
	global_load_b32 v200, v[200:201], off
	global_load_b32 v198, v[198:199], off
	s_waitcnt vmcnt(1)
	v_ashrrev_i32_e32 v200, v191, v200
	s_delay_alu instid0(VALU_DEP_1) | instskip(SKIP_3) | instid1(VALU_DEP_4)
	v_lshrrev_b32_e32 v203, 8, v200
	v_and_b32_e32 v201, 15, v200
	v_lshrrev_b32_e32 v204, 16, v200
	v_bfe_u32 v200, v200, 24, 4
	v_and_b32_e32 v203, 15, v203
	s_delay_alu instid0(VALU_DEP_4) | instskip(NEXT) | instid1(VALU_DEP_4)
	v_cvt_f16_u16_e64 v199, v201
	v_and_b32_e32 v204, 15, v204
	s_delay_alu instid0(VALU_DEP_4) | instskip(NEXT) | instid1(VALU_DEP_4)
	v_cvt_f16_u16_e64 v200, v200
	v_cvt_f16_u16_e64 v201, v203
	s_delay_alu instid0(VALU_DEP_1) | instskip(NEXT) | instid1(VALU_DEP_4)
	v_pack_b32_f16 v199, v199, v201
	v_cvt_f16_u16_e64 v201, v204
	s_waitcnt vmcnt(0)
	s_delay_alu instid0(VALU_DEP_2) | instskip(NEXT) | instid1(VALU_DEP_2)
	v_pk_fma_f16 v199, v198, v199, v198 op_sel:[0,0,1] op_sel_hi:[0,1,1]
	v_pack_b32_f16 v200, v201, v200
	s_waitcnt lgkmcnt(3)
	s_delay_alu instid0(VALU_DEP_2) | instskip(NEXT) | instid1(VALU_DEP_2)
	v_pk_mul_f16 v199, v20, v199 op_sel_hi:[0,1]
	v_pk_fma_f16 v198, v198, v200, v198 op_sel:[0,0,1] op_sel_hi:[0,1,1]
	s_delay_alu instid0(VALU_DEP_2) | instskip(NEXT) | instid1(VALU_DEP_2)
	v_pk_fma_f16 v200, v202, v196, v199 op_sel_hi:[0,1,1]
	v_pk_mul_f16 v196, v20, v198 op_sel_hi:[0,1]
	s_delay_alu instid0(VALU_DEP_1)
	v_pk_fma_f16 v201, v202, v197, v196 op_sel_hi:[0,1,1]
	v_add_co_u32 v196, vcc_lo, v65, s15
	v_add_co_ci_u32_e32 v197, vcc_lo, 0, v66, vcc_lo
	v_add_co_u32 v198, vcc_lo, v67, s15
	v_add_co_ci_u32_e32 v199, vcc_lo, 0, v68, vcc_lo
	global_load_b32 v196, v[196:197], off
	global_load_b32 v198, v[198:199], off
	s_waitcnt vmcnt(0)
	v_ashrrev_i32_e32 v198, v191, v198
	s_delay_alu instid0(VALU_DEP_1) | instskip(SKIP_3) | instid1(VALU_DEP_4)
	v_lshrrev_b32_e32 v202, 8, v198
	v_and_b32_e32 v199, 15, v198
	v_lshrrev_b32_e32 v203, 16, v198
	v_bfe_u32 v198, v198, 24, 4
	v_and_b32_e32 v202, 15, v202
	s_delay_alu instid0(VALU_DEP_4) | instskip(NEXT) | instid1(VALU_DEP_4)
	v_cvt_f16_u16_e64 v197, v199
	v_and_b32_e32 v203, 15, v203
	s_delay_alu instid0(VALU_DEP_4) | instskip(NEXT) | instid1(VALU_DEP_4)
	v_cvt_f16_u16_e64 v198, v198
	v_cvt_f16_u16_e64 v199, v202
	s_delay_alu instid0(VALU_DEP_1) | instskip(NEXT) | instid1(VALU_DEP_4)
	v_pack_b32_f16 v197, v197, v199
	v_cvt_f16_u16_e64 v199, v203
	s_delay_alu instid0(VALU_DEP_2) | instskip(NEXT) | instid1(VALU_DEP_2)
	v_pk_fma_f16 v197, v196, v197, v196 op_sel:[0,0,1] op_sel_hi:[0,1,1]
	v_pack_b32_f16 v198, v199, v198
	s_delay_alu instid0(VALU_DEP_2) | instskip(NEXT) | instid1(VALU_DEP_2)
	v_pk_fma_f16 v200, v20, v197, v200 op_sel:[1,0,0]
	v_pk_fma_f16 v196, v196, v198, v196 op_sel:[0,0,1] op_sel_hi:[0,1,1]
	s_delay_alu instid0(VALU_DEP_1)
	v_pk_fma_f16 v20, v20, v196, v201 op_sel:[1,0,0]
	v_add_co_u32 v196, vcc_lo, v189, s15
	v_add_co_ci_u32_e32 v197, vcc_lo, 0, v190, vcc_lo
	v_add_co_u32 v198, vcc_lo, v187, s15
	v_add_co_ci_u32_e32 v199, vcc_lo, 0, v188, vcc_lo
	global_load_b32 v196, v[196:197], off
	global_load_b32 v198, v[198:199], off
	s_waitcnt vmcnt(0)
	v_ashrrev_i32_e32 v198, v191, v198
	s_delay_alu instid0(VALU_DEP_1) | instskip(SKIP_3) | instid1(VALU_DEP_4)
	v_lshrrev_b32_e32 v201, 8, v198
	v_and_b32_e32 v199, 15, v198
	v_lshrrev_b32_e32 v202, 16, v198
	v_bfe_u32 v198, v198, 24, 4
	v_and_b32_e32 v201, 15, v201
	s_delay_alu instid0(VALU_DEP_4) | instskip(NEXT) | instid1(VALU_DEP_4)
	v_cvt_f16_u16_e64 v197, v199
	v_and_b32_e32 v202, 15, v202
	s_delay_alu instid0(VALU_DEP_4) | instskip(NEXT) | instid1(VALU_DEP_4)
	v_cvt_f16_u16_e64 v198, v198
	v_cvt_f16_u16_e64 v199, v201
	s_delay_alu instid0(VALU_DEP_1) | instskip(NEXT) | instid1(VALU_DEP_4)
	v_pack_b32_f16 v197, v197, v199
	v_cvt_f16_u16_e64 v199, v202
	s_delay_alu instid0(VALU_DEP_2) | instskip(NEXT) | instid1(VALU_DEP_2)
	v_pk_fma_f16 v197, v196, v197, v196 op_sel:[0,0,1] op_sel_hi:[0,1,1]
	v_pack_b32_f16 v198, v199, v198
	s_delay_alu instid0(VALU_DEP_2) | instskip(NEXT) | instid1(VALU_DEP_2)
	v_pk_fma_f16 v200, v21, v197, v200 op_sel_hi:[0,1,1]
	v_pk_fma_f16 v196, v196, v198, v196 op_sel:[0,0,1] op_sel_hi:[0,1,1]
	s_delay_alu instid0(VALU_DEP_1)
	v_pk_fma_f16 v20, v21, v196, v20 op_sel_hi:[0,1,1]
	v_add_co_u32 v196, vcc_lo, v185, s15
	v_add_co_ci_u32_e32 v197, vcc_lo, 0, v186, vcc_lo
	v_add_co_u32 v198, vcc_lo, v183, s15
	v_add_co_ci_u32_e32 v199, vcc_lo, 0, v184, vcc_lo
	global_load_b32 v196, v[196:197], off
	global_load_b32 v198, v[198:199], off
	s_waitcnt vmcnt(0)
	v_ashrrev_i32_e32 v198, v191, v198
	s_delay_alu instid0(VALU_DEP_1) | instskip(SKIP_3) | instid1(VALU_DEP_4)
	v_lshrrev_b32_e32 v201, 8, v198
	v_and_b32_e32 v199, 15, v198
	v_lshrrev_b32_e32 v202, 16, v198
	v_bfe_u32 v198, v198, 24, 4
	v_and_b32_e32 v201, 15, v201
	s_delay_alu instid0(VALU_DEP_4) | instskip(NEXT) | instid1(VALU_DEP_4)
	v_cvt_f16_u16_e64 v197, v199
	v_and_b32_e32 v202, 15, v202
	s_delay_alu instid0(VALU_DEP_4) | instskip(NEXT) | instid1(VALU_DEP_4)
	v_cvt_f16_u16_e64 v198, v198
	v_cvt_f16_u16_e64 v199, v201
	s_delay_alu instid0(VALU_DEP_1) | instskip(NEXT) | instid1(VALU_DEP_4)
	v_pack_b32_f16 v197, v197, v199
	v_cvt_f16_u16_e64 v199, v202
	s_delay_alu instid0(VALU_DEP_2) | instskip(NEXT) | instid1(VALU_DEP_2)
	v_pk_fma_f16 v197, v196, v197, v196 op_sel:[0,0,1] op_sel_hi:[0,1,1]
	v_pack_b32_f16 v198, v199, v198
	s_delay_alu instid0(VALU_DEP_1) | instskip(NEXT) | instid1(VALU_DEP_3)
	v_pk_fma_f16 v196, v196, v198, v196 op_sel:[0,0,1] op_sel_hi:[0,1,1]
	v_pk_fma_f16 v198, v21, v197, v200 op_sel:[1,0,0]
	s_delay_alu instid0(VALU_DEP_2)
	v_pk_fma_f16 v199, v21, v196, v20 op_sel:[1,0,0]
	v_add_co_u32 v20, vcc_lo, v181, s15
	v_add_co_ci_u32_e32 v21, vcc_lo, 0, v182, vcc_lo
	v_add_co_u32 v196, vcc_lo, v179, s15
	v_add_co_ci_u32_e32 v197, vcc_lo, 0, v180, vcc_lo
	global_load_b32 v20, v[20:21], off
	global_load_b32 v196, v[196:197], off
	s_waitcnt vmcnt(0)
	v_ashrrev_i32_e32 v196, v191, v196
	s_delay_alu instid0(VALU_DEP_1) | instskip(SKIP_3) | instid1(VALU_DEP_4)
	v_lshrrev_b32_e32 v200, 8, v196
	v_and_b32_e32 v197, 15, v196
	v_lshrrev_b32_e32 v201, 16, v196
	v_bfe_u32 v196, v196, 24, 4
	v_and_b32_e32 v200, 15, v200
	s_delay_alu instid0(VALU_DEP_4) | instskip(NEXT) | instid1(VALU_DEP_4)
	v_cvt_f16_u16_e64 v21, v197
	v_and_b32_e32 v201, 15, v201
	s_delay_alu instid0(VALU_DEP_4) | instskip(NEXT) | instid1(VALU_DEP_4)
	v_cvt_f16_u16_e64 v196, v196
	v_cvt_f16_u16_e64 v197, v200
	s_delay_alu instid0(VALU_DEP_1) | instskip(NEXT) | instid1(VALU_DEP_4)
	v_pack_b32_f16 v21, v21, v197
	v_cvt_f16_u16_e64 v197, v201
	s_delay_alu instid0(VALU_DEP_2) | instskip(NEXT) | instid1(VALU_DEP_2)
	v_pk_fma_f16 v21, v20, v21, v20 op_sel:[0,0,1] op_sel_hi:[0,1,1]
	v_pack_b32_f16 v196, v197, v196
	s_delay_alu instid0(VALU_DEP_2) | instskip(NEXT) | instid1(VALU_DEP_2)
	v_pk_fma_f16 v198, v22, v21, v198 op_sel_hi:[0,1,1]
	v_pk_fma_f16 v20, v20, v196, v20 op_sel:[0,0,1] op_sel_hi:[0,1,1]
	s_delay_alu instid0(VALU_DEP_1)
	v_pk_fma_f16 v199, v22, v20, v199 op_sel_hi:[0,1,1]
	v_add_co_u32 v20, vcc_lo, v177, s15
	v_add_co_ci_u32_e32 v21, vcc_lo, 0, v178, vcc_lo
	v_add_co_u32 v196, vcc_lo, v175, s15
	v_add_co_ci_u32_e32 v197, vcc_lo, 0, v176, vcc_lo
	global_load_b32 v20, v[20:21], off
	global_load_b32 v196, v[196:197], off
	s_waitcnt vmcnt(0)
	v_ashrrev_i32_e32 v196, v191, v196
	s_delay_alu instid0(VALU_DEP_1) | instskip(SKIP_3) | instid1(VALU_DEP_4)
	v_lshrrev_b32_e32 v200, 8, v196
	v_and_b32_e32 v197, 15, v196
	v_lshrrev_b32_e32 v201, 16, v196
	v_bfe_u32 v196, v196, 24, 4
	v_and_b32_e32 v200, 15, v200
	s_delay_alu instid0(VALU_DEP_4) | instskip(NEXT) | instid1(VALU_DEP_4)
	v_cvt_f16_u16_e64 v21, v197
	v_and_b32_e32 v201, 15, v201
	s_delay_alu instid0(VALU_DEP_4) | instskip(NEXT) | instid1(VALU_DEP_4)
	v_cvt_f16_u16_e64 v196, v196
	v_cvt_f16_u16_e64 v197, v200
	s_delay_alu instid0(VALU_DEP_1) | instskip(NEXT) | instid1(VALU_DEP_4)
	v_pack_b32_f16 v21, v21, v197
	v_cvt_f16_u16_e64 v197, v201
	s_delay_alu instid0(VALU_DEP_2) | instskip(NEXT) | instid1(VALU_DEP_2)
	v_pk_fma_f16 v21, v20, v21, v20 op_sel:[0,0,1] op_sel_hi:[0,1,1]
	v_pack_b32_f16 v196, v197, v196
	s_delay_alu instid0(VALU_DEP_2) | instskip(NEXT) | instid1(VALU_DEP_2)
	v_pk_fma_f16 v198, v22, v21, v198 op_sel:[1,0,0]
	v_pk_fma_f16 v20, v20, v196, v20 op_sel:[0,0,1] op_sel_hi:[0,1,1]
	s_delay_alu instid0(VALU_DEP_1)
	v_pk_fma_f16 v22, v22, v20, v199 op_sel:[1,0,0]
	v_add_co_u32 v20, vcc_lo, v173, s15
	v_add_co_ci_u32_e32 v21, vcc_lo, 0, v174, vcc_lo
	v_add_co_u32 v196, vcc_lo, v171, s15
	v_add_co_ci_u32_e32 v197, vcc_lo, 0, v172, vcc_lo
	global_load_b32 v20, v[20:21], off
	global_load_b32 v196, v[196:197], off
	s_waitcnt vmcnt(0)
	v_ashrrev_i32_e32 v196, v191, v196
	s_delay_alu instid0(VALU_DEP_1) | instskip(SKIP_3) | instid1(VALU_DEP_4)
	v_lshrrev_b32_e32 v199, 8, v196
	v_and_b32_e32 v197, 15, v196
	v_lshrrev_b32_e32 v200, 16, v196
	v_bfe_u32 v196, v196, 24, 4
	v_and_b32_e32 v199, 15, v199
	s_delay_alu instid0(VALU_DEP_4) | instskip(NEXT) | instid1(VALU_DEP_4)
	v_cvt_f16_u16_e64 v21, v197
	v_and_b32_e32 v200, 15, v200
	s_delay_alu instid0(VALU_DEP_4) | instskip(NEXT) | instid1(VALU_DEP_4)
	v_cvt_f16_u16_e64 v196, v196
	v_cvt_f16_u16_e64 v197, v199
	s_delay_alu instid0(VALU_DEP_1) | instskip(NEXT) | instid1(VALU_DEP_4)
	v_pack_b32_f16 v21, v21, v197
	v_cvt_f16_u16_e64 v197, v200
	s_delay_alu instid0(VALU_DEP_2) | instskip(NEXT) | instid1(VALU_DEP_2)
	v_pk_fma_f16 v21, v20, v21, v20 op_sel:[0,0,1] op_sel_hi:[0,1,1]
	v_pack_b32_f16 v196, v197, v196
	s_delay_alu instid0(VALU_DEP_2) | instskip(NEXT) | instid1(VALU_DEP_2)
	v_pk_fma_f16 v198, v23, v21, v198 op_sel_hi:[0,1,1]
	v_pk_fma_f16 v20, v20, v196, v20 op_sel:[0,0,1] op_sel_hi:[0,1,1]
	s_delay_alu instid0(VALU_DEP_1)
	v_pk_fma_f16 v22, v23, v20, v22 op_sel_hi:[0,1,1]
	v_add_co_u32 v20, vcc_lo, v169, s15
	v_add_co_ci_u32_e32 v21, vcc_lo, 0, v170, vcc_lo
	v_add_co_u32 v196, vcc_lo, v167, s15
	v_add_co_ci_u32_e32 v197, vcc_lo, 0, v168, vcc_lo
	global_load_b32 v20, v[20:21], off
	global_load_b32 v196, v[196:197], off
	s_waitcnt vmcnt(0)
	v_ashrrev_i32_e32 v196, v191, v196
	s_delay_alu instid0(VALU_DEP_1) | instskip(SKIP_3) | instid1(VALU_DEP_4)
	v_lshrrev_b32_e32 v199, 8, v196
	v_and_b32_e32 v197, 15, v196
	v_lshrrev_b32_e32 v200, 16, v196
	v_bfe_u32 v196, v196, 24, 4
	v_and_b32_e32 v199, 15, v199
	s_delay_alu instid0(VALU_DEP_4) | instskip(NEXT) | instid1(VALU_DEP_4)
	v_cvt_f16_u16_e64 v21, v197
	v_and_b32_e32 v200, 15, v200
	s_delay_alu instid0(VALU_DEP_4) | instskip(NEXT) | instid1(VALU_DEP_4)
	v_cvt_f16_u16_e64 v196, v196
	v_cvt_f16_u16_e64 v197, v199
	s_delay_alu instid0(VALU_DEP_1) | instskip(NEXT) | instid1(VALU_DEP_4)
	v_pack_b32_f16 v21, v21, v197
	v_cvt_f16_u16_e64 v197, v200
	s_delay_alu instid0(VALU_DEP_2) | instskip(NEXT) | instid1(VALU_DEP_2)
	v_pk_fma_f16 v21, v20, v21, v20 op_sel:[0,0,1] op_sel_hi:[0,1,1]
	v_pack_b32_f16 v196, v197, v196
	s_delay_alu instid0(VALU_DEP_1) | instskip(NEXT) | instid1(VALU_DEP_3)
	v_pk_fma_f16 v20, v20, v196, v20 op_sel:[0,0,1] op_sel_hi:[0,1,1]
	v_pk_fma_f16 v196, v23, v21, v198 op_sel:[1,0,0]
	s_delay_alu instid0(VALU_DEP_2)
	v_pk_fma_f16 v197, v23, v20, v22 op_sel:[1,0,0]
	v_add_co_u32 v20, vcc_lo, v165, s15
	v_add_co_ci_u32_e32 v21, vcc_lo, 0, v166, vcc_lo
	v_add_co_u32 v22, vcc_lo, v163, s15
	v_add_co_ci_u32_e32 v23, vcc_lo, 0, v164, vcc_lo
	global_load_b32 v20, v[20:21], off
	global_load_b32 v22, v[22:23], off
	s_waitcnt vmcnt(0)
	v_ashrrev_i32_e32 v22, v191, v22
	s_delay_alu instid0(VALU_DEP_1) | instskip(SKIP_3) | instid1(VALU_DEP_4)
	v_lshrrev_b32_e32 v198, 8, v22
	v_and_b32_e32 v23, 15, v22
	v_lshrrev_b32_e32 v199, 16, v22
	v_bfe_u32 v22, v22, 24, 4
	v_and_b32_e32 v198, 15, v198
	s_delay_alu instid0(VALU_DEP_4) | instskip(NEXT) | instid1(VALU_DEP_4)
	v_cvt_f16_u16_e32 v21, v23
	v_and_b32_e32 v199, 15, v199
	s_delay_alu instid0(VALU_DEP_4) | instskip(NEXT) | instid1(VALU_DEP_4)
	v_cvt_f16_u16_e32 v22, v22
	v_cvt_f16_u16_e64 v23, v198
	s_delay_alu instid0(VALU_DEP_1) | instskip(NEXT) | instid1(VALU_DEP_4)
	v_pack_b32_f16 v21, v21, v23
	v_cvt_f16_u16_e64 v23, v199
	s_delay_alu instid0(VALU_DEP_2) | instskip(NEXT) | instid1(VALU_DEP_2)
	v_pk_fma_f16 v21, v20, v21, v20 op_sel:[0,0,1] op_sel_hi:[0,1,1]
	v_pack_b32_f16 v22, v23, v22
	s_waitcnt lgkmcnt(2)
	s_delay_alu instid0(VALU_DEP_2) | instskip(NEXT) | instid1(VALU_DEP_2)
	v_pk_fma_f16 v196, v16, v21, v196 op_sel_hi:[0,1,1]
	v_pk_fma_f16 v20, v20, v22, v20 op_sel:[0,0,1] op_sel_hi:[0,1,1]
	s_delay_alu instid0(VALU_DEP_1)
	v_pk_fma_f16 v197, v16, v20, v197 op_sel_hi:[0,1,1]
	v_add_co_u32 v20, vcc_lo, v161, s15
	v_add_co_ci_u32_e32 v21, vcc_lo, 0, v162, vcc_lo
	v_add_co_u32 v22, vcc_lo, v159, s15
	v_add_co_ci_u32_e32 v23, vcc_lo, 0, v160, vcc_lo
	global_load_b32 v20, v[20:21], off
	global_load_b32 v22, v[22:23], off
	s_waitcnt vmcnt(0)
	v_ashrrev_i32_e32 v22, v191, v22
	s_delay_alu instid0(VALU_DEP_1) | instskip(SKIP_3) | instid1(VALU_DEP_4)
	v_lshrrev_b32_e32 v198, 8, v22
	v_and_b32_e32 v23, 15, v22
	v_lshrrev_b32_e32 v199, 16, v22
	v_bfe_u32 v22, v22, 24, 4
	v_and_b32_e32 v198, 15, v198
	s_delay_alu instid0(VALU_DEP_4) | instskip(NEXT) | instid1(VALU_DEP_4)
	v_cvt_f16_u16_e32 v21, v23
	v_and_b32_e32 v199, 15, v199
	s_delay_alu instid0(VALU_DEP_4) | instskip(NEXT) | instid1(VALU_DEP_4)
	v_cvt_f16_u16_e32 v22, v22
	v_cvt_f16_u16_e64 v23, v198
	s_delay_alu instid0(VALU_DEP_1) | instskip(NEXT) | instid1(VALU_DEP_4)
	v_pack_b32_f16 v21, v21, v23
	v_cvt_f16_u16_e64 v23, v199
	s_delay_alu instid0(VALU_DEP_2) | instskip(NEXT) | instid1(VALU_DEP_2)
	v_pk_fma_f16 v21, v20, v21, v20 op_sel:[0,0,1] op_sel_hi:[0,1,1]
	v_pack_b32_f16 v22, v23, v22
	s_delay_alu instid0(VALU_DEP_2) | instskip(NEXT) | instid1(VALU_DEP_2)
	v_pk_fma_f16 v196, v16, v21, v196 op_sel:[1,0,0]
	v_pk_fma_f16 v20, v20, v22, v20 op_sel:[0,0,1] op_sel_hi:[0,1,1]
	s_delay_alu instid0(VALU_DEP_1)
	v_pk_fma_f16 v16, v16, v20, v197 op_sel:[1,0,0]
	v_add_co_u32 v20, vcc_lo, v157, s15
	v_add_co_ci_u32_e32 v21, vcc_lo, 0, v158, vcc_lo
	v_add_co_u32 v22, vcc_lo, v155, s15
	v_add_co_ci_u32_e32 v23, vcc_lo, 0, v156, vcc_lo
	global_load_b32 v20, v[20:21], off
	global_load_b32 v22, v[22:23], off
	s_waitcnt vmcnt(0)
	v_ashrrev_i32_e32 v22, v191, v22
	s_delay_alu instid0(VALU_DEP_1) | instskip(SKIP_3) | instid1(VALU_DEP_4)
	v_lshrrev_b32_e32 v197, 8, v22
	v_and_b32_e32 v23, 15, v22
	v_lshrrev_b32_e32 v198, 16, v22
	v_bfe_u32 v22, v22, 24, 4
	v_and_b32_e32 v197, 15, v197
	s_delay_alu instid0(VALU_DEP_4) | instskip(NEXT) | instid1(VALU_DEP_4)
	v_cvt_f16_u16_e32 v21, v23
	v_and_b32_e32 v198, 15, v198
	s_delay_alu instid0(VALU_DEP_4) | instskip(NEXT) | instid1(VALU_DEP_4)
	v_cvt_f16_u16_e32 v22, v22
	v_cvt_f16_u16_e64 v23, v197
	s_delay_alu instid0(VALU_DEP_1) | instskip(NEXT) | instid1(VALU_DEP_4)
	v_pack_b32_f16 v21, v21, v23
	v_cvt_f16_u16_e64 v23, v198
	s_delay_alu instid0(VALU_DEP_2) | instskip(NEXT) | instid1(VALU_DEP_2)
	v_pk_fma_f16 v21, v20, v21, v20 op_sel:[0,0,1] op_sel_hi:[0,1,1]
	v_pack_b32_f16 v22, v23, v22
	s_delay_alu instid0(VALU_DEP_2) | instskip(NEXT) | instid1(VALU_DEP_2)
	v_pk_fma_f16 v196, v17, v21, v196 op_sel_hi:[0,1,1]
	v_pk_fma_f16 v20, v20, v22, v20 op_sel:[0,0,1] op_sel_hi:[0,1,1]
	s_delay_alu instid0(VALU_DEP_1)
	v_pk_fma_f16 v16, v17, v20, v16 op_sel_hi:[0,1,1]
	v_add_co_u32 v20, vcc_lo, v153, s15
	v_add_co_ci_u32_e32 v21, vcc_lo, 0, v154, vcc_lo
	v_add_co_u32 v22, vcc_lo, v151, s15
	v_add_co_ci_u32_e32 v23, vcc_lo, 0, v152, vcc_lo
	global_load_b32 v20, v[20:21], off
	global_load_b32 v22, v[22:23], off
	s_waitcnt vmcnt(0)
	v_ashrrev_i32_e32 v22, v191, v22
	s_delay_alu instid0(VALU_DEP_1) | instskip(SKIP_3) | instid1(VALU_DEP_4)
	v_lshrrev_b32_e32 v197, 8, v22
	v_and_b32_e32 v23, 15, v22
	v_lshrrev_b32_e32 v198, 16, v22
	v_bfe_u32 v22, v22, 24, 4
	v_and_b32_e32 v197, 15, v197
	s_delay_alu instid0(VALU_DEP_4) | instskip(NEXT) | instid1(VALU_DEP_4)
	v_cvt_f16_u16_e32 v21, v23
	v_and_b32_e32 v198, 15, v198
	s_delay_alu instid0(VALU_DEP_4) | instskip(NEXT) | instid1(VALU_DEP_4)
	v_cvt_f16_u16_e32 v22, v22
	v_cvt_f16_u16_e64 v23, v197
	s_delay_alu instid0(VALU_DEP_1) | instskip(NEXT) | instid1(VALU_DEP_4)
	v_pack_b32_f16 v21, v21, v23
	v_cvt_f16_u16_e64 v23, v198
	s_delay_alu instid0(VALU_DEP_2) | instskip(NEXT) | instid1(VALU_DEP_2)
	v_pk_fma_f16 v21, v20, v21, v20 op_sel:[0,0,1] op_sel_hi:[0,1,1]
	v_pack_b32_f16 v22, v23, v22
	s_delay_alu instid0(VALU_DEP_1) | instskip(NEXT) | instid1(VALU_DEP_3)
	v_pk_fma_f16 v20, v20, v22, v20 op_sel:[0,0,1] op_sel_hi:[0,1,1]
	v_pk_fma_f16 v22, v17, v21, v196 op_sel:[1,0,0]
	s_delay_alu instid0(VALU_DEP_2)
	v_pk_fma_f16 v23, v17, v20, v16 op_sel:[1,0,0]
	v_add_co_u32 v16, vcc_lo, v149, s15
	v_add_co_ci_u32_e32 v17, vcc_lo, 0, v150, vcc_lo
	v_add_co_u32 v20, vcc_lo, v147, s15
	v_add_co_ci_u32_e32 v21, vcc_lo, 0, v148, vcc_lo
	global_load_b32 v16, v[16:17], off
	global_load_b32 v20, v[20:21], off
	s_waitcnt vmcnt(0)
	v_ashrrev_i32_e32 v20, v191, v20
	s_delay_alu instid0(VALU_DEP_1) | instskip(SKIP_3) | instid1(VALU_DEP_4)
	v_lshrrev_b32_e32 v196, 8, v20
	v_and_b32_e32 v21, 15, v20
	v_lshrrev_b32_e32 v197, 16, v20
	v_bfe_u32 v20, v20, 24, 4
	v_and_b32_e32 v196, 15, v196
	s_delay_alu instid0(VALU_DEP_4) | instskip(NEXT) | instid1(VALU_DEP_4)
	v_cvt_f16_u16_e32 v17, v21
	v_and_b32_e32 v197, 15, v197
	s_delay_alu instid0(VALU_DEP_4) | instskip(NEXT) | instid1(VALU_DEP_4)
	v_cvt_f16_u16_e32 v20, v20
	v_cvt_f16_u16_e64 v21, v196
	s_delay_alu instid0(VALU_DEP_1) | instskip(NEXT) | instid1(VALU_DEP_4)
	v_pack_b32_f16 v17, v17, v21
	v_cvt_f16_u16_e64 v21, v197
	s_delay_alu instid0(VALU_DEP_2) | instskip(NEXT) | instid1(VALU_DEP_2)
	v_pk_fma_f16 v17, v16, v17, v16 op_sel:[0,0,1] op_sel_hi:[0,1,1]
	v_pack_b32_f16 v20, v21, v20
	s_delay_alu instid0(VALU_DEP_2) | instskip(NEXT) | instid1(VALU_DEP_2)
	v_pk_fma_f16 v22, v18, v17, v22 op_sel_hi:[0,1,1]
	v_pk_fma_f16 v16, v16, v20, v16 op_sel:[0,0,1] op_sel_hi:[0,1,1]
	s_delay_alu instid0(VALU_DEP_1)
	v_pk_fma_f16 v23, v18, v16, v23 op_sel_hi:[0,1,1]
	v_add_co_u32 v16, vcc_lo, v145, s15
	v_add_co_ci_u32_e32 v17, vcc_lo, 0, v146, vcc_lo
	v_add_co_u32 v20, vcc_lo, v143, s15
	v_add_co_ci_u32_e32 v21, vcc_lo, 0, v144, vcc_lo
	global_load_b32 v16, v[16:17], off
	global_load_b32 v20, v[20:21], off
	s_waitcnt vmcnt(0)
	v_ashrrev_i32_e32 v20, v191, v20
	s_delay_alu instid0(VALU_DEP_1) | instskip(SKIP_3) | instid1(VALU_DEP_4)
	v_lshrrev_b32_e32 v196, 8, v20
	v_and_b32_e32 v21, 15, v20
	v_lshrrev_b32_e32 v197, 16, v20
	v_bfe_u32 v20, v20, 24, 4
	v_and_b32_e32 v196, 15, v196
	s_delay_alu instid0(VALU_DEP_4) | instskip(NEXT) | instid1(VALU_DEP_4)
	v_cvt_f16_u16_e32 v17, v21
	v_and_b32_e32 v197, 15, v197
	s_delay_alu instid0(VALU_DEP_4) | instskip(NEXT) | instid1(VALU_DEP_4)
	v_cvt_f16_u16_e32 v20, v20
	v_cvt_f16_u16_e64 v21, v196
	s_delay_alu instid0(VALU_DEP_1) | instskip(NEXT) | instid1(VALU_DEP_4)
	v_pack_b32_f16 v17, v17, v21
	v_cvt_f16_u16_e64 v21, v197
	s_delay_alu instid0(VALU_DEP_2) | instskip(NEXT) | instid1(VALU_DEP_2)
	v_pk_fma_f16 v17, v16, v17, v16 op_sel:[0,0,1] op_sel_hi:[0,1,1]
	v_pack_b32_f16 v20, v21, v20
	s_delay_alu instid0(VALU_DEP_2) | instskip(NEXT) | instid1(VALU_DEP_2)
	v_pk_fma_f16 v22, v18, v17, v22 op_sel:[1,0,0]
	v_pk_fma_f16 v16, v16, v20, v16 op_sel:[0,0,1] op_sel_hi:[0,1,1]
	s_delay_alu instid0(VALU_DEP_1)
	v_pk_fma_f16 v18, v18, v16, v23 op_sel:[1,0,0]
	v_add_co_u32 v16, vcc_lo, v141, s15
	v_add_co_ci_u32_e32 v17, vcc_lo, 0, v142, vcc_lo
	v_add_co_u32 v20, vcc_lo, v139, s15
	v_add_co_ci_u32_e32 v21, vcc_lo, 0, v140, vcc_lo
	global_load_b32 v16, v[16:17], off
	global_load_b32 v20, v[20:21], off
	s_waitcnt vmcnt(0)
	v_ashrrev_i32_e32 v20, v191, v20
	s_delay_alu instid0(VALU_DEP_1) | instskip(SKIP_3) | instid1(VALU_DEP_4)
	v_lshrrev_b32_e32 v23, 8, v20
	v_and_b32_e32 v21, 15, v20
	v_lshrrev_b32_e32 v196, 16, v20
	v_bfe_u32 v20, v20, 24, 4
	v_and_b32_e32 v23, 15, v23
	s_delay_alu instid0(VALU_DEP_4) | instskip(NEXT) | instid1(VALU_DEP_4)
	v_cvt_f16_u16_e32 v17, v21
	v_and_b32_e32 v196, 15, v196
	s_delay_alu instid0(VALU_DEP_4) | instskip(NEXT) | instid1(VALU_DEP_4)
	v_cvt_f16_u16_e32 v20, v20
	v_cvt_f16_u16_e32 v21, v23
	s_delay_alu instid0(VALU_DEP_1) | instskip(NEXT) | instid1(VALU_DEP_4)
	v_pack_b32_f16 v17, v17, v21
	v_cvt_f16_u16_e64 v21, v196
	s_delay_alu instid0(VALU_DEP_2) | instskip(NEXT) | instid1(VALU_DEP_2)
	v_pk_fma_f16 v17, v16, v17, v16 op_sel:[0,0,1] op_sel_hi:[0,1,1]
	v_pack_b32_f16 v20, v21, v20
	s_delay_alu instid0(VALU_DEP_2) | instskip(NEXT) | instid1(VALU_DEP_2)
	v_pk_fma_f16 v22, v19, v17, v22 op_sel_hi:[0,1,1]
	v_pk_fma_f16 v16, v16, v20, v16 op_sel:[0,0,1] op_sel_hi:[0,1,1]
	s_delay_alu instid0(VALU_DEP_1)
	v_pk_fma_f16 v18, v19, v16, v18 op_sel_hi:[0,1,1]
	v_add_co_u32 v16, vcc_lo, v137, s15
	v_add_co_ci_u32_e32 v17, vcc_lo, 0, v138, vcc_lo
	v_add_co_u32 v20, vcc_lo, v135, s15
	v_add_co_ci_u32_e32 v21, vcc_lo, 0, v136, vcc_lo
	global_load_b32 v16, v[16:17], off
	global_load_b32 v20, v[20:21], off
	s_waitcnt vmcnt(0)
	v_ashrrev_i32_e32 v20, v191, v20
	s_delay_alu instid0(VALU_DEP_1) | instskip(SKIP_3) | instid1(VALU_DEP_4)
	v_lshrrev_b32_e32 v23, 8, v20
	v_and_b32_e32 v21, 15, v20
	v_lshrrev_b32_e32 v196, 16, v20
	v_bfe_u32 v20, v20, 24, 4
	v_and_b32_e32 v23, 15, v23
	s_delay_alu instid0(VALU_DEP_4) | instskip(NEXT) | instid1(VALU_DEP_4)
	v_cvt_f16_u16_e32 v17, v21
	v_and_b32_e32 v196, 15, v196
	s_delay_alu instid0(VALU_DEP_4) | instskip(NEXT) | instid1(VALU_DEP_4)
	v_cvt_f16_u16_e32 v20, v20
	v_cvt_f16_u16_e32 v21, v23
	s_delay_alu instid0(VALU_DEP_1) | instskip(NEXT) | instid1(VALU_DEP_4)
	v_pack_b32_f16 v17, v17, v21
	v_cvt_f16_u16_e64 v21, v196
	s_delay_alu instid0(VALU_DEP_2) | instskip(NEXT) | instid1(VALU_DEP_2)
	v_pk_fma_f16 v17, v16, v17, v16 op_sel:[0,0,1] op_sel_hi:[0,1,1]
	v_pack_b32_f16 v20, v21, v20
	s_delay_alu instid0(VALU_DEP_1) | instskip(NEXT) | instid1(VALU_DEP_3)
	v_pk_fma_f16 v16, v16, v20, v16 op_sel:[0,0,1] op_sel_hi:[0,1,1]
	v_pk_fma_f16 v20, v19, v17, v22 op_sel:[1,0,0]
	s_delay_alu instid0(VALU_DEP_2)
	v_pk_fma_f16 v21, v19, v16, v18 op_sel:[1,0,0]
	v_add_co_u32 v16, vcc_lo, v133, s15
	v_add_co_ci_u32_e32 v17, vcc_lo, 0, v134, vcc_lo
	v_add_co_u32 v18, vcc_lo, v131, s15
	v_add_co_ci_u32_e32 v19, vcc_lo, 0, v132, vcc_lo
	global_load_b32 v16, v[16:17], off
	global_load_b32 v18, v[18:19], off
	s_waitcnt vmcnt(0)
	v_ashrrev_i32_e32 v18, v191, v18
	s_delay_alu instid0(VALU_DEP_1) | instskip(SKIP_3) | instid1(VALU_DEP_4)
	v_lshrrev_b32_e32 v22, 8, v18
	v_and_b32_e32 v19, 15, v18
	v_lshrrev_b32_e32 v23, 16, v18
	v_bfe_u32 v18, v18, 24, 4
	v_and_b32_e32 v22, 15, v22
	s_delay_alu instid0(VALU_DEP_4) | instskip(NEXT) | instid1(VALU_DEP_4)
	v_cvt_f16_u16_e32 v17, v19
	v_and_b32_e32 v23, 15, v23
	s_delay_alu instid0(VALU_DEP_4) | instskip(NEXT) | instid1(VALU_DEP_4)
	v_cvt_f16_u16_e32 v18, v18
	v_cvt_f16_u16_e32 v19, v22
	s_delay_alu instid0(VALU_DEP_1) | instskip(NEXT) | instid1(VALU_DEP_4)
	v_pack_b32_f16 v17, v17, v19
	v_cvt_f16_u16_e32 v19, v23
	s_delay_alu instid0(VALU_DEP_2) | instskip(NEXT) | instid1(VALU_DEP_2)
	v_pk_fma_f16 v17, v16, v17, v16 op_sel:[0,0,1] op_sel_hi:[0,1,1]
	v_pack_b32_f16 v18, v19, v18
	s_waitcnt lgkmcnt(1)
	s_delay_alu instid0(VALU_DEP_2) | instskip(NEXT) | instid1(VALU_DEP_2)
	v_pk_fma_f16 v20, v12, v17, v20 op_sel_hi:[0,1,1]
	v_pk_fma_f16 v16, v16, v18, v16 op_sel:[0,0,1] op_sel_hi:[0,1,1]
	s_delay_alu instid0(VALU_DEP_1)
	v_pk_fma_f16 v21, v12, v16, v21 op_sel_hi:[0,1,1]
	v_add_co_u32 v16, vcc_lo, v129, s15
	v_add_co_ci_u32_e32 v17, vcc_lo, 0, v130, vcc_lo
	v_add_co_u32 v18, vcc_lo, v127, s15
	v_add_co_ci_u32_e32 v19, vcc_lo, 0, v128, vcc_lo
	global_load_b32 v16, v[16:17], off
	global_load_b32 v18, v[18:19], off
	s_waitcnt vmcnt(0)
	v_ashrrev_i32_e32 v18, v191, v18
	s_delay_alu instid0(VALU_DEP_1) | instskip(SKIP_3) | instid1(VALU_DEP_4)
	v_lshrrev_b32_e32 v22, 8, v18
	v_and_b32_e32 v19, 15, v18
	v_lshrrev_b32_e32 v23, 16, v18
	v_bfe_u32 v18, v18, 24, 4
	v_and_b32_e32 v22, 15, v22
	s_delay_alu instid0(VALU_DEP_4) | instskip(NEXT) | instid1(VALU_DEP_4)
	v_cvt_f16_u16_e32 v17, v19
	v_and_b32_e32 v23, 15, v23
	s_delay_alu instid0(VALU_DEP_4) | instskip(NEXT) | instid1(VALU_DEP_4)
	v_cvt_f16_u16_e32 v18, v18
	v_cvt_f16_u16_e32 v19, v22
	s_delay_alu instid0(VALU_DEP_1) | instskip(NEXT) | instid1(VALU_DEP_4)
	v_pack_b32_f16 v17, v17, v19
	v_cvt_f16_u16_e32 v19, v23
	s_delay_alu instid0(VALU_DEP_2) | instskip(NEXT) | instid1(VALU_DEP_2)
	v_pk_fma_f16 v17, v16, v17, v16 op_sel:[0,0,1] op_sel_hi:[0,1,1]
	v_pack_b32_f16 v18, v19, v18
	s_delay_alu instid0(VALU_DEP_2) | instskip(NEXT) | instid1(VALU_DEP_2)
	v_pk_fma_f16 v20, v12, v17, v20 op_sel:[1,0,0]
	v_pk_fma_f16 v16, v16, v18, v16 op_sel:[0,0,1] op_sel_hi:[0,1,1]
	s_delay_alu instid0(VALU_DEP_1)
	v_pk_fma_f16 v12, v12, v16, v21 op_sel:[1,0,0]
	v_add_co_u32 v16, vcc_lo, v125, s15
	v_add_co_ci_u32_e32 v17, vcc_lo, 0, v126, vcc_lo
	v_add_co_u32 v18, vcc_lo, v123, s15
	v_add_co_ci_u32_e32 v19, vcc_lo, 0, v124, vcc_lo
	global_load_b32 v16, v[16:17], off
	global_load_b32 v18, v[18:19], off
	s_waitcnt vmcnt(0)
	v_ashrrev_i32_e32 v18, v191, v18
	s_delay_alu instid0(VALU_DEP_1) | instskip(SKIP_3) | instid1(VALU_DEP_4)
	v_lshrrev_b32_e32 v21, 8, v18
	v_and_b32_e32 v19, 15, v18
	v_lshrrev_b32_e32 v22, 16, v18
	v_bfe_u32 v18, v18, 24, 4
	v_and_b32_e32 v21, 15, v21
	s_delay_alu instid0(VALU_DEP_4) | instskip(NEXT) | instid1(VALU_DEP_4)
	v_cvt_f16_u16_e32 v17, v19
	v_and_b32_e32 v22, 15, v22
	s_delay_alu instid0(VALU_DEP_4) | instskip(NEXT) | instid1(VALU_DEP_4)
	v_cvt_f16_u16_e32 v18, v18
	v_cvt_f16_u16_e32 v19, v21
	s_delay_alu instid0(VALU_DEP_1) | instskip(NEXT) | instid1(VALU_DEP_4)
	v_pack_b32_f16 v17, v17, v19
	v_cvt_f16_u16_e32 v19, v22
	s_delay_alu instid0(VALU_DEP_2) | instskip(NEXT) | instid1(VALU_DEP_2)
	v_pk_fma_f16 v17, v16, v17, v16 op_sel:[0,0,1] op_sel_hi:[0,1,1]
	v_pack_b32_f16 v18, v19, v18
	s_delay_alu instid0(VALU_DEP_2) | instskip(NEXT) | instid1(VALU_DEP_2)
	v_pk_fma_f16 v20, v13, v17, v20 op_sel_hi:[0,1,1]
	v_pk_fma_f16 v16, v16, v18, v16 op_sel:[0,0,1] op_sel_hi:[0,1,1]
	s_delay_alu instid0(VALU_DEP_1)
	v_pk_fma_f16 v12, v13, v16, v12 op_sel_hi:[0,1,1]
	v_add_co_u32 v16, vcc_lo, v121, s15
	v_add_co_ci_u32_e32 v17, vcc_lo, 0, v122, vcc_lo
	v_add_co_u32 v18, vcc_lo, v119, s15
	v_add_co_ci_u32_e32 v19, vcc_lo, 0, v120, vcc_lo
	global_load_b32 v16, v[16:17], off
	global_load_b32 v18, v[18:19], off
	s_waitcnt vmcnt(0)
	v_ashrrev_i32_e32 v18, v191, v18
	s_delay_alu instid0(VALU_DEP_1) | instskip(SKIP_3) | instid1(VALU_DEP_4)
	v_lshrrev_b32_e32 v21, 8, v18
	v_and_b32_e32 v19, 15, v18
	v_lshrrev_b32_e32 v22, 16, v18
	v_bfe_u32 v18, v18, 24, 4
	v_and_b32_e32 v21, 15, v21
	s_delay_alu instid0(VALU_DEP_4) | instskip(NEXT) | instid1(VALU_DEP_4)
	v_cvt_f16_u16_e32 v17, v19
	v_and_b32_e32 v22, 15, v22
	s_delay_alu instid0(VALU_DEP_4) | instskip(NEXT) | instid1(VALU_DEP_4)
	v_cvt_f16_u16_e32 v18, v18
	v_cvt_f16_u16_e32 v19, v21
	s_delay_alu instid0(VALU_DEP_1) | instskip(NEXT) | instid1(VALU_DEP_4)
	v_pack_b32_f16 v17, v17, v19
	v_cvt_f16_u16_e32 v19, v22
	s_delay_alu instid0(VALU_DEP_2) | instskip(NEXT) | instid1(VALU_DEP_2)
	v_pk_fma_f16 v17, v16, v17, v16 op_sel:[0,0,1] op_sel_hi:[0,1,1]
	v_pack_b32_f16 v18, v19, v18
	s_delay_alu instid0(VALU_DEP_1) | instskip(NEXT) | instid1(VALU_DEP_3)
	v_pk_fma_f16 v16, v16, v18, v16 op_sel:[0,0,1] op_sel_hi:[0,1,1]
	v_pk_fma_f16 v18, v13, v17, v20 op_sel:[1,0,0]
	s_delay_alu instid0(VALU_DEP_2)
	v_pk_fma_f16 v19, v13, v16, v12 op_sel:[1,0,0]
	v_add_co_u32 v12, vcc_lo, v117, s15
	v_add_co_ci_u32_e32 v13, vcc_lo, 0, v118, vcc_lo
	v_add_co_u32 v16, vcc_lo, v115, s15
	v_add_co_ci_u32_e32 v17, vcc_lo, 0, v116, vcc_lo
	global_load_b32 v12, v[12:13], off
	global_load_b32 v16, v[16:17], off
	s_waitcnt vmcnt(0)
	v_ashrrev_i32_e32 v16, v191, v16
	s_delay_alu instid0(VALU_DEP_1) | instskip(SKIP_3) | instid1(VALU_DEP_4)
	v_lshrrev_b32_e32 v20, 8, v16
	v_and_b32_e32 v17, 15, v16
	v_lshrrev_b32_e32 v21, 16, v16
	v_bfe_u32 v16, v16, 24, 4
	v_and_b32_e32 v20, 15, v20
	s_delay_alu instid0(VALU_DEP_4) | instskip(NEXT) | instid1(VALU_DEP_4)
	v_cvt_f16_u16_e32 v13, v17
	v_and_b32_e32 v21, 15, v21
	s_delay_alu instid0(VALU_DEP_4) | instskip(NEXT) | instid1(VALU_DEP_4)
	v_cvt_f16_u16_e32 v16, v16
	v_cvt_f16_u16_e32 v17, v20
	s_delay_alu instid0(VALU_DEP_1) | instskip(NEXT) | instid1(VALU_DEP_4)
	v_pack_b32_f16 v13, v13, v17
	v_cvt_f16_u16_e32 v17, v21
	s_delay_alu instid0(VALU_DEP_2) | instskip(NEXT) | instid1(VALU_DEP_2)
	v_pk_fma_f16 v13, v12, v13, v12 op_sel:[0,0,1] op_sel_hi:[0,1,1]
	v_pack_b32_f16 v16, v17, v16
	s_delay_alu instid0(VALU_DEP_2) | instskip(NEXT) | instid1(VALU_DEP_2)
	v_pk_fma_f16 v18, v14, v13, v18 op_sel_hi:[0,1,1]
	v_pk_fma_f16 v12, v12, v16, v12 op_sel:[0,0,1] op_sel_hi:[0,1,1]
	s_delay_alu instid0(VALU_DEP_1)
	v_pk_fma_f16 v19, v14, v12, v19 op_sel_hi:[0,1,1]
	v_add_co_u32 v12, vcc_lo, v113, s15
	v_add_co_ci_u32_e32 v13, vcc_lo, 0, v114, vcc_lo
	v_add_co_u32 v16, vcc_lo, v111, s15
	v_add_co_ci_u32_e32 v17, vcc_lo, 0, v112, vcc_lo
	global_load_b32 v12, v[12:13], off
	global_load_b32 v16, v[16:17], off
	s_waitcnt vmcnt(0)
	v_ashrrev_i32_e32 v16, v191, v16
	s_delay_alu instid0(VALU_DEP_1) | instskip(SKIP_3) | instid1(VALU_DEP_4)
	v_lshrrev_b32_e32 v20, 8, v16
	v_and_b32_e32 v17, 15, v16
	v_lshrrev_b32_e32 v21, 16, v16
	v_bfe_u32 v16, v16, 24, 4
	v_and_b32_e32 v20, 15, v20
	s_delay_alu instid0(VALU_DEP_4) | instskip(NEXT) | instid1(VALU_DEP_4)
	v_cvt_f16_u16_e32 v13, v17
	v_and_b32_e32 v21, 15, v21
	s_delay_alu instid0(VALU_DEP_4) | instskip(NEXT) | instid1(VALU_DEP_4)
	v_cvt_f16_u16_e32 v16, v16
	v_cvt_f16_u16_e32 v17, v20
	s_delay_alu instid0(VALU_DEP_1) | instskip(NEXT) | instid1(VALU_DEP_4)
	v_pack_b32_f16 v13, v13, v17
	v_cvt_f16_u16_e32 v17, v21
	s_delay_alu instid0(VALU_DEP_2) | instskip(NEXT) | instid1(VALU_DEP_2)
	v_pk_fma_f16 v13, v12, v13, v12 op_sel:[0,0,1] op_sel_hi:[0,1,1]
	v_pack_b32_f16 v16, v17, v16
	s_delay_alu instid0(VALU_DEP_2) | instskip(NEXT) | instid1(VALU_DEP_2)
	v_pk_fma_f16 v18, v14, v13, v18 op_sel:[1,0,0]
	v_pk_fma_f16 v12, v12, v16, v12 op_sel:[0,0,1] op_sel_hi:[0,1,1]
	s_delay_alu instid0(VALU_DEP_1)
	v_pk_fma_f16 v14, v14, v12, v19 op_sel:[1,0,0]
	v_add_co_u32 v12, vcc_lo, v109, s15
	v_add_co_ci_u32_e32 v13, vcc_lo, 0, v110, vcc_lo
	v_add_co_u32 v16, vcc_lo, v107, s15
	v_add_co_ci_u32_e32 v17, vcc_lo, 0, v108, vcc_lo
	global_load_b32 v12, v[12:13], off
	global_load_b32 v16, v[16:17], off
	s_waitcnt vmcnt(0)
	v_ashrrev_i32_e32 v16, v191, v16
	s_delay_alu instid0(VALU_DEP_1) | instskip(SKIP_3) | instid1(VALU_DEP_4)
	v_lshrrev_b32_e32 v19, 8, v16
	v_and_b32_e32 v17, 15, v16
	v_lshrrev_b32_e32 v20, 16, v16
	v_bfe_u32 v16, v16, 24, 4
	v_and_b32_e32 v19, 15, v19
	s_delay_alu instid0(VALU_DEP_4) | instskip(NEXT) | instid1(VALU_DEP_4)
	v_cvt_f16_u16_e32 v13, v17
	v_and_b32_e32 v20, 15, v20
	s_delay_alu instid0(VALU_DEP_4) | instskip(NEXT) | instid1(VALU_DEP_4)
	v_cvt_f16_u16_e32 v16, v16
	v_cvt_f16_u16_e32 v17, v19
	s_delay_alu instid0(VALU_DEP_1) | instskip(NEXT) | instid1(VALU_DEP_4)
	v_pack_b32_f16 v13, v13, v17
	v_cvt_f16_u16_e32 v17, v20
	s_delay_alu instid0(VALU_DEP_2) | instskip(NEXT) | instid1(VALU_DEP_2)
	v_pk_fma_f16 v13, v12, v13, v12 op_sel:[0,0,1] op_sel_hi:[0,1,1]
	v_pack_b32_f16 v16, v17, v16
	s_delay_alu instid0(VALU_DEP_2) | instskip(NEXT) | instid1(VALU_DEP_2)
	v_pk_fma_f16 v18, v15, v13, v18 op_sel_hi:[0,1,1]
	v_pk_fma_f16 v12, v12, v16, v12 op_sel:[0,0,1] op_sel_hi:[0,1,1]
	s_delay_alu instid0(VALU_DEP_1)
	v_pk_fma_f16 v14, v15, v12, v14 op_sel_hi:[0,1,1]
	v_add_co_u32 v12, vcc_lo, v105, s15
	v_add_co_ci_u32_e32 v13, vcc_lo, 0, v106, vcc_lo
	v_add_co_u32 v16, vcc_lo, v103, s15
	v_add_co_ci_u32_e32 v17, vcc_lo, 0, v104, vcc_lo
	global_load_b32 v12, v[12:13], off
	global_load_b32 v16, v[16:17], off
	s_waitcnt vmcnt(0)
	v_ashrrev_i32_e32 v16, v191, v16
	s_delay_alu instid0(VALU_DEP_1) | instskip(SKIP_3) | instid1(VALU_DEP_4)
	v_lshrrev_b32_e32 v19, 8, v16
	v_and_b32_e32 v17, 15, v16
	v_lshrrev_b32_e32 v20, 16, v16
	v_bfe_u32 v16, v16, 24, 4
	v_and_b32_e32 v19, 15, v19
	s_delay_alu instid0(VALU_DEP_4) | instskip(NEXT) | instid1(VALU_DEP_4)
	v_cvt_f16_u16_e32 v13, v17
	v_and_b32_e32 v20, 15, v20
	s_delay_alu instid0(VALU_DEP_4) | instskip(NEXT) | instid1(VALU_DEP_4)
	v_cvt_f16_u16_e32 v16, v16
	v_cvt_f16_u16_e32 v17, v19
	s_delay_alu instid0(VALU_DEP_1) | instskip(NEXT) | instid1(VALU_DEP_4)
	v_pack_b32_f16 v13, v13, v17
	v_cvt_f16_u16_e32 v17, v20
	s_delay_alu instid0(VALU_DEP_2) | instskip(NEXT) | instid1(VALU_DEP_2)
	v_pk_fma_f16 v13, v12, v13, v12 op_sel:[0,0,1] op_sel_hi:[0,1,1]
	v_pack_b32_f16 v16, v17, v16
	s_delay_alu instid0(VALU_DEP_1) | instskip(NEXT) | instid1(VALU_DEP_3)
	v_pk_fma_f16 v12, v12, v16, v12 op_sel:[0,0,1] op_sel_hi:[0,1,1]
	v_pk_fma_f16 v16, v15, v13, v18 op_sel:[1,0,0]
	s_delay_alu instid0(VALU_DEP_2)
	v_pk_fma_f16 v17, v15, v12, v14 op_sel:[1,0,0]
	v_add_co_u32 v12, vcc_lo, v101, s15
	v_add_co_ci_u32_e32 v13, vcc_lo, 0, v102, vcc_lo
	v_add_co_u32 v14, vcc_lo, v99, s15
	v_add_co_ci_u32_e32 v15, vcc_lo, 0, v100, vcc_lo
	global_load_b32 v12, v[12:13], off
	global_load_b32 v14, v[14:15], off
	s_waitcnt vmcnt(0)
	v_ashrrev_i32_e32 v14, v191, v14
	s_delay_alu instid0(VALU_DEP_1) | instskip(SKIP_3) | instid1(VALU_DEP_4)
	v_lshrrev_b32_e32 v18, 8, v14
	v_and_b32_e32 v15, 15, v14
	v_lshrrev_b32_e32 v19, 16, v14
	v_bfe_u32 v14, v14, 24, 4
	v_and_b32_e32 v18, 15, v18
	s_delay_alu instid0(VALU_DEP_4) | instskip(NEXT) | instid1(VALU_DEP_4)
	v_cvt_f16_u16_e32 v13, v15
	v_and_b32_e32 v19, 15, v19
	s_delay_alu instid0(VALU_DEP_4) | instskip(NEXT) | instid1(VALU_DEP_4)
	v_cvt_f16_u16_e32 v14, v14
	v_cvt_f16_u16_e32 v15, v18
	s_delay_alu instid0(VALU_DEP_1) | instskip(NEXT) | instid1(VALU_DEP_4)
	v_pack_b32_f16 v13, v13, v15
	v_cvt_f16_u16_e32 v15, v19
	s_delay_alu instid0(VALU_DEP_2) | instskip(NEXT) | instid1(VALU_DEP_2)
	v_pk_fma_f16 v13, v12, v13, v12 op_sel:[0,0,1] op_sel_hi:[0,1,1]
	v_pack_b32_f16 v14, v15, v14
	s_waitcnt lgkmcnt(0)
	s_delay_alu instid0(VALU_DEP_2) | instskip(NEXT) | instid1(VALU_DEP_2)
	v_pk_fma_f16 v16, v8, v13, v16 op_sel_hi:[0,1,1]
	v_pk_fma_f16 v12, v12, v14, v12 op_sel:[0,0,1] op_sel_hi:[0,1,1]
	s_delay_alu instid0(VALU_DEP_1)
	v_pk_fma_f16 v17, v8, v12, v17 op_sel_hi:[0,1,1]
	v_add_co_u32 v12, vcc_lo, v97, s15
	v_add_co_ci_u32_e32 v13, vcc_lo, 0, v98, vcc_lo
	v_add_co_u32 v14, vcc_lo, v95, s15
	v_add_co_ci_u32_e32 v15, vcc_lo, 0, v96, vcc_lo
	global_load_b32 v12, v[12:13], off
	global_load_b32 v14, v[14:15], off
	s_waitcnt vmcnt(0)
	v_ashrrev_i32_e32 v14, v191, v14
	s_delay_alu instid0(VALU_DEP_1) | instskip(SKIP_3) | instid1(VALU_DEP_4)
	v_lshrrev_b32_e32 v18, 8, v14
	v_and_b32_e32 v15, 15, v14
	v_lshrrev_b32_e32 v19, 16, v14
	v_bfe_u32 v14, v14, 24, 4
	v_and_b32_e32 v18, 15, v18
	s_delay_alu instid0(VALU_DEP_4) | instskip(NEXT) | instid1(VALU_DEP_4)
	v_cvt_f16_u16_e32 v13, v15
	v_and_b32_e32 v19, 15, v19
	s_delay_alu instid0(VALU_DEP_4) | instskip(NEXT) | instid1(VALU_DEP_4)
	v_cvt_f16_u16_e32 v14, v14
	v_cvt_f16_u16_e32 v15, v18
	s_delay_alu instid0(VALU_DEP_1) | instskip(NEXT) | instid1(VALU_DEP_4)
	v_pack_b32_f16 v13, v13, v15
	v_cvt_f16_u16_e32 v15, v19
	s_delay_alu instid0(VALU_DEP_2) | instskip(NEXT) | instid1(VALU_DEP_2)
	v_pk_fma_f16 v13, v12, v13, v12 op_sel:[0,0,1] op_sel_hi:[0,1,1]
	v_pack_b32_f16 v14, v15, v14
	s_delay_alu instid0(VALU_DEP_2) | instskip(NEXT) | instid1(VALU_DEP_2)
	v_pk_fma_f16 v16, v8, v13, v16 op_sel:[1,0,0]
	v_pk_fma_f16 v12, v12, v14, v12 op_sel:[0,0,1] op_sel_hi:[0,1,1]
	s_delay_alu instid0(VALU_DEP_1)
	v_pk_fma_f16 v8, v8, v12, v17 op_sel:[1,0,0]
	v_add_co_u32 v12, vcc_lo, v93, s15
	v_add_co_ci_u32_e32 v13, vcc_lo, 0, v94, vcc_lo
	v_add_co_u32 v14, vcc_lo, v91, s15
	v_add_co_ci_u32_e32 v15, vcc_lo, 0, v92, vcc_lo
	global_load_b32 v12, v[12:13], off
	global_load_b32 v14, v[14:15], off
	s_waitcnt vmcnt(0)
	v_ashrrev_i32_e32 v14, v191, v14
	s_delay_alu instid0(VALU_DEP_1) | instskip(SKIP_3) | instid1(VALU_DEP_4)
	v_lshrrev_b32_e32 v17, 8, v14
	v_and_b32_e32 v15, 15, v14
	v_lshrrev_b32_e32 v18, 16, v14
	v_bfe_u32 v14, v14, 24, 4
	v_and_b32_e32 v17, 15, v17
	s_delay_alu instid0(VALU_DEP_4) | instskip(NEXT) | instid1(VALU_DEP_4)
	v_cvt_f16_u16_e32 v13, v15
	v_and_b32_e32 v18, 15, v18
	s_delay_alu instid0(VALU_DEP_4) | instskip(NEXT) | instid1(VALU_DEP_4)
	v_cvt_f16_u16_e32 v14, v14
	v_cvt_f16_u16_e32 v15, v17
	s_delay_alu instid0(VALU_DEP_1) | instskip(NEXT) | instid1(VALU_DEP_4)
	v_pack_b32_f16 v13, v13, v15
	v_cvt_f16_u16_e32 v15, v18
	s_delay_alu instid0(VALU_DEP_2) | instskip(NEXT) | instid1(VALU_DEP_2)
	v_pk_fma_f16 v13, v12, v13, v12 op_sel:[0,0,1] op_sel_hi:[0,1,1]
	v_pack_b32_f16 v14, v15, v14
	s_delay_alu instid0(VALU_DEP_2) | instskip(NEXT) | instid1(VALU_DEP_2)
	v_pk_fma_f16 v16, v9, v13, v16 op_sel_hi:[0,1,1]
	v_pk_fma_f16 v12, v12, v14, v12 op_sel:[0,0,1] op_sel_hi:[0,1,1]
	s_delay_alu instid0(VALU_DEP_1)
	v_pk_fma_f16 v8, v9, v12, v8 op_sel_hi:[0,1,1]
	v_add_co_u32 v12, vcc_lo, v89, s15
	v_add_co_ci_u32_e32 v13, vcc_lo, 0, v90, vcc_lo
	v_add_co_u32 v14, vcc_lo, v87, s15
	v_add_co_ci_u32_e32 v15, vcc_lo, 0, v88, vcc_lo
	global_load_b32 v12, v[12:13], off
	global_load_b32 v14, v[14:15], off
	s_waitcnt vmcnt(0)
	v_ashrrev_i32_e32 v14, v191, v14
	s_delay_alu instid0(VALU_DEP_1) | instskip(SKIP_3) | instid1(VALU_DEP_4)
	v_lshrrev_b32_e32 v17, 8, v14
	v_and_b32_e32 v15, 15, v14
	v_lshrrev_b32_e32 v18, 16, v14
	v_bfe_u32 v14, v14, 24, 4
	v_and_b32_e32 v17, 15, v17
	s_delay_alu instid0(VALU_DEP_4) | instskip(NEXT) | instid1(VALU_DEP_4)
	v_cvt_f16_u16_e32 v13, v15
	v_and_b32_e32 v18, 15, v18
	s_delay_alu instid0(VALU_DEP_4) | instskip(NEXT) | instid1(VALU_DEP_4)
	v_cvt_f16_u16_e32 v14, v14
	v_cvt_f16_u16_e32 v15, v17
	s_delay_alu instid0(VALU_DEP_1) | instskip(NEXT) | instid1(VALU_DEP_4)
	v_pack_b32_f16 v13, v13, v15
	v_cvt_f16_u16_e32 v15, v18
	s_delay_alu instid0(VALU_DEP_2) | instskip(NEXT) | instid1(VALU_DEP_2)
	v_pk_fma_f16 v13, v12, v13, v12 op_sel:[0,0,1] op_sel_hi:[0,1,1]
	v_pack_b32_f16 v14, v15, v14
	s_delay_alu instid0(VALU_DEP_1) | instskip(NEXT) | instid1(VALU_DEP_3)
	v_pk_fma_f16 v12, v12, v14, v12 op_sel:[0,0,1] op_sel_hi:[0,1,1]
	v_pk_fma_f16 v14, v9, v13, v16 op_sel:[1,0,0]
	s_delay_alu instid0(VALU_DEP_2)
	v_pk_fma_f16 v15, v9, v12, v8 op_sel:[1,0,0]
	v_add_co_u32 v8, vcc_lo, v85, s15
	v_add_co_ci_u32_e32 v9, vcc_lo, 0, v86, vcc_lo
	v_add_co_u32 v12, vcc_lo, v83, s15
	v_add_co_ci_u32_e32 v13, vcc_lo, 0, v84, vcc_lo
	global_load_b32 v8, v[8:9], off
	global_load_b32 v12, v[12:13], off
	s_waitcnt vmcnt(0)
	v_ashrrev_i32_e32 v12, v191, v12
	s_delay_alu instid0(VALU_DEP_1) | instskip(SKIP_3) | instid1(VALU_DEP_4)
	v_lshrrev_b32_e32 v16, 8, v12
	v_and_b32_e32 v13, 15, v12
	v_lshrrev_b32_e32 v17, 16, v12
	v_bfe_u32 v12, v12, 24, 4
	v_and_b32_e32 v16, 15, v16
	s_delay_alu instid0(VALU_DEP_4) | instskip(NEXT) | instid1(VALU_DEP_4)
	v_cvt_f16_u16_e32 v9, v13
	v_and_b32_e32 v17, 15, v17
	s_delay_alu instid0(VALU_DEP_4) | instskip(NEXT) | instid1(VALU_DEP_4)
	v_cvt_f16_u16_e32 v12, v12
	v_cvt_f16_u16_e32 v13, v16
	s_delay_alu instid0(VALU_DEP_1) | instskip(NEXT) | instid1(VALU_DEP_4)
	v_pack_b32_f16 v9, v9, v13
	v_cvt_f16_u16_e32 v13, v17
	s_delay_alu instid0(VALU_DEP_2) | instskip(NEXT) | instid1(VALU_DEP_2)
	v_pk_fma_f16 v9, v8, v9, v8 op_sel:[0,0,1] op_sel_hi:[0,1,1]
	v_pack_b32_f16 v12, v13, v12
	s_delay_alu instid0(VALU_DEP_2) | instskip(NEXT) | instid1(VALU_DEP_2)
	v_pk_fma_f16 v14, v10, v9, v14 op_sel_hi:[0,1,1]
	v_pk_fma_f16 v8, v8, v12, v8 op_sel:[0,0,1] op_sel_hi:[0,1,1]
	s_delay_alu instid0(VALU_DEP_1)
	v_pk_fma_f16 v15, v10, v8, v15 op_sel_hi:[0,1,1]
	v_add_co_u32 v8, vcc_lo, v81, s15
	v_add_co_ci_u32_e32 v9, vcc_lo, 0, v82, vcc_lo
	v_add_co_u32 v12, vcc_lo, v79, s15
	v_add_co_ci_u32_e32 v13, vcc_lo, 0, v80, vcc_lo
	global_load_b32 v8, v[8:9], off
	global_load_b32 v12, v[12:13], off
	s_waitcnt vmcnt(0)
	v_ashrrev_i32_e32 v12, v191, v12
	s_delay_alu instid0(VALU_DEP_1) | instskip(SKIP_3) | instid1(VALU_DEP_4)
	v_lshrrev_b32_e32 v16, 8, v12
	v_and_b32_e32 v13, 15, v12
	v_lshrrev_b32_e32 v17, 16, v12
	v_bfe_u32 v12, v12, 24, 4
	v_and_b32_e32 v16, 15, v16
	s_delay_alu instid0(VALU_DEP_4) | instskip(NEXT) | instid1(VALU_DEP_4)
	v_cvt_f16_u16_e32 v9, v13
	v_and_b32_e32 v17, 15, v17
	s_delay_alu instid0(VALU_DEP_4) | instskip(NEXT) | instid1(VALU_DEP_4)
	v_cvt_f16_u16_e32 v12, v12
	v_cvt_f16_u16_e32 v13, v16
	s_delay_alu instid0(VALU_DEP_1) | instskip(NEXT) | instid1(VALU_DEP_4)
	v_pack_b32_f16 v9, v9, v13
	v_cvt_f16_u16_e32 v13, v17
	s_delay_alu instid0(VALU_DEP_2) | instskip(NEXT) | instid1(VALU_DEP_2)
	v_pk_fma_f16 v9, v8, v9, v8 op_sel:[0,0,1] op_sel_hi:[0,1,1]
	v_pack_b32_f16 v12, v13, v12
	s_delay_alu instid0(VALU_DEP_2) | instskip(NEXT) | instid1(VALU_DEP_2)
	v_pk_fma_f16 v14, v10, v9, v14 op_sel:[1,0,0]
	v_pk_fma_f16 v8, v8, v12, v8 op_sel:[0,0,1] op_sel_hi:[0,1,1]
	s_delay_alu instid0(VALU_DEP_1)
	v_pk_fma_f16 v10, v10, v8, v15 op_sel:[1,0,0]
	v_add_co_u32 v8, vcc_lo, v77, s15
	v_add_co_ci_u32_e32 v9, vcc_lo, 0, v78, vcc_lo
	v_add_co_u32 v12, vcc_lo, v75, s15
	v_add_co_ci_u32_e32 v13, vcc_lo, 0, v76, vcc_lo
	global_load_b32 v8, v[8:9], off
	global_load_b32 v12, v[12:13], off
	s_waitcnt vmcnt(0)
	v_ashrrev_i32_e32 v12, v191, v12
	s_delay_alu instid0(VALU_DEP_1) | instskip(SKIP_3) | instid1(VALU_DEP_4)
	v_lshrrev_b32_e32 v15, 8, v12
	v_and_b32_e32 v13, 15, v12
	v_lshrrev_b32_e32 v16, 16, v12
	v_bfe_u32 v12, v12, 24, 4
	v_and_b32_e32 v15, 15, v15
	s_delay_alu instid0(VALU_DEP_4) | instskip(NEXT) | instid1(VALU_DEP_4)
	v_cvt_f16_u16_e32 v9, v13
	v_and_b32_e32 v16, 15, v16
	s_delay_alu instid0(VALU_DEP_4) | instskip(NEXT) | instid1(VALU_DEP_4)
	v_cvt_f16_u16_e32 v12, v12
	v_cvt_f16_u16_e32 v13, v15
	v_add_co_u32 v15, vcc_lo, v73, s15
	s_delay_alu instid0(VALU_DEP_2) | instskip(SKIP_2) | instid1(VALU_DEP_3)
	v_pack_b32_f16 v9, v9, v13
	v_cvt_f16_u16_e32 v13, v16
	v_add_co_ci_u32_e32 v16, vcc_lo, 0, v74, vcc_lo
	v_pk_fma_f16 v9, v8, v9, v8 op_sel:[0,0,1] op_sel_hi:[0,1,1]
	s_delay_alu instid0(VALU_DEP_3) | instskip(SKIP_3) | instid1(VALU_DEP_2)
	v_pack_b32_f16 v12, v13, v12
	global_load_b32 v15, v[15:16], off
	v_pk_fma_f16 v12, v8, v12, v8 op_sel:[0,0,1] op_sel_hi:[0,1,1]
	v_pk_fma_f16 v8, v11, v9, v14 op_sel_hi:[0,1,1]
	v_pk_fma_f16 v9, v11, v12, v10 op_sel_hi:[0,1,1]
	v_add_co_u32 v12, vcc_lo, v71, s15
	v_add_co_ci_u32_e32 v13, vcc_lo, 0, v72, vcc_lo
	v_add_co_u32 v55, vcc_lo, v55, s9
	v_add_co_ci_u32_e32 v56, vcc_lo, 0, v56, vcc_lo
	global_load_b32 v10, v[12:13], off
	v_add_co_u32 v40, vcc_lo, v40, s4
	v_add_co_ci_u32_e32 v41, vcc_lo, s5, v41, vcc_lo
	v_add_co_u32 v57, vcc_lo, v57, s6
	v_add_co_ci_u32_e32 v58, vcc_lo, 0, v58, vcc_lo
	;; [unrolled: 2-line block ×68, first 2 shown]
	s_waitcnt vmcnt(0)
	v_ashrrev_i32_e32 v12, v191, v10
	s_delay_alu instid0(VALU_DEP_1) | instskip(SKIP_1) | instid1(VALU_DEP_2)
	v_lshrrev_b32_e32 v10, 8, v12
	v_and_b32_e32 v13, 15, v12
	v_and_b32_e32 v14, 15, v10
	v_lshrrev_b32_e32 v10, 16, v12
	v_bfe_u32 v12, v12, 24, 4
	s_delay_alu instid0(VALU_DEP_4) | instskip(NEXT) | instid1(VALU_DEP_4)
	v_cvt_f16_u16_e32 v13, v13
	v_cvt_f16_u16_e32 v14, v14
	s_delay_alu instid0(VALU_DEP_4) | instskip(NEXT) | instid1(VALU_DEP_4)
	v_and_b32_e32 v10, 15, v10
	v_cvt_f16_u16_e32 v12, v12
	s_delay_alu instid0(VALU_DEP_3) | instskip(NEXT) | instid1(VALU_DEP_3)
	v_pack_b32_f16 v13, v13, v14
	v_cvt_f16_u16_e32 v10, v10
	s_delay_alu instid0(VALU_DEP_2) | instskip(NEXT) | instid1(VALU_DEP_2)
	v_pk_fma_f16 v13, v15, v13, v15 op_sel:[0,0,1] op_sel_hi:[0,1,1]
	v_pack_b32_f16 v10, v10, v12
	s_delay_alu instid0(VALU_DEP_2) | instskip(NEXT) | instid1(VALU_DEP_2)
	v_pk_fma_f16 v196, v11, v13, v8 op_sel:[1,0,0]
	v_pk_fma_f16 v10, v15, v10, v15 op_sel:[0,0,1] op_sel_hi:[0,1,1]
	s_delay_alu instid0(VALU_DEP_1)
	v_pk_fma_f16 v197, v11, v10, v9 op_sel:[1,0,0]
	s_cbranch_scc1 .LBB18_25
; %bb.24:                               ;   in Loop: Header=BB18_11 Depth=1
	v_mov_b32_e32 v8, v194
	v_mov_b32_e32 v192, v193
	s_branch .LBB18_11
.LBB18_25:
	v_or_b32_e32 v0, s14, v42
	s_cmp_lg_u64 s[24:25], 0
	s_cselect_b32 s3, -1, 0
	s_delay_alu instid0(VALU_DEP_1) | instskip(SKIP_1) | instid1(SALU_CYCLE_1)
	v_cmp_eq_u32_e32 vcc_lo, 0, v0
	s_and_b32 s4, vcc_lo, s3
	s_and_saveexec_b32 s3, s4
	s_cbranch_execz .LBB18_27
; %bb.26:
	s_lshl_b64 s[4:5], s[36:37], 2
	v_max_f32_e32 v0, v194, v194
	s_add_u32 s4, s24, s4
	s_addc_u32 s5, s25, s5
	s_load_b32 s4, s[4:5], 0x0
	s_waitcnt lgkmcnt(0)
	v_max_f32_e64 v1, s4, s4
	s_delay_alu instid0(VALU_DEP_1) | instskip(NEXT) | instid1(VALU_DEP_1)
	v_max_f32_e32 v0, v1, v0
	v_sub_f32_e32 v1, s4, v0
	s_delay_alu instid0(VALU_DEP_1) | instskip(NEXT) | instid1(VALU_DEP_1)
	v_mul_f32_e32 v3, 0x3fb8aa3b, v1
	v_fma_f32 v5, 0x3fb8aa3b, v1, -v3
	v_rndne_f32_e32 v6, v3
	s_delay_alu instid0(VALU_DEP_2) | instskip(NEXT) | instid1(VALU_DEP_2)
	v_dual_fmac_f32 v5, 0x32a5705f, v1 :: v_dual_sub_f32 v2, v194, v0
	v_dual_sub_f32 v3, v3, v6 :: v_dual_mov_b32 v194, v0
	s_delay_alu instid0(VALU_DEP_2) | instskip(SKIP_1) | instid1(VALU_DEP_2)
	v_mul_f32_e32 v4, 0x3fb8aa3b, v2
	v_cmp_ngt_f32_e32 vcc_lo, 0xc2ce8ed0, v1
	v_fma_f32 v7, 0x3fb8aa3b, v2, -v4
	v_rndne_f32_e32 v8, v4
	s_delay_alu instid0(VALU_DEP_1) | instskip(SKIP_3) | instid1(VALU_DEP_4)
	v_dual_fmac_f32 v7, 0x32a5705f, v2 :: v_dual_sub_f32 v4, v4, v8
	v_add_f32_e32 v3, v3, v5
	v_cvt_i32_f32_e32 v5, v6
	v_cvt_i32_f32_e32 v6, v8
	v_add_f32_e32 v4, v4, v7
	s_delay_alu instid0(VALU_DEP_4) | instskip(NEXT) | instid1(VALU_DEP_1)
	v_exp_f32_e32 v3, v3
	v_exp_f32_e32 v4, v4
	s_waitcnt_depctr 0xfff
	v_ldexp_f32 v3, v3, v5
	v_ldexp_f32 v4, v4, v6
	s_delay_alu instid0(VALU_DEP_2) | instskip(SKIP_1) | instid1(VALU_DEP_3)
	v_cndmask_b32_e32 v3, 0, v3, vcc_lo
	v_cmp_ngt_f32_e32 vcc_lo, 0xc2ce8ed0, v2
	v_cndmask_b32_e32 v4, 0, v4, vcc_lo
	v_cmp_nlt_f32_e32 vcc_lo, 0x42b17218, v1
	s_delay_alu instid0(VALU_DEP_4) | instskip(SKIP_1) | instid1(VALU_DEP_4)
	v_cndmask_b32_e32 v1, 0x7f800000, v3, vcc_lo
	v_cmp_nlt_f32_e32 vcc_lo, 0x42b17218, v2
	v_cndmask_b32_e32 v2, 0x7f800000, v4, vcc_lo
	v_cmp_eq_u32_e32 vcc_lo, 0, v43
	s_delay_alu instid0(VALU_DEP_4) | instskip(NEXT) | instid1(VALU_DEP_1)
	v_cndmask_b32_e32 v1, 0, v1, vcc_lo
	v_fmac_f32_e32 v1, v193, v2
	s_delay_alu instid0(VALU_DEP_1) | instskip(SKIP_1) | instid1(VALU_DEP_1)
	v_mov_b32_e32 v193, v1
	v_cvt_f16_f32_e32 v3, v2
	v_pk_mul_f16 v196, v3, v196 op_sel_hi:[0,1]
	v_pk_mul_f16 v197, v3, v197 op_sel_hi:[0,1]
.LBB18_27:
	s_or_b32 exec_lo, exec_lo, s3
	s_and_saveexec_b32 s3, s2
	s_cbranch_execz .LBB18_29
; %bb.28:
	v_dual_mov_b32 v0, 0xfeffffff :: v_dual_mov_b32 v1, 0
	v_add_nc_u32_e32 v2, 0x400, v48
	ds_store_2addr_b32 v2, v0, v1 offset1:32
.LBB18_29:
	s_or_b32 exec_lo, exec_lo, s3
	v_cmp_eq_u32_e32 vcc_lo, 0, v43
	v_lshlrev_b32_e32 v2, 2, v42
	s_waitcnt lgkmcnt(0)
	s_barrier
	buffer_gl0_inv
	s_and_saveexec_b32 s2, vcc_lo
	s_cbranch_execz .LBB18_31
; %bb.30:
	ds_store_b32 v2, v194 offset:1024
.LBB18_31:
	s_or_b32 exec_lo, exec_lo, s2
	s_waitcnt lgkmcnt(0)
	s_barrier
	buffer_gl0_inv
	ds_load_b32 v0, v48 offset:1024
	v_xor_b32_e32 v1, 16, v44
	v_xor_b32_e32 v4, 8, v44
	v_lshlrev_b32_e32 v11, 3, v43
	s_delay_alu instid0(VALU_DEP_3) | instskip(NEXT) | instid1(VALU_DEP_2)
	v_cmp_gt_i32_e64 s2, 32, v1
	v_lshl_add_u32 v11, v42, 8, v11
	s_delay_alu instid0(VALU_DEP_2) | instskip(SKIP_1) | instid1(VALU_DEP_2)
	v_cndmask_b32_e64 v1, v44, v1, s2
	v_cmp_gt_i32_e64 s2, 32, v4
	v_lshlrev_b32_e32 v1, 2, v1
	s_delay_alu instid0(VALU_DEP_2) | instskip(SKIP_4) | instid1(VALU_DEP_1)
	v_cndmask_b32_e64 v4, v44, v4, s2
	s_waitcnt lgkmcnt(0)
	ds_bpermute_b32 v3, v1, v0
	s_waitcnt lgkmcnt(0)
	v_dual_max_f32 v0, v0, v0 :: v_dual_max_f32 v5, v3, v3
	v_dual_max_f32 v0, v0, v5 :: v_dual_lshlrev_b32 v3, 2, v4
	v_xor_b32_e32 v5, 4, v44
	ds_bpermute_b32 v4, v3, v0
	v_cmp_gt_i32_e64 s2, 32, v5
	s_delay_alu instid0(VALU_DEP_1) | instskip(SKIP_2) | instid1(VALU_DEP_2)
	v_cndmask_b32_e64 v5, v44, v5, s2
	s_waitcnt lgkmcnt(0)
	v_max_f32_e32 v6, v4, v4
	v_lshlrev_b32_e32 v4, 2, v5
	s_delay_alu instid0(VALU_DEP_2) | instskip(SKIP_3) | instid1(VALU_DEP_1)
	v_max_f32_e32 v0, v0, v6
	v_xor_b32_e32 v6, 2, v44
	ds_bpermute_b32 v5, v4, v0
	v_cmp_gt_i32_e64 s2, 32, v6
	v_cndmask_b32_e64 v6, v44, v6, s2
	s_waitcnt lgkmcnt(0)
	v_max_f32_e32 v7, v5, v5
	s_delay_alu instid0(VALU_DEP_1) | instskip(SKIP_3) | instid1(VALU_DEP_1)
	v_dual_max_f32 v0, v0, v7 :: v_dual_lshlrev_b32 v5, 2, v6
	v_xor_b32_e32 v7, 1, v44
	ds_bpermute_b32 v6, v5, v0
	v_cmp_gt_i32_e64 s2, 32, v7
	v_cndmask_b32_e64 v7, v44, v7, s2
	s_waitcnt lgkmcnt(0)
	v_max_f32_e32 v8, v6, v6
	s_delay_alu instid0(VALU_DEP_2) | instskip(NEXT) | instid1(VALU_DEP_2)
	v_lshlrev_b32_e32 v6, 2, v7
	v_max_f32_e32 v0, v0, v8
	ds_bpermute_b32 v7, v6, v0
	s_waitcnt lgkmcnt(0)
	v_max_f32_e32 v7, v7, v7
	s_delay_alu instid0(VALU_DEP_1) | instskip(NEXT) | instid1(VALU_DEP_1)
	v_max_f32_e32 v0, v0, v7
	v_sub_f32_e32 v7, v194, v0
	s_delay_alu instid0(VALU_DEP_1) | instskip(SKIP_1) | instid1(VALU_DEP_2)
	v_mul_f32_e32 v8, 0x3fb8aa3b, v7
	v_cmp_ngt_f32_e64 s2, 0xc2ce8ed0, v7
	v_fma_f32 v9, 0x3fb8aa3b, v7, -v8
	v_rndne_f32_e32 v10, v8
	s_delay_alu instid0(VALU_DEP_1) | instskip(NEXT) | instid1(VALU_DEP_1)
	v_dual_fmamk_f32 v9, v7, 0x32a5705f, v9 :: v_dual_sub_f32 v8, v8, v10
	v_add_f32_e32 v8, v8, v9
	v_cvt_i32_f32_e32 v9, v10
	s_delay_alu instid0(VALU_DEP_2) | instskip(SKIP_2) | instid1(VALU_DEP_1)
	v_exp_f32_e32 v8, v8
	s_waitcnt_depctr 0xfff
	v_ldexp_f32 v8, v8, v9
	v_cndmask_b32_e64 v8, 0, v8, s2
	v_cmp_nlt_f32_e64 s2, 0x42b17218, v7
	s_delay_alu instid0(VALU_DEP_1) | instskip(NEXT) | instid1(VALU_DEP_1)
	v_cndmask_b32_e64 v9, 0x7f800000, v8, s2
	v_mul_f32_e32 v7, v193, v9
	v_cvt_f16_f32_e32 v10, v9
	ds_bpermute_b32 v7, v1, v7
	s_waitcnt lgkmcnt(0)
	v_fmac_f32_e32 v7, v193, v9
	v_pk_mul_f16 v9, v10, v196 op_sel_hi:[0,1]
	v_pk_mul_f16 v10, v10, v197 op_sel_hi:[0,1]
	ds_bpermute_b32 v8, v3, v7
	ds_store_b64 v11, v[9:10]
	s_waitcnt lgkmcnt(1)
	v_add_f32_e32 v7, v7, v8
	ds_bpermute_b32 v8, v4, v7
	s_waitcnt lgkmcnt(0)
	v_add_f32_e32 v7, v7, v8
	ds_bpermute_b32 v8, v5, v7
	s_waitcnt lgkmcnt(0)
	v_add_f32_e32 v7, v7, v8
	ds_bpermute_b32 v8, v6, v7
	s_and_saveexec_b32 s2, vcc_lo
	s_cbranch_execz .LBB18_33
; %bb.32:
	s_waitcnt lgkmcnt(0)
	v_add_f32_e32 v7, v7, v8
	ds_store_b32 v2, v7 offset:1152
.LBB18_33:
	s_or_b32 exec_lo, exec_lo, s2
	s_waitcnt lgkmcnt(0)
	s_barrier
	buffer_gl0_inv
	ds_load_b32 v2, v48 offset:1152
	ds_load_u16 v7, v47 offset:768
	s_mov_b32 s3, 0
	s_waitcnt lgkmcnt(1)
	ds_bpermute_b32 v1, v1, v2
	s_waitcnt lgkmcnt(0)
	v_add_f32_e32 v1, v2, v1
	ds_bpermute_b32 v2, v3, v1
	s_waitcnt lgkmcnt(0)
	v_add_f32_e32 v1, v1, v2
	;; [unrolled: 3-line block ×3, first 2 shown]
	ds_bpermute_b32 v2, v5, v1
	ds_load_u16 v3, v47
	ds_load_u16 v4, v47 offset:256
	ds_load_u16 v5, v47 offset:512
	s_load_b32 s1, s[0:1], 0xd4
	s_mul_i32 s0, s12, s34
	s_waitcnt lgkmcnt(0)
	v_cvt_f32_f16_e32 v4, v4
	v_add_f32_e32 v1, v1, v2
	v_cvt_f32_f16_e32 v2, v3
	v_cvt_f32_f16_e32 v5, v5
	s_cmp_eq_u32 s1, 1
	ds_bpermute_b32 v3, v6, v1
	v_add_f32_e32 v2, 0, v2
	s_delay_alu instid0(VALU_DEP_1) | instskip(SKIP_1) | instid1(VALU_DEP_2)
	v_add_f32_e32 v2, v2, v4
	v_cvt_f32_f16_e32 v4, v7
	v_add_f32_e32 v2, v2, v5
	s_waitcnt lgkmcnt(0)
	s_delay_alu instid0(VALU_DEP_1) | instskip(NEXT) | instid1(VALU_DEP_1)
	v_dual_add_f32 v6, v2, v4 :: v_dual_add_f32 v1, v1, v3
	v_div_scale_f32 v2, null, v1, v1, v6
	v_div_scale_f32 v5, vcc_lo, v6, v1, v6
	s_delay_alu instid0(VALU_DEP_2) | instskip(SKIP_2) | instid1(VALU_DEP_1)
	v_rcp_f32_e32 v3, v2
	s_waitcnt_depctr 0xfff
	v_fma_f32 v4, -v2, v3, 1.0
	v_fmac_f32_e32 v3, v4, v3
	s_delay_alu instid0(VALU_DEP_1) | instskip(NEXT) | instid1(VALU_DEP_1)
	v_mul_f32_e32 v4, v5, v3
	v_fma_f32 v7, -v2, v4, v5
	s_delay_alu instid0(VALU_DEP_1) | instskip(NEXT) | instid1(VALU_DEP_1)
	v_fmac_f32_e32 v4, v7, v3
	v_fma_f32 v2, -v2, v4, v5
	s_delay_alu instid0(VALU_DEP_1) | instskip(SKIP_3) | instid1(SALU_CYCLE_1)
	v_div_fmas_f32 v2, v2, v3, v4
	v_mov_b32_e32 v3, 0
	s_cselect_b32 vcc_lo, -1, 0
	s_add_i32 s0, s0, s13
	s_mul_i32 s0, s0, s35
	v_div_fixup_f32 v7, v2, v1, v6
	s_add_i32 s0, s0, s36
	s_delay_alu instid0(SALU_CYCLE_1) | instskip(NEXT) | instid1(SALU_CYCLE_1)
	s_mul_i32 s0, s1, s0
	s_add_i32 s2, s0, s14
	v_cmp_eq_u32_e64 s0, 0, v46
	v_lshl_or_b32 v2, s2, 7, v46
	s_cmp_lg_u32 s1, 1
	s_cselect_b32 s1, -1, 0
	s_delay_alu instid0(VALU_DEP_1) | instskip(SKIP_2) | instid1(VALU_DEP_2)
	v_lshlrev_b64 v[4:5], 2, v[2:3]
	v_cndmask_b32_e32 v2, v6, v7, vcc_lo
	s_and_b32 s0, s0, s1
	v_add_co_u32 v4, vcc_lo, s28, v4
	s_delay_alu instid0(VALU_DEP_3)
	v_add_co_ci_u32_e32 v5, vcc_lo, s29, v5, vcc_lo
	global_store_b32 v[4:5], v2, off
	s_and_saveexec_b32 s1, s0
	s_cbranch_execz .LBB18_35
; %bb.34:
	s_lshl_b64 s[0:1], s[2:3], 3
	s_delay_alu instid0(SALU_CYCLE_1)
	s_add_u32 s0, s30, s0
	s_addc_u32 s1, s31, s1
	global_store_b64 v3, v[0:1], s[0:1]
.LBB18_35:
	s_nop 0
	s_sendmsg sendmsg(MSG_DEALLOC_VGPRS)
	s_endpgm
	.section	.rodata,"a",@progbits
	.p2align	6, 0x0
	.amdhsa_kernel _ZL18flash_attn_ext_vecILi128ELi1EL9ggml_type3ELS0_3ELb1EEvPKcS2_S2_S2_S2_PKiPfP15HIP_vector_typeIfLj2EEffffjfiS6_IjLj3EEiiiiiiiiiiiliiliiiiil
		.amdhsa_group_segment_fixed_size 1280
		.amdhsa_private_segment_fixed_size 0
		.amdhsa_kernarg_size 464
		.amdhsa_user_sgpr_count 13
		.amdhsa_user_sgpr_dispatch_ptr 0
		.amdhsa_user_sgpr_queue_ptr 0
		.amdhsa_user_sgpr_kernarg_segment_ptr 1
		.amdhsa_user_sgpr_dispatch_id 0
		.amdhsa_user_sgpr_private_segment_size 0
		.amdhsa_wavefront_size32 1
		.amdhsa_uses_dynamic_stack 0
		.amdhsa_enable_private_segment 0
		.amdhsa_system_sgpr_workgroup_id_x 1
		.amdhsa_system_sgpr_workgroup_id_y 1
		.amdhsa_system_sgpr_workgroup_id_z 1
		.amdhsa_system_sgpr_workgroup_info 0
		.amdhsa_system_vgpr_workitem_id 1
		.amdhsa_next_free_vgpr 218
		.amdhsa_next_free_sgpr 52
		.amdhsa_reserve_vcc 1
		.amdhsa_float_round_mode_32 0
		.amdhsa_float_round_mode_16_64 0
		.amdhsa_float_denorm_mode_32 3
		.amdhsa_float_denorm_mode_16_64 3
		.amdhsa_dx10_clamp 1
		.amdhsa_ieee_mode 1
		.amdhsa_fp16_overflow 0
		.amdhsa_workgroup_processor_mode 1
		.amdhsa_memory_ordered 1
		.amdhsa_forward_progress 0
		.amdhsa_shared_vgpr_count 0
		.amdhsa_exception_fp_ieee_invalid_op 0
		.amdhsa_exception_fp_denorm_src 0
		.amdhsa_exception_fp_ieee_div_zero 0
		.amdhsa_exception_fp_ieee_overflow 0
		.amdhsa_exception_fp_ieee_underflow 0
		.amdhsa_exception_fp_ieee_inexact 0
		.amdhsa_exception_int_div_zero 0
	.end_amdhsa_kernel
	.section	.text._ZL18flash_attn_ext_vecILi128ELi1EL9ggml_type3ELS0_3ELb1EEvPKcS2_S2_S2_S2_PKiPfP15HIP_vector_typeIfLj2EEffffjfiS6_IjLj3EEiiiiiiiiiiiliiliiiiil,"axG",@progbits,_ZL18flash_attn_ext_vecILi128ELi1EL9ggml_type3ELS0_3ELb1EEvPKcS2_S2_S2_S2_PKiPfP15HIP_vector_typeIfLj2EEffffjfiS6_IjLj3EEiiiiiiiiiiiliiliiiiil,comdat
.Lfunc_end18:
	.size	_ZL18flash_attn_ext_vecILi128ELi1EL9ggml_type3ELS0_3ELb1EEvPKcS2_S2_S2_S2_PKiPfP15HIP_vector_typeIfLj2EEffffjfiS6_IjLj3EEiiiiiiiiiiiliiliiiiil, .Lfunc_end18-_ZL18flash_attn_ext_vecILi128ELi1EL9ggml_type3ELS0_3ELb1EEvPKcS2_S2_S2_S2_PKiPfP15HIP_vector_typeIfLj2EEffffjfiS6_IjLj3EEiiiiiiiiiiiliiliiiiil
                                        ; -- End function
	.section	.AMDGPU.csdata,"",@progbits
; Kernel info:
; codeLenInByte = 16920
; NumSgprs: 54
; NumVgprs: 218
; ScratchSize: 0
; MemoryBound: 0
; FloatMode: 240
; IeeeMode: 1
; LDSByteSize: 1280 bytes/workgroup (compile time only)
; SGPRBlocks: 6
; VGPRBlocks: 27
; NumSGPRsForWavesPerEU: 54
; NumVGPRsForWavesPerEU: 218
; Occupancy: 6
; WaveLimiterHint : 0
; COMPUTE_PGM_RSRC2:SCRATCH_EN: 0
; COMPUTE_PGM_RSRC2:USER_SGPR: 13
; COMPUTE_PGM_RSRC2:TRAP_HANDLER: 0
; COMPUTE_PGM_RSRC2:TGID_X_EN: 1
; COMPUTE_PGM_RSRC2:TGID_Y_EN: 1
; COMPUTE_PGM_RSRC2:TGID_Z_EN: 1
; COMPUTE_PGM_RSRC2:TIDIG_COMP_CNT: 1
	.section	.text._ZL18flash_attn_ext_vecILi128ELi2EL9ggml_type3ELS0_3ELb0EEvPKcS2_S2_S2_S2_PKiPfP15HIP_vector_typeIfLj2EEffffjfiS6_IjLj3EEiiiiiiiiiiiliiliiiiil,"axG",@progbits,_ZL18flash_attn_ext_vecILi128ELi2EL9ggml_type3ELS0_3ELb0EEvPKcS2_S2_S2_S2_PKiPfP15HIP_vector_typeIfLj2EEffffjfiS6_IjLj3EEiiiiiiiiiiiliiliiiiil,comdat
	.globl	_ZL18flash_attn_ext_vecILi128ELi2EL9ggml_type3ELS0_3ELb0EEvPKcS2_S2_S2_S2_PKiPfP15HIP_vector_typeIfLj2EEffffjfiS6_IjLj3EEiiiiiiiiiiiliiliiiiil ; -- Begin function _ZL18flash_attn_ext_vecILi128ELi2EL9ggml_type3ELS0_3ELb0EEvPKcS2_S2_S2_S2_PKiPfP15HIP_vector_typeIfLj2EEffffjfiS6_IjLj3EEiiiiiiiiiiiliiliiiiil
	.p2align	8
	.type	_ZL18flash_attn_ext_vecILi128ELi2EL9ggml_type3ELS0_3ELb0EEvPKcS2_S2_S2_S2_PKiPfP15HIP_vector_typeIfLj2EEffffjfiS6_IjLj3EEiiiiiiiiiiiliiliiiiil,@function
_ZL18flash_attn_ext_vecILi128ELi2EL9ggml_type3ELS0_3ELb0EEvPKcS2_S2_S2_S2_PKiPfP15HIP_vector_typeIfLj2EEffffjfiS6_IjLj3EEiiiiiiiiiiiliiliiiiil: ; @_ZL18flash_attn_ext_vecILi128ELi2EL9ggml_type3ELS0_3ELb0EEvPKcS2_S2_S2_S2_PKiPfP15HIP_vector_typeIfLj2EEffffjfiS6_IjLj3EEiiiiiiiiiiiliiliiiiil
; %bb.0:
	s_clause 0x2
	s_load_b64 s[34:35], s[2:3], 0x64
	s_load_b64 s[36:37], s[2:3], 0x80
	;; [unrolled: 1-line block ×3, first 2 shown]
	v_mov_b32_e32 v67, 1.0
	s_waitcnt lgkmcnt(0)
	v_cvt_f32_u32_e32 v1, s35
	s_sub_i32 s5, 0, s35
	s_delay_alu instid0(VALU_DEP_1) | instskip(SKIP_2) | instid1(VALU_DEP_1)
	v_rcp_iflag_f32_e32 v1, v1
	s_waitcnt_depctr 0xfff
	v_mul_f32_e32 v1, 0x4f7ffffe, v1
	v_cvt_u32_f32_e32 v1, v1
	s_delay_alu instid0(VALU_DEP_1) | instskip(NEXT) | instid1(VALU_DEP_1)
	v_readfirstlane_b32 s4, v1
	s_mul_i32 s5, s5, s4
	s_delay_alu instid0(SALU_CYCLE_1) | instskip(NEXT) | instid1(SALU_CYCLE_1)
	s_mul_hi_u32 s5, s4, s5
	s_add_i32 s4, s4, s5
	s_delay_alu instid0(SALU_CYCLE_1) | instskip(NEXT) | instid1(SALU_CYCLE_1)
	s_mul_hi_u32 s4, s15, s4
	s_mul_i32 s5, s4, s35
	s_add_i32 s6, s4, 1
	s_sub_i32 s5, s15, s5
	s_delay_alu instid0(SALU_CYCLE_1)
	s_sub_i32 s7, s5, s35
	s_cmp_ge_u32 s5, s35
	s_cselect_b32 s4, s6, s4
	s_cselect_b32 s5, s7, s5
	s_add_i32 s6, s4, 1
	s_cmp_ge_u32 s5, s35
	s_cselect_b32 s33, s6, s4
	s_abs_i32 s4, s37
	s_abs_i32 s8, s35
	v_cvt_f32_u32_e32 v1, s4
	s_sub_i32 s6, 0, s4
	s_xor_b32 s7, s35, s37
	s_delay_alu instid0(SALU_CYCLE_1) | instskip(NEXT) | instid1(VALU_DEP_1)
	s_ashr_i32 s7, s7, 31
	v_rcp_iflag_f32_e32 v1, v1
	s_waitcnt_depctr 0xfff
	v_mul_f32_e32 v1, 0x4f7ffffe, v1
	s_delay_alu instid0(VALU_DEP_1) | instskip(NEXT) | instid1(VALU_DEP_1)
	v_cvt_u32_f32_e32 v1, v1
	v_readfirstlane_b32 s5, v1
	s_delay_alu instid0(VALU_DEP_1) | instskip(NEXT) | instid1(SALU_CYCLE_1)
	s_mul_i32 s6, s6, s5
	s_mul_hi_u32 s6, s5, s6
	s_delay_alu instid0(SALU_CYCLE_1) | instskip(SKIP_4) | instid1(SALU_CYCLE_1)
	s_add_i32 s5, s5, s6
	s_mul_i32 s6, s33, s35
	s_mul_hi_u32 s5, s8, s5
	s_sub_i32 s12, s15, s6
	s_mul_i32 s9, s5, s4
	s_sub_i32 s6, s8, s9
	s_add_i32 s8, s5, 1
	s_sub_i32 s9, s6, s4
	s_cmp_ge_u32 s6, s4
	s_cselect_b32 s5, s8, s5
	s_cselect_b32 s6, s9, s6
	s_add_i32 s8, s5, 1
	s_cmp_ge_u32 s6, s4
	s_cselect_b32 s4, s8, s5
	s_abs_i32 s38, s38
	s_xor_b32 s4, s4, s7
	v_cvt_f32_u32_e32 v1, s38
	s_sub_i32 s42, s4, s7
	s_clause 0x1
	s_load_b128 s[8:11], s[2:3], 0x40
	s_load_b32 s4, s[2:3], 0x50
	s_abs_i32 s43, s42
	v_rcp_iflag_f32_e32 v1, v1
	v_cvt_f32_u32_e32 v2, s43
	s_delay_alu instid0(VALU_DEP_1) | instskip(SKIP_2) | instid1(VALU_DEP_1)
	v_rcp_iflag_f32_e32 v2, v2
	s_waitcnt_depctr 0xfff
	v_mul_f32_e32 v1, 0x4f7ffffe, v1
	v_cvt_u32_f32_e32 v1, v1
	v_mul_f32_e32 v2, 0x4f7ffffe, v2
	s_waitcnt lgkmcnt(0)
	v_cmp_le_f32_e64 s5, s9, 0
	s_delay_alu instid0(VALU_DEP_3) | instskip(NEXT) | instid1(VALU_DEP_3)
	v_readfirstlane_b32 s40, v1
	v_cvt_u32_f32_e32 v2, v2
	s_delay_alu instid0(VALU_DEP_3) | instskip(NEXT) | instid1(VALU_DEP_1)
	s_and_b32 vcc_lo, exec_lo, s5
	v_readfirstlane_b32 s41, v2
	s_cbranch_vccnz .LBB19_2
; %bb.1:
	s_sub_i32 s5, s12, s4
	s_add_i32 s6, s12, 1
	s_lshl_b32 s5, s5, 1
	v_mov_b32_e32 v1, s10
	s_or_b32 s5, s5, 1
	s_cmp_lt_u32 s12, s4
	s_cselect_b32 vcc_lo, -1, 0
	s_delay_alu instid0(VALU_DEP_1)
	v_cndmask_b32_e32 v3, s11, v1, vcc_lo
	s_and_b32 s4, vcc_lo, exec_lo
	s_cselect_b32 s4, s6, s5
	s_mov_b32 s5, 0x3e76c4e1
	v_cvt_f32_i32_e32 v1, s4
	v_cmp_neq_f32_e32 vcc_lo, 1.0, v3
	s_delay_alu instid0(VALU_DEP_2) | instskip(NEXT) | instid1(VALU_DEP_1)
	v_cndmask_b32_e32 v4, 1.0, v1, vcc_lo
	v_cmp_eq_f32_e32 vcc_lo, 0, v4
	v_cndmask_b32_e64 v5, |v3|, 1.0, vcc_lo
	s_delay_alu instid0(VALU_DEP_1) | instskip(NEXT) | instid1(VALU_DEP_1)
	v_frexp_mant_f32_e32 v1, v5
	v_cmp_gt_f32_e64 s4, 0x3f2aaaab, v1
	s_delay_alu instid0(VALU_DEP_1) | instskip(NEXT) | instid1(VALU_DEP_1)
	v_cndmask_b32_e64 v2, 1.0, 2.0, s4
	v_mul_f32_e32 v1, v1, v2
	s_delay_alu instid0(VALU_DEP_1) | instskip(SKIP_1) | instid1(VALU_DEP_2)
	v_add_f32_e32 v2, 1.0, v1
	v_add_f32_e32 v7, -1.0, v1
	v_rcp_f32_e32 v6, v2
	s_waitcnt_depctr 0xfff
	v_mul_f32_e32 v8, v7, v6
	s_delay_alu instid0(VALU_DEP_1) | instskip(NEXT) | instid1(VALU_DEP_1)
	v_dual_add_f32 v9, -1.0, v2 :: v_dual_mul_f32 v10, v2, v8
	v_sub_f32_e32 v1, v1, v9
	v_cndmask_b32_e64 v3, v3, 1.0, vcc_lo
	s_delay_alu instid0(VALU_DEP_3) | instskip(NEXT) | instid1(VALU_DEP_2)
	v_fma_f32 v2, v8, v2, -v10
	v_cmp_eq_f32_e64 s6, 0, v3
	s_delay_alu instid0(VALU_DEP_2) | instskip(NEXT) | instid1(VALU_DEP_1)
	v_fmac_f32_e32 v2, v8, v1
	v_add_f32_e32 v1, v10, v2
	s_delay_alu instid0(VALU_DEP_1) | instskip(NEXT) | instid1(VALU_DEP_1)
	v_dual_sub_f32 v10, v1, v10 :: v_dual_sub_f32 v9, v7, v1
	v_dual_sub_f32 v2, v10, v2 :: v_dual_sub_f32 v7, v7, v9
	s_delay_alu instid0(VALU_DEP_1) | instskip(NEXT) | instid1(VALU_DEP_1)
	v_sub_f32_e32 v1, v7, v1
	v_add_f32_e32 v1, v2, v1
	s_delay_alu instid0(VALU_DEP_1) | instskip(NEXT) | instid1(VALU_DEP_1)
	v_add_f32_e32 v1, v9, v1
	v_mul_f32_e32 v1, v6, v1
	s_delay_alu instid0(VALU_DEP_1) | instskip(NEXT) | instid1(VALU_DEP_1)
	v_add_f32_e32 v6, v8, v1
	v_sub_f32_e32 v2, v6, v8
	v_mul_f32_e32 v7, v6, v6
	s_delay_alu instid0(VALU_DEP_2) | instskip(NEXT) | instid1(VALU_DEP_2)
	v_sub_f32_e32 v8, v1, v2
	v_fma_f32 v9, v6, v6, -v7
	s_delay_alu instid0(VALU_DEP_2) | instskip(NEXT) | instid1(VALU_DEP_1)
	v_add_f32_e32 v1, v8, v8
	v_fmac_f32_e32 v9, v6, v1
	v_cvt_f64_f32_e32 v[1:2], v5
	s_delay_alu instid0(VALU_DEP_2) | instskip(NEXT) | instid1(VALU_DEP_1)
	v_add_f32_e32 v10, v7, v9
	v_fmaak_f32 v11, s5, v10, 0x3e91f4c4
	v_sub_f32_e32 v7, v10, v7
	v_mul_f32_e32 v14, v6, v10
	s_delay_alu instid0(VALU_DEP_3) | instskip(NEXT) | instid1(VALU_DEP_3)
	v_fmaak_f32 v11, v10, v11, 0x3ecccdef
	v_sub_f32_e32 v7, v9, v7
	s_delay_alu instid0(VALU_DEP_2) | instskip(NEXT) | instid1(VALU_DEP_1)
	v_mul_f32_e32 v12, v10, v11
	v_fma_f32 v9, v10, v11, -v12
	s_delay_alu instid0(VALU_DEP_1) | instskip(NEXT) | instid1(VALU_DEP_1)
	v_fmac_f32_e32 v9, v7, v11
	v_add_f32_e32 v11, v12, v9
	v_frexp_exp_i32_f64_e32 v1, v[1:2]
	s_delay_alu instid0(VALU_DEP_2) | instskip(NEXT) | instid1(VALU_DEP_1)
	v_sub_f32_e32 v12, v11, v12
	v_sub_f32_e32 v2, v9, v12
	v_fma_f32 v12, v10, v6, -v14
	s_delay_alu instid0(VALU_DEP_2) | instskip(NEXT) | instid1(VALU_DEP_2)
	v_add_f32_e32 v2, 0x31739010, v2
	v_dual_add_f32 v13, 0x3f2aaaaa, v11 :: v_dual_fmac_f32 v12, v10, v8
	v_ldexp_f32 v8, v8, 1
	s_delay_alu instid0(VALU_DEP_2) | instskip(NEXT) | instid1(VALU_DEP_1)
	v_dual_add_f32 v9, 0xbf2aaaaa, v13 :: v_dual_fmac_f32 v12, v7, v6
	v_sub_f32_e32 v9, v11, v9
	s_delay_alu instid0(VALU_DEP_1) | instskip(NEXT) | instid1(VALU_DEP_3)
	v_add_f32_e32 v2, v2, v9
	v_add_f32_e32 v9, v14, v12
	s_delay_alu instid0(VALU_DEP_2) | instskip(NEXT) | instid1(VALU_DEP_1)
	v_add_f32_e32 v7, v13, v2
	v_sub_f32_e32 v10, v13, v7
	s_delay_alu instid0(VALU_DEP_3) | instskip(SKIP_2) | instid1(VALU_DEP_4)
	v_mul_f32_e32 v11, v9, v7
	v_sub_f32_e32 v13, v9, v14
	v_subrev_co_ci_u32_e64 v1, s4, 0, v1, s4
	v_add_f32_e32 v2, v2, v10
	s_delay_alu instid0(VALU_DEP_4) | instskip(NEXT) | instid1(VALU_DEP_4)
	v_fma_f32 v10, v9, v7, -v11
	v_sub_f32_e32 v12, v12, v13
	s_delay_alu instid0(VALU_DEP_4) | instskip(NEXT) | instid1(VALU_DEP_3)
	v_cvt_f32_i32_e32 v1, v1
	v_fmac_f32_e32 v10, v9, v2
	v_ldexp_f32 v2, v6, 1
	s_delay_alu instid0(VALU_DEP_2) | instskip(NEXT) | instid1(VALU_DEP_1)
	v_fmac_f32_e32 v10, v12, v7
	v_add_f32_e32 v6, v11, v10
	s_delay_alu instid0(VALU_DEP_1) | instskip(NEXT) | instid1(VALU_DEP_1)
	v_add_f32_e32 v7, v2, v6
	v_dual_sub_f32 v2, v7, v2 :: v_dual_sub_f32 v9, v6, v11
	s_delay_alu instid0(VALU_DEP_1) | instskip(NEXT) | instid1(VALU_DEP_2)
	v_sub_f32_e32 v2, v6, v2
	v_sub_f32_e32 v9, v10, v9
	s_delay_alu instid0(VALU_DEP_1) | instskip(NEXT) | instid1(VALU_DEP_1)
	v_add_f32_e32 v6, v8, v9
	v_dual_mul_f32 v11, 0x3f317218, v1 :: v_dual_add_f32 v2, v6, v2
	s_delay_alu instid0(VALU_DEP_1) | instskip(NEXT) | instid1(VALU_DEP_2)
	v_fma_f32 v10, 0x3f317218, v1, -v11
	v_add_f32_e32 v8, v7, v2
	s_delay_alu instid0(VALU_DEP_1) | instskip(NEXT) | instid1(VALU_DEP_1)
	v_sub_f32_e32 v7, v8, v7
	v_dual_fmamk_f32 v1, v1, 0xb102e308, v10 :: v_dual_sub_f32 v2, v2, v7
	s_delay_alu instid0(VALU_DEP_1) | instskip(NEXT) | instid1(VALU_DEP_1)
	v_add_f32_e32 v6, v11, v1
	v_add_f32_e32 v9, v6, v8
	s_delay_alu instid0(VALU_DEP_1) | instskip(NEXT) | instid1(VALU_DEP_1)
	v_dual_sub_f32 v11, v6, v11 :: v_dual_sub_f32 v10, v9, v6
	v_sub_f32_e32 v12, v9, v10
	s_delay_alu instid0(VALU_DEP_2) | instskip(NEXT) | instid1(VALU_DEP_2)
	v_sub_f32_e32 v1, v1, v11
	v_dual_sub_f32 v7, v8, v10 :: v_dual_sub_f32 v6, v6, v12
	s_delay_alu instid0(VALU_DEP_2) | instskip(NEXT) | instid1(VALU_DEP_2)
	v_add_f32_e32 v8, v1, v2
	v_add_f32_e32 v6, v7, v6
	s_delay_alu instid0(VALU_DEP_1) | instskip(NEXT) | instid1(VALU_DEP_1)
	v_add_f32_e32 v6, v8, v6
	v_dual_sub_f32 v7, v8, v1 :: v_dual_add_f32 v10, v9, v6
	s_delay_alu instid0(VALU_DEP_1) | instskip(SKIP_1) | instid1(VALU_DEP_3)
	v_sub_f32_e32 v8, v8, v7
	v_sub_f32_e32 v2, v2, v7
	;; [unrolled: 1-line block ×3, first 2 shown]
	s_delay_alu instid0(VALU_DEP_3) | instskip(NEXT) | instid1(VALU_DEP_1)
	v_sub_f32_e32 v1, v1, v8
	v_add_f32_e32 v1, v2, v1
	s_delay_alu instid0(VALU_DEP_3) | instskip(NEXT) | instid1(VALU_DEP_1)
	v_sub_f32_e32 v2, v6, v7
	v_add_f32_e32 v1, v1, v2
	s_delay_alu instid0(VALU_DEP_1) | instskip(NEXT) | instid1(VALU_DEP_1)
	v_add_f32_e32 v2, v10, v1
	v_mul_f32_e32 v7, v4, v2
	v_sub_f32_e32 v6, v2, v10
	s_delay_alu instid0(VALU_DEP_2) | instskip(NEXT) | instid1(VALU_DEP_2)
	v_fma_f32 v2, v4, v2, -v7
	v_sub_f32_e32 v1, v1, v6
	v_cmp_class_f32_e64 s4, v7, 0x204
	s_delay_alu instid0(VALU_DEP_2) | instskip(NEXT) | instid1(VALU_DEP_1)
	v_fmac_f32_e32 v2, v4, v1
	v_add_f32_e32 v1, v7, v2
	s_delay_alu instid0(VALU_DEP_1) | instskip(NEXT) | instid1(VALU_DEP_1)
	v_cndmask_b32_e64 v6, v1, v7, s4
	v_cmp_eq_f32_e64 s4, 0x42b17218, v6
	s_delay_alu instid0(VALU_DEP_1) | instskip(SKIP_1) | instid1(VALU_DEP_2)
	v_cndmask_b32_e64 v8, 0, 0x37000000, s4
	v_cmp_neq_f32_e64 s4, 0x7f800000, |v6|
	v_sub_f32_e32 v9, v6, v8
	v_trunc_f32_e32 v6, v4
	s_delay_alu instid0(VALU_DEP_2) | instskip(NEXT) | instid1(VALU_DEP_1)
	v_mul_f32_e32 v10, 0x3fb8aa3b, v9
	v_fma_f32 v11, 0x3fb8aa3b, v9, -v10
	v_rndne_f32_e32 v12, v10
	s_delay_alu instid0(VALU_DEP_1) | instskip(NEXT) | instid1(VALU_DEP_1)
	v_dual_fmamk_f32 v11, v9, 0x32a5705f, v11 :: v_dual_sub_f32 v10, v10, v12
	v_add_f32_e32 v10, v10, v11
	v_sub_f32_e32 v1, v1, v7
	v_cvt_i32_f32_e32 v7, v12
	s_delay_alu instid0(VALU_DEP_3) | instskip(NEXT) | instid1(VALU_DEP_2)
	v_exp_f32_e32 v10, v10
	v_sub_f32_e32 v1, v2, v1
	s_delay_alu instid0(VALU_DEP_1)
	v_cndmask_b32_e64 v1, 0, v1, s4
	v_cmp_ngt_f32_e64 s4, 0xc2ce8ed0, v9
	s_waitcnt_depctr 0xfff
	v_ldexp_f32 v2, v10, v7
	v_mul_f32_e32 v7, 0.5, v4
	v_add_f32_e32 v1, v8, v1
	s_delay_alu instid0(VALU_DEP_3) | instskip(NEXT) | instid1(VALU_DEP_3)
	v_cndmask_b32_e64 v2, 0, v2, s4
	v_trunc_f32_e32 v10, v7
	v_cmp_nlt_f32_e64 s4, 0x42b17218, v9
	s_delay_alu instid0(VALU_DEP_2) | instskip(NEXT) | instid1(VALU_DEP_2)
	v_cmp_neq_f32_e64 s5, v10, v7
	v_cndmask_b32_e64 v2, 0x7f800000, v2, s4
	v_cmp_eq_f32_e64 s4, v6, v4
	s_delay_alu instid0(VALU_DEP_2) | instskip(NEXT) | instid1(VALU_DEP_2)
	v_fma_f32 v1, v2, v1, v2
	s_and_b32 vcc_lo, s4, s5
	v_cmp_class_f32_e64 s5, v2, 0x204
	v_cndmask_b32_e32 v6, 1.0, v3, vcc_lo
	s_delay_alu instid0(VALU_DEP_2) | instskip(SKIP_1) | instid1(VALU_DEP_2)
	v_cndmask_b32_e64 v1, v1, v2, s5
	v_cmp_gt_f32_e64 s5, 0, v4
	v_bfi_b32 v1, 0x7fffffff, v1, v6
	v_cndmask_b32_e32 v6, 0, v3, vcc_lo
	s_delay_alu instid0(VALU_DEP_3)
	s_xor_b32 s5, s5, s6
	v_cmp_eq_f32_e32 vcc_lo, 0x7f800000, v5
	v_cndmask_b32_e64 v2, 0x7f800000, 0, s5
	v_cndmask_b32_e64 v4, 0x7fc00000, v1, s4
	v_cmp_gt_f32_e64 s4, 0, v3
	s_or_b32 vcc_lo, vcc_lo, s6
	s_delay_alu instid0(VALU_DEP_3) | instskip(NEXT) | instid1(VALU_DEP_2)
	v_bfi_b32 v2, 0x7fffffff, v2, v6
	v_cndmask_b32_e64 v1, v1, v4, s4
	s_delay_alu instid0(VALU_DEP_1) | instskip(SKIP_1) | instid1(VALU_DEP_2)
	v_cndmask_b32_e32 v1, v1, v2, vcc_lo
	v_cmp_o_f32_e32 vcc_lo, v3, v3
	v_cndmask_b32_e32 v67, 0x7fc00000, v1, vcc_lo
.LBB19_2:
	s_load_b64 s[0:1], s[0:1], 0x4
	v_bfe_u32 v61, v0, 10, 10
	v_and_b32_e32 v60, 0x3ff, v0
	s_load_b512 s[16:31], s[2:3], 0x0
	v_bfe_u32 v0, v0, 20, 10
	s_lshl_b32 s15, s13, 1
	v_lshlrev_b32_e32 v62, 8, v61
	s_mov_b32 s6, exec_lo
	s_waitcnt lgkmcnt(0)
	v_mul_u32_u24_e32 v1, s1, v61
	s_lshr_b32 s0, s0, 16
	s_delay_alu instid0(SALU_CYCLE_1)
	s_mul_i32 s0, s0, s1
	s_delay_alu instid0(VALU_DEP_1) | instid1(SALU_CYCLE_1)
	v_mad_u32_u24 v1, s0, v60, v1
	v_cmp_lt_u32_e64 s0, 1, v61
	s_delay_alu instid0(VALU_DEP_2) | instskip(NEXT) | instid1(VALU_DEP_1)
	v_add_lshl_u32 v18, v1, v0, 4
	v_dual_mov_b32 v12, 0 :: v_dual_add_nc_u32 v1, 0x400, v18
	v_add_nc_u32_e32 v0, 0x604, v18
	ds_store_2addr_b32 v0, v12, v12 offset1:1
	ds_store_2addr_b32 v1, v12, v12 offset0:128 offset1:131
	v_cmpx_gt_u32_e32 2, v61
	s_cbranch_execz .LBB19_13
; %bb.3:
	v_or_b32_e32 v0, s15, v61
	v_lshl_add_u32 v1, v60, 2, v62
	s_mov_b32 s1, exec_lo
	s_delay_alu instid0(VALU_DEP_2)
	v_cmpx_le_i32_e64 s34, v0
	s_xor_b32 s1, exec_lo, s1
	s_cbranch_execz .LBB19_7
; %bb.4:
	v_mov_b32_e32 v0, 0
	s_mov_b32 s4, exec_lo
	ds_store_b32 v1, v0
	v_cmpx_gt_u32_e32 4, v60
	s_cbranch_execz .LBB19_6
; %bb.5:
	v_lshl_add_u32 v2, v60, 2, v1
	v_mov_b32_e32 v1, v0
	ds_store_b64 v2, v[0:1] offset:128
.LBB19_6:
	s_or_b32 exec_lo, exec_lo, s4
                                        ; implicit-def: $vgpr1
.LBB19_7:
	s_and_not1_saveexec_b32 s1, s1
	s_cbranch_execz .LBB19_13
; %bb.8:
	s_load_b128 s[44:47], s[2:3], 0x70
	v_lshlrev_b32_e32 v2, 4, v60
	s_mov_b32 s7, exec_lo
	s_waitcnt lgkmcnt(0)
	v_mul_lo_u32 v0, v61, s44
	s_mul_i32 s1, s33, s46
	s_mul_i32 s4, s15, s44
	;; [unrolled: 1-line block ×3, first 2 shown]
	s_add_i32 s1, s1, s4
	s_delay_alu instid0(SALU_CYCLE_1) | instskip(NEXT) | instid1(SALU_CYCLE_1)
	s_add_i32 s1, s1, s5
	s_ashr_i32 s4, s1, 31
	s_delay_alu instid0(VALU_DEP_1) | instskip(SKIP_3) | instid1(VALU_DEP_2)
	v_ashrrev_i32_e32 v3, 31, v0
	s_add_u32 s1, s16, s1
	s_addc_u32 s4, s17, s4
	v_add_co_u32 v0, vcc_lo, s1, v0
	v_add_co_ci_u32_e32 v3, vcc_lo, s4, v3, vcc_lo
	s_delay_alu instid0(VALU_DEP_2) | instskip(NEXT) | instid1(VALU_DEP_2)
	v_add_co_u32 v2, vcc_lo, v0, v2
	v_add_co_ci_u32_e32 v3, vcc_lo, 0, v3, vcc_lo
	v_mbcnt_lo_u32_b32 v0, -1, 0
	global_load_b128 v[7:10], v[2:3], off
	v_xor_b32_e32 v4, 4, v0
	v_xor_b32_e32 v13, 2, v0
	;; [unrolled: 1-line block ×3, first 2 shown]
	s_delay_alu instid0(VALU_DEP_3) | instskip(SKIP_1) | instid1(VALU_DEP_4)
	v_cmp_gt_i32_e32 vcc_lo, 32, v4
	v_cndmask_b32_e32 v4, v0, v4, vcc_lo
	v_cmp_gt_i32_e32 vcc_lo, 32, v13
	v_cndmask_b32_e32 v13, v0, v13, vcc_lo
	;; [unrolled: 2-line block ×3, first 2 shown]
	s_waitcnt vmcnt(0)
	s_delay_alu instid0(VALU_DEP_1) | instskip(SKIP_2) | instid1(VALU_DEP_2)
	v_dual_mul_f32 v5, s8, v10 :: v_dual_lshlrev_b32 v0, 2, v0
	v_dual_mul_f32 v2, s8, v7 :: v_dual_mul_f32 v3, s8, v8
	v_dual_mul_f32 v7, s8, v9 :: v_dual_lshlrev_b32 v4, 2, v4
	v_max_f32_e64 v6, |v2|, |v2|
	v_fma_f32 v8, s8, v8, v2
	s_delay_alu instid0(VALU_DEP_2) | instskip(NEXT) | instid1(VALU_DEP_1)
	v_max_f32_e64 v6, v6, |v3|
	v_max3_f32 v6, v6, |v7|, |v5|
	ds_bpermute_b32 v11, v4, v6
	s_waitcnt lgkmcnt(0)
	v_max_f32_e32 v11, v11, v11
	s_delay_alu instid0(VALU_DEP_1) | instskip(SKIP_3) | instid1(VALU_DEP_1)
	v_dual_max_f32 v6, v6, v11 :: v_dual_lshlrev_b32 v13, 2, v13
	ds_bpermute_b32 v11, v13, v6
	s_waitcnt lgkmcnt(0)
	v_max_f32_e32 v11, v11, v11
	v_max_f32_e32 v6, v6, v11
	ds_bpermute_b32 v11, v0, v6
	s_waitcnt lgkmcnt(0)
	v_dual_fmac_f32 v8, s8, v9 :: v_dual_max_f32 v9, v11, v11
	s_delay_alu instid0(VALU_DEP_1) | instskip(SKIP_2) | instid1(VALU_DEP_1)
	v_dual_fmac_f32 v8, s8, v10 :: v_dual_max_f32 v9, v6, v9
	ds_bpermute_b32 v4, v4, v8
	v_div_scale_f32 v6, null, 0x42fe0000, 0x42fe0000, v9
	v_rcp_f32_e32 v10, v6
	s_waitcnt lgkmcnt(0)
	v_add_f32_e32 v4, v8, v4
	s_waitcnt_depctr 0xfff
	v_fma_f32 v8, -v6, v10, 1.0
	ds_bpermute_b32 v11, v13, v4
	v_div_scale_f32 v13, vcc_lo, v9, 0x42fe0000, v9
	v_fmac_f32_e32 v10, v8, v10
	s_delay_alu instid0(VALU_DEP_1) | instskip(NEXT) | instid1(VALU_DEP_1)
	v_mul_f32_e32 v8, v13, v10
	v_fma_f32 v14, -v6, v8, v13
	s_delay_alu instid0(VALU_DEP_1) | instskip(SKIP_2) | instid1(VALU_DEP_2)
	v_fmac_f32_e32 v8, v14, v10
	s_waitcnt lgkmcnt(0)
	v_add_f32_e32 v4, v4, v11
	v_fma_f32 v11, -v6, v8, v13
	ds_bpermute_b32 v6, v0, v4
	v_div_fmas_f32 v0, v11, v10, v8
	v_mov_b32_e32 v8, 0
	s_delay_alu instid0(VALU_DEP_2) | instskip(NEXT) | instid1(VALU_DEP_1)
	v_div_fixup_f32 v0, v0, 0x42fe0000, v9
	v_cmpx_neq_f32_e32 0, v0
	s_cbranch_execz .LBB19_10
; %bb.9:
	v_div_scale_f32 v8, null, v0, v0, v2
	v_div_scale_f32 v9, null, v0, v0, v3
	;; [unrolled: 1-line block ×4, first 2 shown]
	s_delay_alu instid0(VALU_DEP_4) | instskip(NEXT) | instid1(VALU_DEP_3)
	v_rcp_f32_e32 v10, v8
	v_rcp_f32_e32 v14, v9
	s_delay_alu instid0(VALU_DEP_2) | instskip(NEXT) | instid1(VALU_DEP_1)
	v_rcp_f32_e32 v15, v11
	v_rcp_f32_e32 v16, v13
	v_div_scale_f32 v20, vcc_lo, v2, v0, v2
	v_fma_f32 v17, -v8, v10, 1.0
	s_delay_alu instid0(TRANS32_DEP_3) | instskip(SKIP_4) | instid1(VALU_DEP_3)
	v_fma_f32 v19, -v9, v14, 1.0
	s_waitcnt_depctr 0xfff
	v_fma_f32 v21, -v11, v15, 1.0
	v_fma_f32 v22, -v13, v16, 1.0
	v_fmac_f32_e32 v10, v17, v10
	v_dual_fmac_f32 v14, v19, v14 :: v_dual_fmac_f32 v15, v21, v15
	v_div_scale_f32 v17, s1, v3, v0, v3
	s_delay_alu instid0(VALU_DEP_4) | instskip(SKIP_1) | instid1(VALU_DEP_3)
	v_fmac_f32_e32 v16, v22, v16
	v_div_scale_f32 v21, s5, v5, v0, v5
	v_mul_f32_e32 v23, v17, v14
	v_div_scale_f32 v19, s4, v7, v0, v7
	s_delay_alu instid0(VALU_DEP_3) | instskip(NEXT) | instid1(VALU_DEP_3)
	v_dual_mul_f32 v22, v20, v10 :: v_dual_mul_f32 v25, v21, v16
	v_fma_f32 v27, -v9, v23, v17
	s_delay_alu instid0(VALU_DEP_2) | instskip(NEXT) | instid1(VALU_DEP_3)
	v_fma_f32 v26, -v8, v22, v20
	v_fma_f32 v29, -v13, v25, v21
	v_mul_f32_e32 v24, v19, v15
	s_delay_alu instid0(VALU_DEP_2) | instskip(NEXT) | instid1(VALU_DEP_2)
	v_dual_fmac_f32 v22, v26, v10 :: v_dual_fmac_f32 v25, v29, v16
	v_fma_f32 v28, -v11, v24, v19
	v_fmac_f32_e32 v23, v27, v14
	s_delay_alu instid0(VALU_DEP_3) | instskip(NEXT) | instid1(VALU_DEP_3)
	v_fma_f32 v8, -v8, v22, v20
	v_fmac_f32_e32 v24, v28, v15
	s_delay_alu instid0(VALU_DEP_3) | instskip(NEXT) | instid1(VALU_DEP_3)
	v_fma_f32 v9, -v9, v23, v17
	v_div_fmas_f32 v8, v8, v10, v22
	s_mov_b32 vcc_lo, s1
	s_delay_alu instid0(VALU_DEP_3) | instskip(NEXT) | instid1(VALU_DEP_3)
	v_fma_f32 v11, -v11, v24, v19
	v_div_fmas_f32 v9, v9, v14, v23
	s_mov_b32 vcc_lo, s4
	v_div_fixup_f32 v2, v8, v0, v2
	s_delay_alu instid0(VALU_DEP_3)
	v_div_fmas_f32 v10, v11, v15, v24
	v_fma_f32 v11, -v13, v25, v21
	s_mov_b32 vcc_lo, s5
	v_div_fixup_f32 v3, v9, v0, v3
	v_trunc_f32_e32 v14, v2
	v_div_fixup_f32 v7, v10, v0, v7
	v_div_fmas_f32 v10, v11, v16, v25
	s_delay_alu instid0(VALU_DEP_2) | instskip(NEXT) | instid1(VALU_DEP_2)
	v_trunc_f32_e32 v9, v7
	v_div_fixup_f32 v5, v10, v0, v5
	v_trunc_f32_e32 v10, v3
	s_delay_alu instid0(VALU_DEP_3) | instskip(NEXT) | instid1(VALU_DEP_3)
	v_sub_f32_e32 v11, v7, v9
	v_trunc_f32_e32 v8, v5
	s_delay_alu instid0(VALU_DEP_3) | instskip(NEXT) | instid1(VALU_DEP_3)
	v_sub_f32_e32 v13, v3, v10
	v_cmp_ge_f32_e64 s1, |v11|, 0.5
	s_delay_alu instid0(VALU_DEP_3) | instskip(NEXT) | instid1(VALU_DEP_2)
	v_sub_f32_e32 v15, v5, v8
	v_cndmask_b32_e64 v11, 0, 1.0, s1
	s_delay_alu instid0(VALU_DEP_4) | instskip(NEXT) | instid1(VALU_DEP_2)
	v_cmp_ge_f32_e64 s1, |v13|, 0.5
	v_bfi_b32 v7, 0x7fffffff, v11, v7
	s_delay_alu instid0(VALU_DEP_2) | instskip(SKIP_2) | instid1(VALU_DEP_4)
	v_cndmask_b32_e64 v13, 0, 1.0, s1
	v_sub_f32_e32 v11, v2, v14
	v_cmp_ge_f32_e64 s1, |v15|, 0.5
	v_add_f32_e32 v7, v9, v7
	s_delay_alu instid0(VALU_DEP_4) | instskip(NEXT) | instid1(VALU_DEP_3)
	v_bfi_b32 v3, 0x7fffffff, v13, v3
	v_cndmask_b32_e64 v15, 0, 1.0, s1
	v_cmp_ge_f32_e64 s1, |v11|, 0.5
	s_delay_alu instid0(VALU_DEP_2) | instskip(NEXT) | instid1(VALU_DEP_2)
	v_bfi_b32 v5, 0x7fffffff, v15, v5
	v_cndmask_b32_e64 v9, 0, 1.0, s1
	s_delay_alu instid0(VALU_DEP_2) | instskip(NEXT) | instid1(VALU_DEP_2)
	v_add_f32_e32 v5, v8, v5
	v_bfi_b32 v2, 0x7fffffff, v9, v2
	s_delay_alu instid0(VALU_DEP_2) | instskip(NEXT) | instid1(VALU_DEP_2)
	v_cvt_i32_f32_e32 v5, v5
	v_add_f32_e32 v2, v14, v2
	v_cvt_i32_f32_e32 v7, v7
	s_delay_alu instid0(VALU_DEP_2) | instskip(SKIP_1) | instid1(VALU_DEP_3)
	v_cvt_i32_f32_e32 v2, v2
	v_add_f32_e32 v3, v10, v3
	v_and_b32_e32 v7, 0xff, v7
	s_delay_alu instid0(VALU_DEP_3) | instskip(NEXT) | instid1(VALU_DEP_3)
	v_and_b32_e32 v2, 0xff, v2
	v_cvt_i32_f32_e32 v3, v3
	s_delay_alu instid0(VALU_DEP_3) | instskip(NEXT) | instid1(VALU_DEP_2)
	v_lshlrev_b32_e32 v7, 16, v7
	v_and_b32_e32 v3, 0xff, v3
	s_delay_alu instid0(VALU_DEP_2) | instskip(NEXT) | instid1(VALU_DEP_2)
	v_lshl_or_b32 v5, v5, 24, v7
	v_lshlrev_b32_e32 v3, 8, v3
	s_delay_alu instid0(VALU_DEP_1)
	v_or3_b32 v8, v5, v3, v2
.LBB19_10:
	s_or_b32 exec_lo, exec_lo, s7
	v_and_b32_e32 v2, 7, v60
	s_mov_b32 s1, exec_lo
	ds_store_b32 v1, v8
	v_cmpx_eq_u32_e32 0, v2
	s_cbranch_execz .LBB19_12
; %bb.11:
	s_waitcnt lgkmcnt(1)
	v_dual_add_f32 v1, v4, v6 :: v_dual_add_nc_u32 v2, v62, v60
	ds_store_b64 v2, v[0:1] offset:128
.LBB19_12:
	s_or_b32 exec_lo, exec_lo, s1
.LBB19_13:
	s_delay_alu instid0(SALU_CYCLE_1)
	s_or_b32 exec_lo, exec_lo, s6
	v_and_b32_e32 v69, 1, v60
	s_waitcnt lgkmcnt(0)
	s_barrier
	buffer_gl0_inv
	s_cmp_eq_u64 s[26:27], 0
	v_lshlrev_b32_e32 v16, 2, v69
	s_mov_b32 s37, s36
	ds_load_b128 v[0:3], v12 offset:128
	ds_load_b128 v[4:7], v12 offset:144
	ds_load_2addr_b32 v[24:25], v16 offset1:2
	ds_load_2addr_b32 v[26:27], v16 offset0:4 offset1:6
	ds_load_2addr_b32 v[28:29], v16 offset0:8 offset1:10
	ds_load_2addr_b32 v[30:31], v16 offset0:12 offset1:14
	ds_load_2addr_b32 v[32:33], v16 offset0:16 offset1:18
	ds_load_2addr_b32 v[34:35], v16 offset0:20 offset1:22
	ds_load_2addr_b32 v[36:37], v16 offset0:24 offset1:26
	ds_load_2addr_b32 v[38:39], v16 offset0:28 offset1:30
	ds_load_2addr_b32 v[40:41], v16 offset0:64 offset1:66
	ds_load_2addr_b32 v[42:43], v16 offset0:68 offset1:70
	ds_load_2addr_b32 v[44:45], v16 offset0:72 offset1:74
	ds_load_2addr_b32 v[46:47], v16 offset0:76 offset1:78
	ds_load_2addr_b32 v[48:49], v16 offset0:80 offset1:82
	ds_load_b128 v[8:11], v12 offset:384
	ds_load_b128 v[12:15], v12 offset:400
	ds_load_2addr_b32 v[50:51], v16 offset0:84 offset1:86
	ds_load_2addr_b32 v[52:53], v16 offset0:88 offset1:90
	;; [unrolled: 1-line block ×3, first 2 shown]
	s_waitcnt lgkmcnt(0)
	s_barrier
	buffer_gl0_inv
	s_cbranch_scc1 .LBB19_15
; %bb.14:
	s_load_b32 s1, s[2:3], 0xd0
	s_mov_b32 s5, 0
	s_waitcnt lgkmcnt(0)
	s_mul_i32 s1, s1, s33
	s_delay_alu instid0(SALU_CYCLE_1) | instskip(NEXT) | instid1(SALU_CYCLE_1)
	s_add_i32 s4, s1, s13
	s_lshl_b64 s[4:5], s[4:5], 2
	s_delay_alu instid0(SALU_CYCLE_1)
	s_add_u32 s4, s26, s4
	s_addc_u32 s5, s27, s5
	s_load_b32 s37, s[4:5], 0x0
.LBB19_15:
	s_mov_b32 s16, 0
	s_mov_b32 s4, 0xfeffffff
	;; [unrolled: 1-line block ×3, first 2 shown]
	v_lshlrev_b32_e32 v17, 5, v61
	v_dual_mov_b32 v57, s17 :: v_dual_lshlrev_b32 v66, 2, v60
	v_mov_b32_e32 v56, s16
	s_mov_b32 s5, s4
	s_delay_alu instid0(VALU_DEP_3) | instskip(SKIP_3) | instid1(VALU_DEP_4)
	v_add_nc_u32_e32 v63, v17, v60
	v_mov_b32_e32 v59, s5
	v_dual_mov_b32 v58, s4 :: v_dual_add_nc_u32 v65, 0x600, v18
	v_mbcnt_lo_u32_b32 v68, -1, 0
	v_lshlrev_b32_e32 v64, 1, v63
	s_lshl_b32 s8, s14, 7
	s_waitcnt lgkmcnt(0)
	s_cmp_ge_i32 s8, s37
	s_cbranch_scc1 .LBB19_28
; %bb.16:
	s_clause 0x1
	s_load_b128 s[4:7], s[2:3], 0x98
	s_load_b64 s[26:27], s[2:3], 0x8c
	s_sub_i32 s1, 0, s43
	s_sub_i32 s10, 0, s38
	s_mul_i32 s1, s1, s41
	s_abs_i32 s17, s12
	s_mul_hi_u32 s1, s41, s1
	s_mul_i32 s10, s10, s40
	s_add_i32 s41, s41, s1
	s_mul_hi_u32 s1, s40, s10
	s_mul_hi_u32 s10, s17, s41
	s_add_i32 s1, s40, s1
	s_mul_i32 s40, s10, s43
	s_ashr_i32 s45, s12, 31
	s_ashr_i32 s42, s42, 31
	;; [unrolled: 1-line block ×3, first 2 shown]
	s_sub_i32 s17, s17, s40
	s_mul_i32 s13, s15, s39
	s_xor_b32 s39, s45, s42
	s_abs_i32 s44, s33
	s_waitcnt lgkmcnt(0)
	s_mul_i32 s5, s33, s5
	s_mul_hi_u32 s40, s33, s4
	s_mul_i32 s41, s11, s4
	s_add_i32 s42, s40, s5
	s_add_i32 s45, s10, 1
	s_sub_i32 s5, s17, s43
	s_add_i32 s42, s42, s41
	s_cmp_ge_u32 s17, s43
	s_mul_hi_u32 s1, s44, s1
	s_cselect_b32 s10, s45, s10
	s_cselect_b32 s5, s5, s17
	s_add_i32 s17, s10, 1
	s_cmp_ge_u32 s5, s43
	s_clause 0x2
	s_load_b64 s[40:41], s[2:3], 0xa8
	s_load_b64 s[48:49], s[2:3], 0xc8
	s_load_b32 s50, s[2:3], 0xd4
	s_cselect_b32 s5, s17, s10
	s_mul_i32 s1, s1, s38
	s_xor_b32 s5, s5, s39
	s_sub_i32 s1, s44, s1
	s_sub_i32 s45, s5, s39
	;; [unrolled: 1-line block ×3, first 2 shown]
	s_mul_i32 s43, s45, s27
	s_mul_i32 s45, s45, s7
	s_ashr_i32 s44, s43, 31
	s_ashr_i32 s46, s45, 31
	s_cmp_ge_u32 s1, s38
	v_and_b32_e32 v18, 0x7e, v60
	s_cselect_b32 s1, s5, s1
	v_bfe_u32 v87, v60, 3, 27
	s_sub_i32 s5, s1, s38
	s_cmp_ge_u32 s1, s38
	v_add_nc_u32_e32 v18, v17, v18
	s_cselect_b32 s5, s5, s1
	s_mov_b32 s9, s16
	s_xor_b32 s5, s5, s11
	v_mul_hi_u32_u24_e32 v88, 20, v87
	s_sub_i32 s17, s5, s11
	v_add_nc_u32_e32 v74, s36, v18
	s_waitcnt lgkmcnt(0)
	s_mul_i32 s5, s17, s49
	s_mul_hi_u32 s7, s17, s48
	s_ashr_i32 s10, s17, 31
	s_add_i32 s47, s7, s5
	s_mul_i32 s10, s10, s48
	s_ashr_i32 s5, s13, 31
	s_add_i32 s47, s47, s10
	s_cmp_lg_u64 s[22:23], 0
	v_ashrrev_i32_e32 v75, 31, v74
	s_cselect_b32 s27, -1, 0
	s_lshl_b32 s10, s50, 7
	s_cmp_lt_i32 s15, s34
	s_mul_i32 s50, s17, s48
	s_cselect_b32 s7, -1, 0
	s_or_b32 s38, s15, 1
	s_and_b32 s7, s27, s7
	s_cmp_lt_i32 s38, s34
	v_mul_u32_u24_e32 v87, 20, v87
	s_cselect_b32 s17, -1, 0
	s_ashr_i32 s51, s36, 31
	s_and_b32 s27, s27, s17
	s_add_u32 s49, s18, s43
	s_addc_u32 s48, s19, s44
	s_lshl_b64 s[38:39], s[8:9], 1
	v_add_co_u32 v85, s9, v18, s36
	s_delay_alu instid0(VALU_DEP_1)
	v_add_co_ci_u32_e64 v86, null, 0, s51, s9
	v_cmp_eq_u32_e64 s1, 0, v69
	v_lshlrev_b64 v[69:70], 1, v[74:75]
	v_mul_lo_u32 v90, v17, s6
	v_mad_u64_u32 v[95:96], null, s33, s40, v[87:88]
	s_add_u32 s9, s22, s38
	s_addc_u32 s17, s23, s39
	v_lshlrev_b64 v[85:86], 1, v[85:86]
	s_add_u32 s9, s9, s50
	s_addc_u32 s17, s17, s47
	v_add_co_u32 v69, vcc_lo, s9, v69
	s_mul_i32 s36, s33, s41
	s_mul_i32 s11, s11, s40
	v_add_co_ci_u32_e32 v70, vcc_lo, s17, v70, vcc_lo
	v_ashrrev_i32_e32 v91, 31, v90
	v_add3_u32 v96, s36, s11, v96
	v_add_co_u32 v85, vcc_lo, s9, v85
	v_and_b32_e32 v89, 12, v66
	v_add_co_ci_u32_e32 v86, vcc_lo, s17, v86, vcc_lo
	v_add_co_u32 v87, vcc_lo, v95, v90
	v_add_nc_u32_e32 v92, 31, v17
	v_add_co_ci_u32_e32 v88, vcc_lo, v96, v91, vcc_lo
	v_add_co_u32 v93, vcc_lo, v95, v89
	v_add_co_ci_u32_e32 v94, vcc_lo, 0, v96, vcc_lo
	s_delay_alu instid0(VALU_DEP_4) | instskip(SKIP_1) | instid1(VALU_DEP_4)
	v_mul_lo_u32 v97, s6, v92
	v_add_nc_u32_e32 v19, s6, v90
	v_add_co_u32 v89, vcc_lo, v93, v90
	s_delay_alu instid0(VALU_DEP_4) | instskip(NEXT) | instid1(VALU_DEP_3)
	v_add_co_ci_u32_e32 v90, vcc_lo, v94, v91, vcc_lo
	v_add_nc_u32_e32 v20, s6, v19
	v_add_co_u32 v93, vcc_lo, v93, s45
	v_add_nc_u32_e32 v99, 30, v17
	v_add_co_ci_u32_e32 v94, vcc_lo, s46, v94, vcc_lo
	v_ashrrev_i32_e32 v98, 31, v97
	v_add_nc_u32_e32 v21, s6, v20
	v_add_co_u32 v91, vcc_lo, v93, v97
	v_mul_lo_u32 v99, s6, v99
	v_add_nc_u32_e32 v100, 29, v17
	v_add_co_ci_u32_e32 v92, vcc_lo, v94, v98, vcc_lo
	v_add_co_u32 v113, vcc_lo, v95, s45
	v_add_nc_u32_e32 v22, s6, v21
	v_add_co_ci_u32_e32 v114, vcc_lo, s46, v96, vcc_lo
	v_mul_lo_u32 v103, s6, v100
	v_add_nc_u32_e32 v102, 28, v17
	v_add_co_u32 v95, vcc_lo, v113, v97
	v_ashrrev_i32_e32 v101, 31, v99
	v_add_nc_u32_e32 v23, s6, v22
	v_add_co_ci_u32_e32 v96, vcc_lo, v114, v98, vcc_lo
	v_add_co_u32 v97, vcc_lo, v93, v99
	v_mul_lo_u32 v107, s6, v102
	v_add_co_ci_u32_e32 v98, vcc_lo, v94, v101, vcc_lo
	v_add_nc_u32_e32 v105, 27, v17
	v_add_co_u32 v99, vcc_lo, v113, v99
	v_ashrrev_i32_e32 v104, 31, v103
	v_add_nc_u32_e32 v56, s6, v23
	v_add_co_ci_u32_e32 v100, vcc_lo, v114, v101, vcc_lo
	v_add_co_u32 v101, vcc_lo, v93, v103
	v_mul_lo_u32 v111, s6, v105
	v_add_co_ci_u32_e32 v102, vcc_lo, v94, v104, vcc_lo
	v_add_nc_u32_e32 v109, 26, v17
	v_add_nc_u32_e32 v57, s6, v56
	v_add_co_u32 v103, vcc_lo, v113, v103
	v_ashrrev_i32_e32 v108, 31, v107
	v_add_co_ci_u32_e32 v104, vcc_lo, v114, v104, vcc_lo
	v_add_co_u32 v105, vcc_lo, v93, v107
	v_mul_lo_u32 v117, s6, v109
	v_add_nc_u32_e32 v58, s6, v57
	v_add_co_ci_u32_e32 v106, vcc_lo, v94, v108, vcc_lo
	v_add_nc_u32_e32 v120, 25, v17
	v_add_co_u32 v107, vcc_lo, v113, v107
	v_ashrrev_i32_e32 v112, 31, v111
	v_add_co_ci_u32_e32 v108, vcc_lo, v114, v108, vcc_lo
	v_add_co_u32 v109, vcc_lo, v93, v111
	v_add_nc_u32_e32 v59, s6, v58
	v_mul_lo_u32 v120, s6, v120
	v_add_co_ci_u32_e32 v110, vcc_lo, v94, v112, vcc_lo
	v_add_nc_u32_e32 v119, 24, v17
	v_add_co_u32 v111, vcc_lo, v113, v111
	v_ashrrev_i32_e32 v118, 31, v117
	v_add_co_ci_u32_e32 v112, vcc_lo, v114, v112, vcc_lo
	v_add_nc_u32_e32 v71, s6, v59
	v_add_co_u32 v115, vcc_lo, v93, v117
	v_mul_lo_u32 v119, s6, v119
	v_add_co_ci_u32_e32 v116, vcc_lo, v94, v118, vcc_lo
	v_add_nc_u32_e32 v121, 23, v17
	v_add_co_u32 v117, vcc_lo, v113, v117
	v_ashrrev_i32_e32 v144, 31, v120
	v_add_nc_u32_e32 v72, s6, v71
	v_add_co_ci_u32_e32 v118, vcc_lo, v114, v118, vcc_lo
	v_add_co_u32 v146, vcc_lo, v93, v120
	v_mul_lo_u32 v121, s6, v121
	v_add_nc_u32_e32 v122, 22, v17
	v_add_co_ci_u32_e32 v147, vcc_lo, v94, v144, vcc_lo
	v_ashrrev_i32_e32 v126, 31, v119
	v_add_co_u32 v120, vcc_lo, v113, v120
	v_add_nc_u32_e32 v73, s6, v72
	v_add_co_ci_u32_e32 v144, vcc_lo, v114, v144, vcc_lo
	v_add_co_u32 v148, vcc_lo, v93, v119
	v_mul_lo_u32 v122, s6, v122
	v_add_nc_u32_e32 v123, 21, v17
	v_add_co_ci_u32_e32 v149, vcc_lo, v94, v126, vcc_lo
	v_add_nc_u32_e32 v74, s6, v73
	v_ashrrev_i32_e32 v127, 31, v121
	v_add_co_u32 v150, vcc_lo, v113, v119
	v_add_co_ci_u32_e32 v126, vcc_lo, v114, v126, vcc_lo
	v_add_co_u32 v151, vcc_lo, v93, v121
	v_mul_lo_u32 v123, s6, v123
	v_add_nc_u32_e32 v75, s6, v74
	v_add_nc_u32_e32 v124, 20, v17
	v_add_co_ci_u32_e32 v152, vcc_lo, v94, v127, vcc_lo
	v_ashrrev_i32_e32 v128, 31, v122
	v_add_co_u32 v153, vcc_lo, v113, v121
	v_add_co_ci_u32_e32 v154, vcc_lo, v114, v127, vcc_lo
	v_add_co_u32 v127, vcc_lo, v93, v122
	v_add_nc_u32_e32 v76, s6, v75
	v_mul_lo_u32 v124, s6, v124
	v_add_nc_u32_e32 v125, 19, v17
	v_add_co_ci_u32_e32 v155, vcc_lo, v94, v128, vcc_lo
	v_ashrrev_i32_e32 v129, 31, v123
	v_add_co_u32 v156, vcc_lo, v113, v122
	v_add_co_ci_u32_e32 v157, vcc_lo, v114, v128, vcc_lo
	v_add_nc_u32_e32 v79, s6, v76
	v_add_co_u32 v158, vcc_lo, v93, v123
	v_mul_lo_u32 v125, s6, v125
	v_add_co_ci_u32_e32 v159, vcc_lo, v94, v129, vcc_lo
	v_ashrrev_i32_e32 v130, 31, v124
	v_add_co_u32 v160, vcc_lo, v113, v123
	v_add_nc_u32_e32 v82, s6, v79
	v_add_co_ci_u32_e32 v161, vcc_lo, v114, v129, vcc_lo
	v_add_co_u32 v162, vcc_lo, v93, v124
	v_add_co_ci_u32_e32 v163, vcc_lo, v94, v130, vcc_lo
	v_ashrrev_i32_e32 v131, 31, v125
	v_add_co_u32 v164, vcc_lo, v113, v124
	v_add_nc_u32_e32 v84, s6, v82
	v_add_co_ci_u32_e32 v165, vcc_lo, v114, v130, vcc_lo
	v_add_co_u32 v166, vcc_lo, v93, v125
	v_add_co_ci_u32_e32 v167, vcc_lo, v94, v131, vcc_lo
	s_delay_alu instid0(VALU_DEP_4) | instskip(SKIP_3) | instid1(VALU_DEP_4)
	v_ashrrev_i32_e32 v132, 31, v84
	v_add_co_u32 v168, vcc_lo, v113, v125
	v_add_co_ci_u32_e32 v169, vcc_lo, v114, v131, vcc_lo
	v_add_co_u32 v170, vcc_lo, v93, v84
	v_add_co_ci_u32_e32 v171, vcc_lo, v94, v132, vcc_lo
	v_ashrrev_i32_e32 v83, 31, v82
	v_add_co_u32 v172, vcc_lo, v113, v84
	v_add_co_ci_u32_e32 v173, vcc_lo, v114, v132, vcc_lo
	v_add_co_u32 v174, vcc_lo, v93, v82
	s_delay_alu instid0(VALU_DEP_4) | instskip(SKIP_4) | instid1(VALU_DEP_4)
	v_add_co_ci_u32_e32 v175, vcc_lo, v94, v83, vcc_lo
	v_ashrrev_i32_e32 v81, 31, v79
	v_add_co_u32 v176, vcc_lo, v113, v82
	v_add_co_ci_u32_e32 v177, vcc_lo, v114, v83, vcc_lo
	v_add_co_u32 v178, vcc_lo, v93, v79
	v_add_co_ci_u32_e32 v179, vcc_lo, v94, v81, vcc_lo
	v_ashrrev_i32_e32 v80, 31, v76
	v_add_co_u32 v180, vcc_lo, v113, v79
	v_add_co_ci_u32_e32 v181, vcc_lo, v114, v81, vcc_lo
	v_add_co_u32 v182, vcc_lo, v93, v76
	s_delay_alu instid0(VALU_DEP_4) | instskip(SKIP_4) | instid1(VALU_DEP_4)
	v_add_co_ci_u32_e32 v183, vcc_lo, v94, v80, vcc_lo
	;; [unrolled: 11-line block ×7, first 2 shown]
	v_ashrrev_i32_e32 v141, 31, v22
	v_add_co_u32 v23, vcc_lo, v113, v23
	v_add_co_ci_u32_e32 v220, vcc_lo, v114, v140, vcc_lo
	v_add_co_u32 v221, vcc_lo, v93, v22
	v_add_co_ci_u32_e32 v222, vcc_lo, v94, v141, vcc_lo
	v_ashrrev_i32_e32 v142, 31, v21
	v_add_co_u32 v22, vcc_lo, v113, v22
	v_add_co_ci_u32_e32 v223, vcc_lo, v114, v141, vcc_lo
	v_add_co_u32 v224, vcc_lo, v93, v21
	s_delay_alu instid0(VALU_DEP_4)
	v_add_co_ci_u32_e32 v225, vcc_lo, v94, v142, vcc_lo
	v_ashrrev_i32_e32 v143, 31, v20
	v_add_co_u32 v21, vcc_lo, v113, v21
	v_add_co_ci_u32_e32 v226, vcc_lo, v114, v142, vcc_lo
	v_and_b32_e32 v71, 30, v68
	v_add_co_u32 v227, vcc_lo, v93, v20
	v_add_co_ci_u32_e32 v228, vcc_lo, v94, v143, vcc_lo
	v_ashrrev_i32_e32 v145, 31, v19
	v_add_co_u32 v20, vcc_lo, v113, v20
	v_add_nc_u32_e32 v71, 2, v71
	v_xor_b32_e32 v72, 1, v68
	v_add_co_ci_u32_e32 v229, vcc_lo, v114, v143, vcc_lo
	v_add_co_u32 v230, vcc_lo, v93, v19
	v_add_co_ci_u32_e32 v231, vcc_lo, v94, v145, vcc_lo
	s_delay_alu instid0(VALU_DEP_4)
	v_cmp_lt_i32_e32 vcc_lo, v72, v71
	v_mul_lo_u32 v93, v18, s26
	v_xor_b32_e32 v73, 8, v68
	v_xor_b32_e32 v74, 16, v68
	s_mul_i32 s4, s33, s4
	v_cndmask_b32_e32 v71, v68, v72, vcc_lo
	v_add_co_u32 v232, vcc_lo, v113, v19
	v_xor_b32_e32 v19, 2, v68
	v_add_co_ci_u32_e32 v233, vcc_lo, v114, v145, vcc_lo
	v_xor_b32_e32 v72, 4, v68
	v_add_nc_u32_e32 v81, s26, v93
	s_delay_alu instid0(VALU_DEP_4) | instskip(SKIP_2) | instid1(VALU_DEP_1)
	v_cmp_gt_i32_e32 vcc_lo, 32, v19
	s_mov_b32 s11, s16
	v_add_co_u32 v16, s16, s4, v16
	v_add_co_ci_u32_e64 v82, null, s42, 0, s16
	v_cndmask_b32_e32 v19, v68, v19, vcc_lo
	v_cmp_gt_i32_e32 vcc_lo, 32, v72
	s_lshl_b64 s[16:17], s[10:11], 1
	v_lshlrev_b32_e32 v18, 1, v18
	s_add_u32 s11, s50, s38
	s_addc_u32 s36, s47, s39
	v_cndmask_b32_e32 v75, v68, v72, vcc_lo
	v_cmp_gt_i32_e32 vcc_lo, 32, v73
	v_lshlrev_b32_e32 v72, 2, v19
	v_ashrrev_i32_e32 v19, 31, v81
	s_add_u32 s11, s22, s11
	s_addc_u32 s22, s23, s36
	v_cndmask_b32_e32 v76, v68, v73, vcc_lo
	v_cmp_gt_i32_e32 vcc_lo, 32, v74
	v_add_co_u32 v18, s11, s11, v18
	v_lshlrev_b32_e32 v73, 2, v75
	v_add_co_ci_u32_e64 v80, null, s22, 0, s11
	v_dual_cndmask_b32 v77, v68, v74 :: v_dual_lshlrev_b32 v74, 2, v76
	v_lshlrev_b32_e32 v76, 1, v17
	v_add_co_u32 v17, vcc_lo, v16, v81
	v_add_co_ci_u32_e32 v78, vcc_lo, v82, v19, vcc_lo
	s_delay_alu instid0(VALU_DEP_4) | instskip(NEXT) | instid1(VALU_DEP_3)
	v_lshlrev_b32_e32 v75, 2, v77
	v_add_co_u32 v77, vcc_lo, s49, v17
	s_delay_alu instid0(VALU_DEP_3)
	v_add_co_ci_u32_e32 v78, vcc_lo, s48, v78, vcc_lo
	v_add_co_u32 v79, vcc_lo, v18, 2
	v_add_co_ci_u32_e32 v80, vcc_lo, 0, v80, vcc_lo
	v_add_co_u32 v16, vcc_lo, v16, s43
	v_add_co_ci_u32_e32 v17, vcc_lo, s44, v82, vcc_lo
	v_ashrrev_i32_e32 v18, 31, v93
	s_delay_alu instid0(VALU_DEP_3) | instskip(SKIP_2) | instid1(VALU_DEP_2)
	v_add_co_u32 v16, vcc_lo, v16, v93
	s_add_u32 s11, s49, s4
	s_addc_u32 s22, s48, s42
	v_add_co_ci_u32_e32 v17, vcc_lo, v17, v18, vcc_lo
	v_add_co_u32 v81, vcc_lo, s11, v81
	v_add_co_ci_u32_e32 v82, vcc_lo, s22, v19, vcc_lo
	v_add_co_u32 v83, vcc_lo, s18, v16
	s_delay_alu instid0(VALU_DEP_4)
	v_add_co_ci_u32_e32 v84, vcc_lo, s19, v17, vcc_lo
	v_add_co_u32 v85, vcc_lo, v85, 2
	s_add_u32 s11, s20, s45
	v_add_co_ci_u32_e32 v86, vcc_lo, 0, v86, vcc_lo
	s_addc_u32 s22, s21, s46
	v_add_co_u32 v16, vcc_lo, s11, v89
	v_add_co_ci_u32_e32 v17, vcc_lo, s22, v90, vcc_lo
	v_add_co_u32 v87, vcc_lo, s11, v87
	v_add_co_ci_u32_e32 v88, vcc_lo, s22, v88, vcc_lo
	s_add_u32 s4, s4, s43
	v_add_co_u32 v89, vcc_lo, v16, 4
	s_addc_u32 s11, s42, s44
	s_add_u32 s4, s18, s4
	v_add_co_ci_u32_e32 v90, vcc_lo, 0, v17, vcc_lo
	s_addc_u32 s11, s19, s11
	v_add_co_u32 v16, vcc_lo, s4, v93
	v_add_co_ci_u32_e32 v17, vcc_lo, s11, v18, vcc_lo
	v_add_co_u32 v18, vcc_lo, v91, s20
	v_add_co_ci_u32_e32 v19, vcc_lo, s21, v92, vcc_lo
	s_delay_alu instid0(VALU_DEP_4) | instskip(NEXT) | instid1(VALU_DEP_4)
	v_add_co_u32 v91, vcc_lo, v16, 60
	v_add_co_ci_u32_e32 v92, vcc_lo, 0, v17, vcc_lo
	s_delay_alu instid0(VALU_DEP_4) | instskip(NEXT) | instid1(VALU_DEP_4)
	v_add_co_u32 v93, vcc_lo, v18, 4
	v_add_co_ci_u32_e32 v94, vcc_lo, 0, v19, vcc_lo
	v_add_co_u32 v16, vcc_lo, v97, s20
	v_add_co_ci_u32_e32 v17, vcc_lo, s21, v98, vcc_lo
	v_add_co_u32 v95, vcc_lo, s20, v95
	v_add_co_ci_u32_e32 v96, vcc_lo, s21, v96, vcc_lo
	s_delay_alu instid0(VALU_DEP_4) | instskip(NEXT) | instid1(VALU_DEP_4)
	v_add_co_u32 v97, vcc_lo, v16, 4
	v_add_co_ci_u32_e32 v98, vcc_lo, 0, v17, vcc_lo
	v_add_co_u32 v16, vcc_lo, v101, s20
	v_add_co_ci_u32_e32 v17, vcc_lo, s21, v102, vcc_lo
	;; [unrolled: 7-line block ×29, first 2 shown]
	v_add_co_u32 v207, vcc_lo, s20, v21
	v_add_co_ci_u32_e32 v208, vcc_lo, s21, v226, vcc_lo
	s_delay_alu instid0(VALU_DEP_4) | instskip(NEXT) | instid1(VALU_DEP_4)
	v_add_co_u32 v209, vcc_lo, v16, 4
	v_add_co_ci_u32_e32 v210, vcc_lo, 0, v17, vcc_lo
	ds_load_b128 v[16:19], v65
	v_add_co_u32 v21, vcc_lo, v230, s20
	v_add_co_ci_u32_e32 v22, vcc_lo, s21, v231, vcc_lo
	v_add_co_u32 v211, vcc_lo, s20, v20
	v_add_co_ci_u32_e32 v212, vcc_lo, s21, v229, vcc_lo
	s_delay_alu instid0(VALU_DEP_4)
	v_add_co_u32 v213, vcc_lo, v21, 4
	v_mov_b32_e32 v21, 0xfeffffff
	v_add_co_ci_u32_e32 v214, vcc_lo, 0, v22, vcc_lo
	v_add_co_u32 v215, vcc_lo, s20, v232
	v_lshlrev_b32_e32 v71, 2, v71
	v_add_co_ci_u32_e32 v216, vcc_lo, s21, v233, vcc_lo
	v_dual_mov_b32 v56, 0 :: v_dual_mov_b32 v57, 0
	v_dual_mov_b32 v20, 0xfeffffff :: v_dual_and_b32 v217, 4, v60
	s_mul_i32 s9, s8, s6
	s_mul_i32 s11, s8, s26
	;; [unrolled: 1-line block ×4, first 2 shown]
                                        ; implicit-def: $vgpr218
.LBB19_17:                              ; =>This Inner Loop Header: Depth=1
	v_add_co_u32 v22, vcc_lo, v83, s11
	v_add_co_ci_u32_e32 v23, vcc_lo, 0, v84, vcc_lo
	v_add_co_u32 v58, vcc_lo, v91, s11
	v_add_co_ci_u32_e32 v59, vcc_lo, 0, v92, vcc_lo
	s_and_b32 vcc_lo, exec_lo, s7
	global_load_b32 v219, v[22:23], off offset:4
	global_load_b32 v220, v[58:59], off offset:-60
	s_clause 0x1
	global_load_b32 v221, v[22:23], off offset:12
	global_load_b32 v222, v[22:23], off offset:24
	global_load_b32 v223, v[58:59], off offset:-40
	s_clause 0x1
	global_load_b32 v225, v[22:23], off offset:32
	;; [unrolled: 4-line block ×3, first 2 shown]
	global_load_b32 v233, v[22:23], off offset:64
	global_load_b32 v235, v[58:59], off
	global_load_b32 v22, v[22:23], off offset:72
	s_waitcnt vmcnt(11)
	v_lshrrev_b32_e32 v237, 4, v219
	s_waitcnt vmcnt(10)
	v_lshrrev_b32_e32 v236, 16, v220
	;; [unrolled: 2-line block ×3, first 2 shown]
	v_cvt_f32_f16_e64 v232, v220
	s_waitcnt vmcnt(8)
	v_and_b32_e32 v228, 0xf0f0f0f, v222
	s_waitcnt vmcnt(7)
	v_cvt_f32_f16_e64 v227, v223
	v_lshrrev_b32_e32 v223, 16, v223
	v_lshrrev_b32_e32 v222, 4, v222
	v_cvt_f32_f16_e64 v238, v236
	v_and_b32_e32 v234, 0xf0f0f0f, v219
	v_and_b32_e32 v236, 0xf0f0f0f, v239
	v_dual_mul_f32 v246, v2, v227 :: v_dual_and_b32 v231, 0xf0f0f0f, v221
	s_waitcnt vmcnt(6)
	v_and_b32_e32 v224, 0xf0f0f0f, v225
	v_lshrrev_b32_e32 v225, 4, v225
	s_waitcnt vmcnt(4)
	v_cvt_f32_f16_e64 v220, v229
	v_lshrrev_b32_e32 v229, 16, v229
	s_waitcnt vmcnt(3)
	v_and_b32_e32 v219, 0xf0f0f0f, v230
	v_lshrrev_b32_e32 v241, 4, v230
	s_waitcnt vmcnt(2)
	v_and_b32_e32 v59, 0xf0f0f0f, v233
	v_lshrrev_b32_e32 v242, 4, v233
	v_cvt_f32_f16_e64 v233, v223
	v_and_b32_e32 v230, 0xf0f0f0f, v222
	v_mul_f32_e32 v223, v1, v238
	v_dot4_i32_iu8 v222, v234, v24, 0 neg_lo:[1,1,0]
	v_dot4_i32_iu8 v245, v236, v27, 0 neg_lo:[1,1,0]
	v_mul_f32_e32 v247, v3, v233
	v_lshrrev_b32_e32 v240, 4, v226
	v_and_b32_e32 v237, 0xf0f0f0f, v237
	v_dot4_i32_iu8 v239, v231, v25, 0 neg_lo:[1,1,0]
	v_cvt_f32_i32_e32 v243, v222
	v_mul_f32_e32 v244, 0x3e000000, v223
	v_cvt_f32_i32_e32 v245, v245
	v_and_b32_e32 v221, 0xf0f0f0f, v226
	v_and_b32_e32 v226, 0xf0f0f0f, v225
	v_cvt_f32_f16_e64 v225, v229
	v_mul_f32_e32 v229, v0, v232
	v_and_b32_e32 v223, 0xf0f0f0f, v240
	v_and_b32_e32 v222, 0xf0f0f0f, v241
	v_dot4_i32_iu8 v240, v237, v26, 0 neg_lo:[1,1,0]
	v_cvt_f32_i32_e32 v239, v239
	v_fma_f32 v241, v229, v243, v244
	v_dot4_i32_iu8 v243, v228, v28, 0 neg_lo:[1,1,0]
	s_waitcnt vmcnt(1)
	v_cvt_f32_f16_e64 v58, v235
	v_cvt_f32_i32_e32 v240, v240
	v_fma_f32 v239, v229, v239, v244
	v_add_f32_e32 v241, 0, v241
	v_lshrrev_b32_e32 v235, 16, v235
	v_cvt_f32_i32_e32 v243, v243
	v_fma_f32 v240, v229, v240, v244
	v_mul_f32_e32 v247, 0x3e000000, v247
	v_add_f32_e32 v239, v241, v239
	v_dot4_i32_iu8 v241, v224, v29, 0 neg_lo:[1,1,0]
	v_fmac_f32_e32 v244, v229, v245
	v_cvt_f32_f16_e64 v229, v235
	v_mul_f32_e32 v245, v5, v225
	v_add_f32_e32 v239, v239, v240
	v_cvt_f32_i32_e32 v235, v241
	v_dot4_i32_iu8 v240, v230, v30, 0 neg_lo:[1,1,0]
	v_fma_f32 v241, v246, v243, v247
	v_dot4_i32_iu8 v243, v221, v32, 0 neg_lo:[1,1,0]
	v_add_f32_e32 v239, v239, v244
	v_dot4_i32_iu8 v244, v226, v31, 0 neg_lo:[1,1,0]
	v_cvt_f32_i32_e32 v240, v240
	v_fma_f32 v235, v246, v235, v247
	v_cvt_f32_i32_e32 v243, v243
	v_add_f32_e32 v239, v239, v241
	v_cvt_f32_i32_e32 v244, v244
	v_fma_f32 v240, v246, v240, v247
	v_mul_f32_e32 v241, v4, v220
	v_mul_f32_e32 v245, 0x3e000000, v245
	v_add_f32_e32 v235, v239, v235
	v_fmac_f32_e32 v247, v246, v244
	v_dot4_i32_iu8 v246, v222, v35, 0 neg_lo:[1,1,0]
	s_delay_alu instid0(VALU_DEP_4) | instskip(NEXT) | instid1(VALU_DEP_4)
	v_fma_f32 v243, v241, v243, v245
	v_add_f32_e32 v240, v235, v240
	v_dot4_i32_iu8 v239, v219, v33, 0 neg_lo:[1,1,0]
	v_and_b32_e32 v235, 0xf0f0f0f, v242
	v_dot4_i32_iu8 v242, v223, v34, 0 neg_lo:[1,1,0]
	v_cvt_f32_i32_e32 v246, v246
	v_add_f32_e32 v240, v240, v247
	v_cvt_f32_i32_e32 v239, v239
	s_waitcnt vmcnt(0)
	v_and_b32_e32 v23, 0xf0f0f0f, v22
	v_cvt_f32_i32_e32 v242, v242
	v_dot4_i32_iu8 v244, v59, v36, 0 neg_lo:[1,1,0]
	v_add_f32_e32 v240, v240, v243
	v_fma_f32 v239, v241, v239, v245
	v_mul_f32_e32 v247, v7, v229
	v_fma_f32 v242, v241, v242, v245
	v_lshrrev_b32_e32 v22, 4, v22
	v_mul_f32_e32 v243, v6, v58
	v_add_f32_e32 v239, v240, v239
	v_dot4_i32_iu8 v240, v23, v37, 0 neg_lo:[1,1,0]
	v_cvt_f32_i32_e32 v244, v244
	v_mul_f32_e32 v247, 0x3e000000, v247
	v_fmac_f32_e32 v245, v241, v246
	v_add_f32_e32 v241, v239, v242
	v_and_b32_e32 v239, 0xf0f0f0f, v22
	v_cvt_f32_i32_e32 v22, v240
	v_dot4_i32_iu8 v240, v235, v38, 0 neg_lo:[1,1,0]
	v_fma_f32 v242, v243, v244, v247
	v_add_f32_e32 v241, v241, v245
	v_dot4_i32_iu8 v244, v239, v39, 0 neg_lo:[1,1,0]
	v_fma_f32 v22, v243, v22, v247
	v_cvt_f32_i32_e32 v240, v240
	s_delay_alu instid0(VALU_DEP_4) | instskip(NEXT) | instid1(VALU_DEP_4)
	v_add_f32_e32 v241, v241, v242
	v_cvt_f32_i32_e32 v242, v244
	s_delay_alu instid0(VALU_DEP_3) | instskip(NEXT) | instid1(VALU_DEP_3)
	v_fma_f32 v240, v243, v240, v247
	v_add_f32_e32 v22, v241, v22
	s_delay_alu instid0(VALU_DEP_1) | instskip(NEXT) | instid1(VALU_DEP_1)
	v_dual_fmac_f32 v247, v243, v242 :: v_dual_add_f32 v22, v22, v240
	v_add_f32_e32 v22, v22, v247
	ds_bpermute_b32 v240, v71, v22
	s_waitcnt lgkmcnt(0)
	v_add_f32_e32 v22, v22, v240
	s_cbranch_vccz .LBB19_19
; %bb.18:                               ;   in Loop: Header=BB19_17 Depth=1
	v_add_co_u32 v240, vcc_lo, v79, s13
	v_add_co_ci_u32_e32 v241, vcc_lo, s5, v80, vcc_lo
	global_load_u16 v240, v[240:241], off offset:-2
	s_waitcnt vmcnt(0)
	v_fma_mix_f32 v22, v67, v240, v22 op_sel_hi:[0,1,0]
.LBB19_19:                              ;   in Loop: Header=BB19_17 Depth=1
	v_dot4_i32_iu8 v234, v234, v40, 0 neg_lo:[1,1,0]
	v_dual_mul_f32 v238, v9, v238 :: v_dual_mul_f32 v227, v10, v227
	v_dual_mul_f32 v232, v8, v232 :: v_dual_mul_f32 v233, v11, v233
	v_dot4_i32_iu8 v231, v231, v41, 0 neg_lo:[1,1,0]
	s_delay_alu instid0(VALU_DEP_4) | instskip(NEXT) | instid1(VALU_DEP_4)
	v_cvt_f32_i32_e32 v234, v234
	v_mul_f32_e32 v238, 0x3e000000, v238
	v_dot4_i32_iu8 v237, v237, v42, 0 neg_lo:[1,1,0]
	v_dot4_i32_iu8 v236, v236, v43, 0 neg_lo:[1,1,0]
	v_cvt_f32_i32_e32 v231, v231
	v_dot4_i32_iu8 v228, v228, v44, 0 neg_lo:[1,1,0]
	v_fma_f32 v234, v232, v234, v238
	v_cvt_f32_i32_e32 v237, v237
	v_cvt_f32_i32_e32 v236, v236
	v_fma_f32 v231, v232, v231, v238
	s_delay_alu instid0(VALU_DEP_4)
	v_dual_mul_f32 v233, 0x3e000000, v233 :: v_dual_add_f32 v234, 0, v234
	v_dot4_i32_iu8 v224, v224, v45, 0 neg_lo:[1,1,0]
	v_cvt_f32_i32_e32 v228, v228
	v_dot4_i32_iu8 v230, v230, v46, 0 neg_lo:[1,1,0]
	v_dot4_i32_iu8 v226, v226, v47, 0 neg_lo:[1,1,0]
	v_add_f32_e32 v231, v234, v231
	v_fma_f32 v237, v232, v237, v238
	v_fmac_f32_e32 v238, v232, v236
	v_cvt_f32_i32_e32 v224, v224
	v_fma_f32 v228, v227, v228, v233
	v_cvt_f32_i32_e32 v230, v230
	v_add_f32_e32 v231, v231, v237
	v_dot4_i32_iu8 v219, v219, v49, 0 neg_lo:[1,1,0]
	v_fma_f32 v224, v227, v224, v233
	v_mul_f32_e32 v220, v12, v220
	v_dot4_i32_iu8 v221, v221, v48, 0 neg_lo:[1,1,0]
	v_add_f32_e32 v231, v231, v238
	v_cvt_f32_i32_e32 v226, v226
	v_mul_f32_e32 v225, v13, v225
	v_fma_f32 v230, v227, v230, v233
	v_dot4_i32_iu8 v223, v223, v50, 0 neg_lo:[1,1,0]
	v_add_f32_e32 v228, v231, v228
	v_cvt_f32_i32_e32 v219, v219
	v_mul_f32_e32 v225, 0x3e000000, v225
	v_cvt_f32_i32_e32 v221, v221
	s_delay_alu instid0(VALU_DEP_4) | instskip(SKIP_1) | instid1(VALU_DEP_4)
	v_dual_fmac_f32 v233, v227, v226 :: v_dual_add_f32 v224, v228, v224
	v_cvt_f32_i32_e32 v223, v223
	v_fma_f32 v219, v220, v219, v225
	s_delay_alu instid0(VALU_DEP_4)
	v_fma_f32 v221, v220, v221, v225
	v_dot4_i32_iu8 v222, v222, v51, 0 neg_lo:[1,1,0]
	v_add_f32_e32 v224, v224, v230
	v_fma_f32 v223, v220, v223, v225
	v_dot4_i32_iu8 v59, v59, v52, 0 neg_lo:[1,1,0]
	v_dot4_i32_iu8 v23, v23, v53, 0 neg_lo:[1,1,0]
	v_cvt_f32_i32_e32 v222, v222
	v_add_f32_e32 v224, v224, v233
	s_and_not1_b32 vcc_lo, exec_lo, s27
	v_mul_f32_e32 v58, v14, v58
	v_cvt_f32_i32_e32 v59, v59
	v_fmac_f32_e32 v225, v220, v222
	v_add_f32_e32 v221, v224, v221
	v_mul_f32_e32 v224, v15, v229
	v_dot4_i32_iu8 v220, v235, v54, 0 neg_lo:[1,1,0]
	v_cvt_f32_i32_e32 v23, v23
	s_delay_alu instid0(VALU_DEP_4) | instskip(NEXT) | instid1(VALU_DEP_4)
	v_add_f32_e32 v219, v221, v219
	v_mul_f32_e32 v221, 0x3e000000, v224
	s_delay_alu instid0(VALU_DEP_4) | instskip(NEXT) | instid1(VALU_DEP_3)
	v_cvt_f32_i32_e32 v220, v220
	v_add_f32_e32 v219, v219, v223
	s_delay_alu instid0(VALU_DEP_3) | instskip(SKIP_1) | instid1(VALU_DEP_4)
	v_fma_f32 v59, v58, v59, v221
	v_fma_f32 v23, v58, v23, v221
	;; [unrolled: 1-line block ×3, first 2 shown]
	s_delay_alu instid0(VALU_DEP_4) | instskip(NEXT) | instid1(VALU_DEP_1)
	v_add_f32_e32 v219, v219, v225
	v_add_f32_e32 v59, v219, v59
	v_dot4_i32_iu8 v219, v239, v55, 0 neg_lo:[1,1,0]
	s_delay_alu instid0(VALU_DEP_2) | instskip(NEXT) | instid1(VALU_DEP_2)
	v_add_f32_e32 v23, v59, v23
	v_cvt_f32_i32_e32 v59, v219
	s_delay_alu instid0(VALU_DEP_2) | instskip(NEXT) | instid1(VALU_DEP_2)
	v_add_f32_e32 v23, v23, v220
	v_fmac_f32_e32 v221, v58, v59
	s_delay_alu instid0(VALU_DEP_1)
	v_add_f32_e32 v23, v23, v221
	ds_bpermute_b32 v58, v71, v23
	s_waitcnt lgkmcnt(0)
	v_add_f32_e32 v23, v23, v58
	s_cbranch_vccnz .LBB19_21
; %bb.20:                               ;   in Loop: Header=BB19_17 Depth=1
	v_add_co_u32 v58, vcc_lo, v69, s13
	v_add_co_ci_u32_e32 v59, vcc_lo, s5, v70, vcc_lo
	global_load_u16 v58, v[58:59], off
	s_waitcnt vmcnt(0)
	v_fma_mix_f32 v23, v67, v58, v23 op_sel_hi:[0,1,0]
.LBB19_21:                              ;   in Loop: Header=BB19_17 Depth=1
	v_add_co_u32 v58, vcc_lo, v77, s11
	v_add_co_ci_u32_e32 v59, vcc_lo, 0, v78, vcc_lo
	v_add_co_u32 v219, vcc_lo, v81, s11
	v_add_co_ci_u32_e32 v220, vcc_lo, 0, v82, vcc_lo
	s_and_not1_b32 vcc_lo, exec_lo, s7
	global_load_b32 v221, v[58:59], off offset:4
	global_load_b32 v222, v[219:220], off
	s_clause 0x1
	global_load_b32 v223, v[58:59], off offset:12
	global_load_b32 v224, v[58:59], off offset:24
	global_load_b32 v225, v[219:220], off offset:20
	s_clause 0x1
	global_load_b32 v227, v[58:59], off offset:32
	global_load_b32 v228, v[58:59], off offset:44
	global_load_b32 v231, v[219:220], off offset:40
	;; [unrolled: 4-line block ×3, first 2 shown]
	global_load_b32 v241, v[58:59], off offset:72
	s_waitcnt vmcnt(11)
	v_lshrrev_b32_e32 v238, 4, v221
	s_waitcnt vmcnt(10)
	v_lshrrev_b32_e32 v237, 16, v222
	;; [unrolled: 2-line block ×3, first 2 shown]
	v_cvt_f32_f16_e64 v235, v222
	s_waitcnt vmcnt(7)
	v_cvt_f32_f16_e64 v229, v225
	v_and_b32_e32 v233, 0xf0f0f0f, v223
	v_lshrrev_b32_e32 v225, 16, v225
	v_cvt_f32_f16_e64 v240, v237
	v_and_b32_e32 v236, 0xf0f0f0f, v221
	v_dual_mul_f32 v237, v0, v235 :: v_dual_and_b32 v230, 0xf0f0f0f, v224
	v_lshrrev_b32_e32 v224, 4, v224
	s_waitcnt vmcnt(2)
	v_and_b32_e32 v220, 0xf0f0f0f, v234
	s_waitcnt vmcnt(1)
	v_cvt_f32_f16_e64 v59, v219
	v_lshrrev_b32_e32 v245, 4, v234
	v_and_b32_e32 v239, 0xf0f0f0f, v238
	v_and_b32_e32 v238, 0xf0f0f0f, v242
	v_cvt_f32_f16_e64 v234, v225
	v_dual_mul_f32 v225, v1, v240 :: v_dual_mul_f32 v248, v2, v229
	v_dot4_i32_iu8 v242, v233, v25, 0 neg_lo:[1,1,0]
	s_delay_alu instid0(VALU_DEP_3)
	v_dual_mul_f32 v249, v3, v234 :: v_dual_and_b32 v226, 0xf0f0f0f, v227
	v_lshrrev_b32_e32 v227, 4, v227
	v_cvt_f32_f16_e64 v222, v231
	v_lshrrev_b32_e32 v243, 16, v231
	v_and_b32_e32 v231, 0xf0f0f0f, v224
	v_dot4_i32_iu8 v224, v236, v24, 0 neg_lo:[1,1,0]
	v_mul_f32_e32 v246, 0x3e000000, v225
	v_cvt_f32_i32_e32 v242, v242
	v_dot4_i32_iu8 v247, v238, v27, 0 neg_lo:[1,1,0]
	v_lshrrev_b32_e32 v244, 4, v228
	v_lshrrev_b32_e32 v219, 16, v219
	v_mul_f32_e32 v249, 0x3e000000, v249
	v_fma_f32 v242, v237, v242, v246
	v_and_b32_e32 v223, 0xf0f0f0f, v228
	v_and_b32_e32 v228, 0xf0f0f0f, v227
	v_cvt_f32_f16_e64 v227, v243
	v_cvt_f32_i32_e32 v243, v224
	v_cvt_f32_i32_e32 v247, v247
	v_and_b32_e32 v221, 0xf0f0f0f, v232
	v_lshrrev_b32_e32 v232, 4, v232
	v_and_b32_e32 v225, 0xf0f0f0f, v244
	v_fma_f32 v243, v237, v243, v246
	v_dot4_i32_iu8 v244, v230, v28, 0 neg_lo:[1,1,0]
	s_delay_alu instid0(VALU_DEP_4) | instskip(SKIP_1) | instid1(VALU_DEP_4)
	v_and_b32_e32 v224, 0xf0f0f0f, v232
	v_dot4_i32_iu8 v232, v239, v26, 0 neg_lo:[1,1,0]
	v_add_f32_e32 v243, 0, v243
	s_delay_alu instid0(VALU_DEP_4) | instskip(NEXT) | instid1(VALU_DEP_3)
	v_cvt_f32_i32_e32 v244, v244
	v_cvt_f32_i32_e32 v232, v232
	s_delay_alu instid0(VALU_DEP_3) | instskip(SKIP_1) | instid1(VALU_DEP_3)
	v_add_f32_e32 v242, v243, v242
	v_dot4_i32_iu8 v243, v226, v29, 0 neg_lo:[1,1,0]
	v_fma_f32 v232, v237, v232, v246
	s_waitcnt vmcnt(0)
	v_and_b32_e32 v58, 0xf0f0f0f, v241
	v_fmac_f32_e32 v246, v237, v247
	v_mul_f32_e32 v247, v5, v227
	v_dot4_i32_iu8 v250, v221, v33, 0 neg_lo:[1,1,0]
	v_add_f32_e32 v237, v242, v232
	v_cvt_f32_f16_e64 v232, v219
	v_cvt_f32_i32_e32 v219, v243
	v_dot4_i32_iu8 v242, v231, v30, 0 neg_lo:[1,1,0]
	v_fma_f32 v243, v248, v244, v249
	v_add_f32_e32 v237, v237, v246
	v_dot4_i32_iu8 v246, v228, v31, 0 neg_lo:[1,1,0]
	v_fma_f32 v219, v248, v219, v249
	v_cvt_f32_i32_e32 v242, v242
	v_dot4_i32_iu8 v244, v223, v32, 0 neg_lo:[1,1,0]
	v_add_f32_e32 v237, v237, v243
	v_cvt_f32_i32_e32 v246, v246
	v_mul_f32_e32 v243, v4, v222
	v_fma_f32 v242, v248, v242, v249
	v_cvt_f32_i32_e32 v244, v244
	v_add_f32_e32 v219, v237, v219
	v_mul_f32_e32 v247, 0x3e000000, v247
	v_fmac_f32_e32 v249, v248, v246
	v_and_b32_e32 v237, 0xf0f0f0f, v245
	v_dot4_i32_iu8 v245, v225, v34, 0 neg_lo:[1,1,0]
	v_add_f32_e32 v219, v219, v242
	v_cvt_f32_i32_e32 v242, v250
	v_fma_f32 v244, v243, v244, v247
	v_dot4_i32_iu8 v248, v224, v35, 0 neg_lo:[1,1,0]
	v_cvt_f32_i32_e32 v245, v245
	v_add_f32_e32 v219, v219, v249
	v_fma_f32 v242, v243, v242, v247
	v_dot4_i32_iu8 v246, v220, v36, 0 neg_lo:[1,1,0]
	v_mul_f32_e32 v249, v7, v232
	v_cvt_f32_i32_e32 v248, v248
	v_add_f32_e32 v219, v219, v244
	v_fma_f32 v245, v243, v245, v247
	v_mul_f32_e32 v244, v6, v59
	v_cvt_f32_i32_e32 v246, v246
	v_mul_f32_e32 v249, 0x3e000000, v249
	v_add_f32_e32 v219, v219, v242
	v_dot4_i32_iu8 v242, v58, v37, 0 neg_lo:[1,1,0]
	v_fmac_f32_e32 v247, v243, v248
	v_lshrrev_b32_e32 v241, 4, v241
	v_dot4_i32_iu8 v243, v237, v38, 0 neg_lo:[1,1,0]
	v_add_f32_e32 v219, v219, v245
	v_cvt_f32_i32_e32 v242, v242
	v_fma_f32 v245, v244, v246, v249
	v_and_b32_e32 v241, 0xf0f0f0f, v241
	v_cvt_f32_i32_e32 v243, v243
	v_add_f32_e32 v219, v219, v247
	v_fma_f32 v242, v244, v242, v249
	s_delay_alu instid0(VALU_DEP_3) | instskip(NEXT) | instid1(VALU_DEP_3)
	v_fma_f32 v243, v244, v243, v249
	v_add_f32_e32 v219, v219, v245
	v_dot4_i32_iu8 v245, v241, v39, 0 neg_lo:[1,1,0]
	s_delay_alu instid0(VALU_DEP_2) | instskip(NEXT) | instid1(VALU_DEP_2)
	v_add_f32_e32 v219, v219, v242
	v_cvt_f32_i32_e32 v242, v245
	s_delay_alu instid0(VALU_DEP_2) | instskip(NEXT) | instid1(VALU_DEP_2)
	v_add_f32_e32 v219, v219, v243
	v_fmac_f32_e32 v249, v244, v242
	s_delay_alu instid0(VALU_DEP_1)
	v_add_f32_e32 v219, v219, v249
	ds_bpermute_b32 v242, v71, v219
	s_waitcnt lgkmcnt(0)
	v_add_f32_e32 v219, v219, v242
	s_cbranch_vccnz .LBB19_23
; %bb.22:                               ;   in Loop: Header=BB19_17 Depth=1
	v_add_co_u32 v242, vcc_lo, v79, s13
	v_add_co_ci_u32_e32 v243, vcc_lo, s5, v80, vcc_lo
	global_load_u16 v242, v[242:243], off
	s_waitcnt vmcnt(0)
	v_fma_mix_f32 v219, v67, v242, v219 op_sel_hi:[0,1,0]
.LBB19_23:                              ;   in Loop: Header=BB19_17 Depth=1
	v_dot4_i32_iu8 v236, v236, v40, 0 neg_lo:[1,1,0]
	v_dual_mul_f32 v240, v9, v240 :: v_dual_mul_f32 v235, v8, v235
	v_dot4_i32_iu8 v233, v233, v41, 0 neg_lo:[1,1,0]
	v_dot4_i32_iu8 v239, v239, v42, 0 neg_lo:[1,1,0]
	s_delay_alu instid0(VALU_DEP_4) | instskip(NEXT) | instid1(VALU_DEP_4)
	v_cvt_f32_i32_e32 v236, v236
	v_dual_mul_f32 v240, 0x3e000000, v240 :: v_dual_mul_f32 v229, v10, v229
	s_delay_alu instid0(VALU_DEP_4) | instskip(NEXT) | instid1(VALU_DEP_4)
	v_cvt_f32_i32_e32 v233, v233
	v_cvt_f32_i32_e32 v239, v239
	v_dot4_i32_iu8 v238, v238, v43, 0 neg_lo:[1,1,0]
	s_delay_alu instid0(VALU_DEP_4)
	v_fma_f32 v236, v235, v236, v240
	v_dot4_i32_iu8 v230, v230, v44, 0 neg_lo:[1,1,0]
	v_fma_f32 v233, v235, v233, v240
	v_fma_f32 v239, v235, v239, v240
	v_cvt_f32_i32_e32 v238, v238
	v_add_f32_e32 v236, 0, v236
	v_mul_f32_e32 v234, v11, v234
	v_dot4_i32_iu8 v226, v226, v45, 0 neg_lo:[1,1,0]
	v_cvt_f32_i32_e32 v230, v230
	v_dual_fmac_f32 v240, v235, v238 :: v_dual_mul_f32 v227, v13, v227
	v_add_f32_e32 v233, v236, v233
	v_dot4_i32_iu8 v231, v231, v46, 0 neg_lo:[1,1,0]
	v_cvt_f32_i32_e32 v226, v226
	v_dot4_i32_iu8 v228, v228, v47, 0 neg_lo:[1,1,0]
	v_dot4_i32_iu8 v223, v223, v48, 0 neg_lo:[1,1,0]
	v_dual_add_f32 v233, v233, v239 :: v_dual_mul_f32 v234, 0x3e000000, v234
	v_cvt_f32_i32_e32 v231, v231
	s_delay_alu instid0(VALU_DEP_4) | instskip(SKIP_1) | instid1(VALU_DEP_4)
	v_cvt_f32_i32_e32 v228, v228
	v_dot4_i32_iu8 v221, v221, v49, 0 neg_lo:[1,1,0]
	v_add_f32_e32 v233, v233, v240
	v_fma_f32 v230, v229, v230, v234
	v_fma_f32 v226, v229, v226, v234
	;; [unrolled: 1-line block ×3, first 2 shown]
	v_dual_mul_f32 v227, 0x3e000000, v227 :: v_dual_fmac_f32 v234, v229, v228
	s_delay_alu instid0(VALU_DEP_4)
	v_dual_mul_f32 v59, v14, v59 :: v_dual_add_f32 v230, v233, v230
	v_cvt_f32_i32_e32 v223, v223
	v_dot4_i32_iu8 v225, v225, v50, 0 neg_lo:[1,1,0]
	v_cvt_f32_i32_e32 v221, v221
	v_dot4_i32_iu8 v224, v224, v51, 0 neg_lo:[1,1,0]
	v_add_f32_e32 v226, v230, v226
	v_dot4_i32_iu8 v220, v220, v52, 0 neg_lo:[1,1,0]
	v_cvt_f32_i32_e32 v225, v225
	v_dot4_i32_iu8 v58, v58, v53, 0 neg_lo:[1,1,0]
	v_cvt_f32_i32_e32 v224, v224
	v_add_f32_e32 v226, v226, v231
	v_cvt_f32_i32_e32 v220, v220
	s_and_not1_b32 vcc_lo, exec_lo, s27
	v_cvt_f32_i32_e32 v58, v58
	s_delay_alu instid0(VALU_DEP_3) | instskip(SKIP_1) | instid1(VALU_DEP_1)
	v_add_f32_e32 v226, v226, v234
	v_mul_f32_e32 v222, v12, v222
	v_fma_f32 v223, v222, v223, v227
	s_delay_alu instid0(VALU_DEP_1)
	v_add_f32_e32 v223, v226, v223
	v_fma_f32 v221, v222, v221, v227
	v_fma_f32 v225, v222, v225, v227
	v_mul_f32_e32 v226, v15, v232
	v_fmac_f32_e32 v227, v222, v224
	v_dot4_i32_iu8 v222, v237, v54, 0 neg_lo:[1,1,0]
	v_add_f32_e32 v221, v223, v221
	s_delay_alu instid0(VALU_DEP_2) | instskip(NEXT) | instid1(VALU_DEP_2)
	v_cvt_f32_i32_e32 v222, v222
	v_add_f32_e32 v221, v221, v225
	s_delay_alu instid0(VALU_DEP_1) | instskip(SKIP_1) | instid1(VALU_DEP_1)
	v_add_f32_e32 v221, v221, v227
	v_mul_f32_e32 v223, 0x3e000000, v226
	v_fma_f32 v220, v59, v220, v223
	s_delay_alu instid0(VALU_DEP_1) | instskip(SKIP_3) | instid1(VALU_DEP_3)
	v_add_f32_e32 v220, v221, v220
	v_fma_f32 v58, v59, v58, v223
	v_dot4_i32_iu8 v221, v241, v55, 0 neg_lo:[1,1,0]
	v_fma_f32 v222, v59, v222, v223
	v_add_f32_e32 v58, v220, v58
	s_delay_alu instid0(VALU_DEP_3) | instskip(NEXT) | instid1(VALU_DEP_1)
	v_cvt_f32_i32_e32 v220, v221
	v_dual_add_f32 v58, v58, v222 :: v_dual_fmac_f32 v223, v59, v220
	s_delay_alu instid0(VALU_DEP_1)
	v_add_f32_e32 v58, v58, v223
	ds_bpermute_b32 v59, v71, v58
	s_waitcnt lgkmcnt(0)
	v_add_f32_e32 v220, v58, v59
	s_cbranch_vccnz .LBB19_25
; %bb.24:                               ;   in Loop: Header=BB19_17 Depth=1
	v_add_co_u32 v58, vcc_lo, v85, s13
	v_add_co_ci_u32_e32 v59, vcc_lo, s5, v86, vcc_lo
	global_load_u16 v58, v[58:59], off
	s_waitcnt vmcnt(0)
	v_fma_mix_f32 v220, v67, v58, v220 op_sel_hi:[0,1,0]
.LBB19_25:                              ;   in Loop: Header=BB19_17 Depth=1
	v_dual_add_f32 v58, 0x40051340, v22 :: v_dual_add_f32 v59, 0x40051340, v219
	s_delay_alu instid0(VALU_DEP_2) | instskip(SKIP_2) | instid1(VALU_DEP_3)
	v_add_f32_e32 v221, 0x40051340, v220
	v_cndmask_b32_e64 v22, v218, v22, s1
	s_add_i32 s8, s8, s10
	v_max3_f32 v58, v21, v58, v59
	v_add_f32_e32 v59, 0x40051340, v23
	s_delay_alu instid0(VALU_DEP_3) | instskip(SKIP_2) | instid1(VALU_DEP_3)
	v_cndmask_b32_e64 v22, v219, v22, s1
	v_cndmask_b32_e64 v23, v220, v23, s1
	s_cmp_ge_i32 s8, s37
	v_max3_f32 v59, v20, v59, v221
	ds_bpermute_b32 v221, v72, v58
	s_waitcnt lgkmcnt(0)
	v_max_f32_e32 v221, v221, v221
	s_delay_alu instid0(VALU_DEP_1) | instskip(SKIP_3) | instid1(VALU_DEP_1)
	v_max_f32_e32 v58, v58, v221
	ds_bpermute_b32 v221, v72, v59
	s_waitcnt lgkmcnt(0)
	v_max_f32_e32 v221, v221, v221
	v_max_f32_e32 v59, v59, v221
	ds_bpermute_b32 v221, v73, v58
	s_waitcnt lgkmcnt(0)
	v_max_f32_e32 v221, v221, v221
	s_delay_alu instid0(VALU_DEP_1) | instskip(SKIP_3) | instid1(VALU_DEP_1)
	v_max_f32_e32 v58, v58, v221
	ds_bpermute_b32 v221, v73, v59
	s_waitcnt lgkmcnt(0)
	v_max_f32_e32 v221, v221, v221
	v_max_f32_e32 v59, v59, v221
	;; [unrolled: 9-line block ×3, first 2 shown]
	ds_bpermute_b32 v221, v75, v58
	ds_bpermute_b32 v222, v75, v59
	s_waitcnt lgkmcnt(0)
	v_dual_max_f32 v221, v221, v221 :: v_dual_max_f32 v222, v222, v222
	s_delay_alu instid0(VALU_DEP_1) | instskip(SKIP_1) | instid1(VALU_DEP_3)
	v_max_f32_e32 v58, v58, v221
	v_add_co_u32 v221, vcc_lo, v89, s9
	v_max_f32_e32 v59, v59, v222
	v_add_co_ci_u32_e32 v222, vcc_lo, 0, v90, vcc_lo
	s_delay_alu instid0(VALU_DEP_4) | instskip(NEXT) | instid1(VALU_DEP_3)
	v_sub_f32_e32 v21, v21, v58
	v_dual_sub_f32 v22, v22, v58 :: v_dual_sub_f32 v23, v23, v59
	global_load_b32 v223, v[221:222], off
	v_add_co_u32 v221, vcc_lo, v87, s9
	v_add_co_ci_u32_e32 v222, vcc_lo, 0, v88, vcc_lo
	v_mul_f32_e32 v218, 0x3fb8aa3b, v21
	v_cmp_ngt_f32_e64 s4, 0xc2ce8ed0, v22
	v_cmp_ngt_f32_e32 vcc_lo, 0xc2ce8ed0, v23
	global_load_b32 v224, v[221:222], off
	v_fma_f32 v219, 0x3fb8aa3b, v21, -v218
	v_rndne_f32_e32 v220, v218
	s_delay_alu instid0(VALU_DEP_1) | instskip(SKIP_1) | instid1(VALU_DEP_2)
	v_dual_fmac_f32 v219, 0x32a5705f, v21 :: v_dual_sub_f32 v218, v218, v220
	v_cvt_i32_f32_e32 v220, v220
	v_dual_add_f32 v218, v218, v219 :: v_dual_mul_f32 v219, 0x3fb8aa3b, v22
	s_delay_alu instid0(VALU_DEP_1) | instskip(NEXT) | instid1(VALU_DEP_1)
	v_exp_f32_e32 v218, v218
	v_fma_f32 v221, 0x3fb8aa3b, v22, -v219
	v_rndne_f32_e32 v222, v219
	s_delay_alu instid0(VALU_DEP_2) | instskip(NEXT) | instid1(VALU_DEP_2)
	v_fmac_f32_e32 v221, 0x32a5705f, v22
	v_sub_f32_e32 v219, v219, v222
	s_waitcnt_depctr 0xfff
	v_ldexp_f32 v220, v218, v220
	v_add_f32_e32 v219, v219, v221
	v_sub_f32_e32 v221, v20, v59
	s_delay_alu instid0(VALU_DEP_2) | instskip(NEXT) | instid1(VALU_DEP_1)
	v_exp_f32_e32 v218, v219
	v_mul_f32_e32 v20, 0x3fb8aa3b, v221
	v_cvt_i32_f32_e32 v219, v222
	s_delay_alu instid0(VALU_DEP_2) | instskip(SKIP_4) | instid1(VALU_DEP_2)
	v_fma_f32 v225, 0x3fb8aa3b, v221, -v20
	v_rndne_f32_e32 v226, v20
	s_waitcnt_depctr 0xfff
	v_ldexp_f32 v218, v218, v219
	v_dual_fmac_f32 v225, 0x32a5705f, v221 :: v_dual_sub_f32 v20, v20, v226
	v_cndmask_b32_e64 v218, 0, v218, s4
	v_cmp_nlt_f32_e64 s4, 0x42b17218, v22
	s_delay_alu instid0(VALU_DEP_3) | instskip(NEXT) | instid1(VALU_DEP_2)
	v_dual_add_f32 v20, v20, v225 :: v_dual_mul_f32 v225, 0x3fb8aa3b, v23
	v_cndmask_b32_e64 v218, 0x7f800000, v218, s4
	s_delay_alu instid0(VALU_DEP_2) | instskip(NEXT) | instid1(VALU_DEP_2)
	v_exp_f32_e32 v20, v20
	v_fma_f32 v227, 0x3fb8aa3b, v23, -v225
	v_rndne_f32_e32 v228, v225
	s_delay_alu instid0(VALU_DEP_2) | instskip(NEXT) | instid1(VALU_DEP_2)
	v_fmac_f32_e32 v227, 0x32a5705f, v23
	v_sub_f32_e32 v225, v225, v228
	v_cvt_i32_f32_e32 v222, v228
	s_delay_alu instid0(VALU_DEP_2) | instskip(NEXT) | instid1(VALU_DEP_1)
	v_add_f32_e32 v225, v225, v227
	v_exp_f32_e32 v219, v225
	s_waitcnt_depctr 0xfff
	v_ldexp_f32 v219, v219, v222
	v_cvt_i32_f32_e32 v222, v226
	s_delay_alu instid0(VALU_DEP_1) | instskip(NEXT) | instid1(VALU_DEP_3)
	v_ldexp_f32 v222, v20, v222
	v_cndmask_b32_e32 v20, 0, v219, vcc_lo
	v_cmp_nlt_f32_e32 vcc_lo, 0x42b17218, v23
	s_waitcnt vmcnt(1)
	v_ashrrev_i32_e32 v23, v217, v223
	s_delay_alu instid0(VALU_DEP_1) | instskip(SKIP_1) | instid1(VALU_DEP_2)
	v_lshrrev_b32_e32 v219, 8, v23
	v_and_b32_e32 v223, 15, v23
	v_and_b32_e32 v219, 15, v219
	s_delay_alu instid0(VALU_DEP_2) | instskip(NEXT) | instid1(VALU_DEP_2)
	v_cvt_f16_u16_e64 v223, v223
	v_cvt_f16_u16_e64 v219, v219
	s_delay_alu instid0(VALU_DEP_1) | instskip(SKIP_3) | instid1(VALU_DEP_3)
	v_pack_b32_f16 v223, v223, v219
	v_lshrrev_b32_e32 v219, 16, v23
	v_bfe_u32 v23, v23, 24, 4
	s_waitcnt vmcnt(0)
	v_pk_fma_f16 v223, v224, v223, v224 op_sel:[0,0,1] op_sel_hi:[0,1,1]
	s_delay_alu instid0(VALU_DEP_3) | instskip(NEXT) | instid1(VALU_DEP_3)
	v_and_b32_e32 v219, 15, v219
	v_cvt_f16_u16_e32 v23, v23
	s_delay_alu instid0(VALU_DEP_2) | instskip(NEXT) | instid1(VALU_DEP_1)
	v_cvt_f16_u16_e64 v219, v219
	v_pack_b32_f16 v23, v219, v23
	v_cndmask_b32_e32 v219, 0x7f800000, v20, vcc_lo
	v_cvt_f16_f32_e64 v20, v218
	v_cmp_ngt_f32_e32 vcc_lo, 0xc2ce8ed0, v21
	s_delay_alu instid0(VALU_DEP_4) | instskip(NEXT) | instid1(VALU_DEP_4)
	v_pk_fma_f16 v224, v224, v23, v224 op_sel:[0,0,1] op_sel_hi:[0,1,1]
	v_cvt_f16_f32_e64 v22, v219
	ds_store_b16 v64, v20
	ds_store_b16 v64, v22 offset:256
	v_cndmask_b32_e32 v20, 0, v220, vcc_lo
	v_cmp_nlt_f32_e32 vcc_lo, 0x42b17218, v21
	s_delay_alu instid0(VALU_DEP_2)
	v_cndmask_b32_e32 v220, 0x7f800000, v20, vcc_lo
	ds_load_b128 v[20:23], v76
	ds_load_b128 v[226:229], v76 offset:16
	v_cmp_ngt_f32_e32 vcc_lo, 0xc2ce8ed0, v221
	v_cvt_f16_f32_e64 v225, v220
	v_fma_f32 v56, v56, v220, v218
	s_waitcnt lgkmcnt(1)
	v_pk_mul_f16 v230, v223, v20 op_sel_hi:[1,0]
	s_delay_alu instid0(VALU_DEP_1) | instskip(SKIP_3) | instid1(VALU_DEP_1)
	v_pk_fma_f16 v238, v225, v16, v230 op_sel_hi:[0,1,1]
	ds_load_b128 v[230:233], v76 offset:256
	ds_load_b128 v[234:237], v76 offset:272
	v_pk_mul_f16 v16, v224, v20 op_sel_hi:[1,0]
	v_pk_fma_f16 v225, v225, v17, v16 op_sel_hi:[0,1,1]
	v_cndmask_b32_e32 v16, 0, v222, vcc_lo
	v_cmp_nlt_f32_e32 vcc_lo, 0x42b17218, v221
	s_delay_alu instid0(VALU_DEP_2) | instskip(NEXT) | instid1(VALU_DEP_1)
	v_cndmask_b32_e32 v221, 0x7f800000, v16, vcc_lo
	v_cvt_f16_f32_e64 v222, v221
	s_waitcnt lgkmcnt(1)
	v_pk_mul_f16 v16, v223, v230 op_sel_hi:[1,0]
	v_pk_mul_f16 v17, v224, v230 op_sel_hi:[1,0]
	s_delay_alu instid0(VALU_DEP_2) | instskip(SKIP_1) | instid1(VALU_DEP_3)
	v_pk_fma_f16 v18, v222, v18, v16 op_sel_hi:[0,1,1]
	v_add_co_u32 v16, vcc_lo, v213, s9
	v_pk_fma_f16 v19, v222, v19, v17 op_sel_hi:[0,1,1]
	v_add_co_ci_u32_e32 v17, vcc_lo, 0, v214, vcc_lo
	global_load_b32 v222, v[16:17], off
	v_add_co_u32 v16, vcc_lo, v209, s9
	v_add_co_ci_u32_e32 v17, vcc_lo, 0, v210, vcc_lo
	global_load_b32 v223, v[16:17], off
	v_add_co_u32 v16, vcc_lo, v205, s9
	v_add_co_ci_u32_e32 v17, vcc_lo, 0, v206, vcc_lo
	global_load_b32 v224, v[16:17], off
	v_add_co_u32 v16, vcc_lo, v201, s9
	v_add_co_ci_u32_e32 v17, vcc_lo, 0, v202, vcc_lo
	global_load_b32 v239, v[16:17], off
	v_add_co_u32 v16, vcc_lo, v197, s9
	v_add_co_ci_u32_e32 v17, vcc_lo, 0, v198, vcc_lo
	global_load_b32 v240, v[16:17], off
	v_add_co_u32 v16, vcc_lo, v193, s9
	v_add_co_ci_u32_e32 v17, vcc_lo, 0, v194, vcc_lo
	global_load_b32 v241, v[16:17], off
	v_add_co_u32 v16, vcc_lo, v215, s9
	v_add_co_ci_u32_e32 v17, vcc_lo, 0, v216, vcc_lo
	global_load_b32 v242, v[16:17], off
	v_add_co_u32 v16, vcc_lo, v189, s9
	v_add_co_ci_u32_e32 v17, vcc_lo, 0, v190, vcc_lo
	global_load_b32 v243, v[16:17], off
	v_add_co_u32 v16, vcc_lo, v211, s9
	v_add_co_ci_u32_e32 v17, vcc_lo, 0, v212, vcc_lo
	global_load_b32 v244, v[16:17], off
	v_add_co_u32 v16, vcc_lo, v207, s9
	v_add_co_ci_u32_e32 v17, vcc_lo, 0, v208, vcc_lo
	global_load_b32 v245, v[16:17], off
	v_add_co_u32 v16, vcc_lo, v203, s9
	v_add_co_ci_u32_e32 v17, vcc_lo, 0, v204, vcc_lo
	global_load_b32 v246, v[16:17], off
	v_add_co_u32 v16, vcc_lo, v199, s9
	v_add_co_ci_u32_e32 v17, vcc_lo, 0, v200, vcc_lo
	global_load_b32 v247, v[16:17], off
	v_add_co_u32 v16, vcc_lo, v195, s9
	v_add_co_ci_u32_e32 v17, vcc_lo, 0, v196, vcc_lo
	global_load_b32 v248, v[16:17], off
	v_add_co_u32 v16, vcc_lo, v191, s9
	v_add_co_ci_u32_e32 v17, vcc_lo, 0, v192, vcc_lo
	global_load_b32 v16, v[16:17], off
	s_waitcnt vmcnt(13)
	v_ashrrev_i32_e32 v17, v217, v222
	s_delay_alu instid0(VALU_DEP_1) | instskip(SKIP_3) | instid1(VALU_DEP_3)
	v_lshrrev_b32_e32 v222, 8, v17
	v_and_b32_e32 v249, 15, v17
	s_waitcnt vmcnt(12)
	v_ashrrev_i32_e32 v223, v217, v223
	v_and_b32_e32 v222, 15, v222
	s_delay_alu instid0(VALU_DEP_3) | instskip(NEXT) | instid1(VALU_DEP_3)
	v_cvt_f16_u16_e64 v249, v249
	v_and_b32_e32 v250, 15, v223
	s_delay_alu instid0(VALU_DEP_3) | instskip(SKIP_2) | instid1(VALU_DEP_3)
	v_cvt_f16_u16_e64 v222, v222
	s_waitcnt vmcnt(11)
	v_ashrrev_i32_e32 v224, v217, v224
	v_cvt_f16_u16_e64 v250, v250
	s_delay_alu instid0(VALU_DEP_3)
	v_pack_b32_f16 v222, v249, v222
	v_lshrrev_b32_e32 v249, 16, v17
	v_bfe_u32 v17, v17, 24, 4
	v_and_b32_e32 v251, 15, v224
	s_waitcnt vmcnt(10)
	v_ashrrev_i32_e32 v239, v217, v239
	v_and_b32_e32 v249, 15, v249
	v_cvt_f16_u16_e32 v17, v17
	v_cvt_f16_u16_e64 v251, v251
	s_delay_alu instid0(VALU_DEP_4) | instskip(NEXT) | instid1(VALU_DEP_4)
	v_and_b32_e32 v252, 15, v239
	v_cvt_f16_u16_e64 v249, v249
	s_waitcnt vmcnt(9)
	v_ashrrev_i32_e32 v240, v217, v240
	s_delay_alu instid0(VALU_DEP_3) | instskip(NEXT) | instid1(VALU_DEP_3)
	v_cvt_f16_u16_e64 v252, v252
	v_pack_b32_f16 v17, v249, v17
	v_lshrrev_b32_e32 v249, 8, v223
	s_delay_alu instid0(VALU_DEP_4) | instskip(SKIP_2) | instid1(VALU_DEP_3)
	v_and_b32_e32 v253, 15, v240
	s_waitcnt vmcnt(8)
	v_ashrrev_i32_e32 v241, v217, v241
	v_and_b32_e32 v249, 15, v249
	s_delay_alu instid0(VALU_DEP_3) | instskip(NEXT) | instid1(VALU_DEP_3)
	v_cvt_f16_u16_e64 v253, v253
	v_and_b32_e32 v254, 15, v241
	s_delay_alu instid0(VALU_DEP_3)
	v_cvt_f16_u16_e64 v249, v249
	s_waitcnt vmcnt(7)
	v_pk_fma_f16 v222, v242, v222, v242 op_sel:[0,0,1] op_sel_hi:[0,1,1]
	v_pk_fma_f16 v17, v242, v17, v242 op_sel:[0,0,1] op_sel_hi:[0,1,1]
	v_cvt_f16_u16_e64 v254, v254
	v_pack_b32_f16 v249, v250, v249
	v_lshrrev_b32_e32 v250, 16, v223
	v_bfe_u32 v223, v223, 24, 4
	v_pk_fma_f16 v238, v222, v20, v238 op_sel:[0,1,0]
	s_waitcnt vmcnt(6)
	v_ashrrev_i32_e32 v243, v217, v243
	v_pk_fma_f16 v20, v17, v20, v225 op_sel:[0,1,0]
	v_and_b32_e32 v250, 15, v250
	v_cvt_f16_u16_e64 v223, v223
	v_pk_fma_f16 v17, v17, v230, v19 op_sel:[0,1,0]
	v_and_b32_e32 v255, 15, v243
	v_pk_fma_f16 v18, v222, v230, v18 op_sel:[0,1,0]
	v_cvt_f16_u16_e64 v250, v250
	s_waitcnt vmcnt(5)
	v_pk_fma_f16 v242, v244, v249, v244 op_sel:[0,0,1] op_sel_hi:[0,1,1]
	v_cvt_f16_u16_e64 v255, v255
	s_delay_alu instid0(VALU_DEP_3) | instskip(SKIP_1) | instid1(VALU_DEP_4)
	v_pack_b32_f16 v223, v250, v223
	v_lshrrev_b32_e32 v250, 8, v224
	v_pk_fma_f16 v225, v242, v21, v238 op_sel_hi:[1,0,1]
	v_pk_fma_f16 v18, v242, v231, v18 op_sel_hi:[1,0,1]
	s_delay_alu instid0(VALU_DEP_4) | instskip(NEXT) | instid1(VALU_DEP_4)
	v_pk_fma_f16 v223, v244, v223, v244 op_sel:[0,0,1] op_sel_hi:[0,1,1]
	v_and_b32_e32 v250, 15, v250
	s_delay_alu instid0(VALU_DEP_2) | instskip(NEXT) | instid1(VALU_DEP_2)
	v_pk_fma_f16 v20, v223, v21, v20 op_sel_hi:[1,0,1]
	v_cvt_f16_u16_e64 v250, v250
	v_pk_fma_f16 v17, v223, v231, v17 op_sel_hi:[1,0,1]
	s_delay_alu instid0(VALU_DEP_2) | instskip(SKIP_3) | instid1(VALU_DEP_3)
	v_pack_b32_f16 v250, v251, v250
	v_lshrrev_b32_e32 v251, 16, v224
	v_bfe_u32 v224, v224, 24, 4
	s_waitcnt vmcnt(4)
	v_pk_fma_f16 v244, v245, v250, v245 op_sel:[0,0,1] op_sel_hi:[0,1,1]
	s_delay_alu instid0(VALU_DEP_3) | instskip(NEXT) | instid1(VALU_DEP_3)
	v_and_b32_e32 v251, 15, v251
	v_cvt_f16_u16_e64 v224, v224
	s_delay_alu instid0(VALU_DEP_3) | instskip(NEXT) | instid1(VALU_DEP_3)
	v_pk_fma_f16 v225, v244, v21, v225 op_sel:[0,1,0]
	v_cvt_f16_u16_e64 v251, v251
	v_pk_fma_f16 v18, v244, v231, v18 op_sel:[0,1,0]
	s_delay_alu instid0(VALU_DEP_2) | instskip(SKIP_1) | instid1(VALU_DEP_2)
	v_pack_b32_f16 v224, v251, v224
	v_lshrrev_b32_e32 v251, 8, v239
	v_pk_fma_f16 v224, v245, v224, v245 op_sel:[0,0,1] op_sel_hi:[0,1,1]
	s_delay_alu instid0(VALU_DEP_2) | instskip(NEXT) | instid1(VALU_DEP_2)
	v_and_b32_e32 v251, 15, v251
	v_pk_fma_f16 v20, v224, v21, v20 op_sel:[0,1,0]
	s_delay_alu instid0(VALU_DEP_2) | instskip(SKIP_1) | instid1(VALU_DEP_2)
	v_cvt_f16_u16_e64 v251, v251
	v_pk_fma_f16 v17, v224, v231, v17 op_sel:[0,1,0]
	v_pack_b32_f16 v251, v252, v251
	v_lshrrev_b32_e32 v252, 16, v239
	v_bfe_u32 v239, v239, 24, 4
	s_waitcnt vmcnt(3)
	s_delay_alu instid0(VALU_DEP_3) | instskip(NEXT) | instid1(VALU_DEP_3)
	v_pk_fma_f16 v245, v246, v251, v246 op_sel:[0,0,1] op_sel_hi:[0,1,1]
	v_and_b32_e32 v252, 15, v252
	s_delay_alu instid0(VALU_DEP_3) | instskip(NEXT) | instid1(VALU_DEP_3)
	v_cvt_f16_u16_e64 v239, v239
	v_pk_fma_f16 v21, v245, v22, v225 op_sel_hi:[1,0,1]
	s_delay_alu instid0(VALU_DEP_3) | instskip(SKIP_1) | instid1(VALU_DEP_2)
	v_cvt_f16_u16_e64 v252, v252
	v_pk_fma_f16 v18, v245, v232, v18 op_sel_hi:[1,0,1]
	v_pack_b32_f16 v239, v252, v239
	v_lshrrev_b32_e32 v252, 8, v240
	s_delay_alu instid0(VALU_DEP_2) | instskip(NEXT) | instid1(VALU_DEP_2)
	v_pk_fma_f16 v239, v246, v239, v246 op_sel:[0,0,1] op_sel_hi:[0,1,1]
	v_and_b32_e32 v252, 15, v252
	s_delay_alu instid0(VALU_DEP_2) | instskip(NEXT) | instid1(VALU_DEP_2)
	v_pk_fma_f16 v20, v239, v22, v20 op_sel_hi:[1,0,1]
	v_cvt_f16_u16_e64 v252, v252
	v_pk_fma_f16 v17, v239, v232, v17 op_sel_hi:[1,0,1]
	s_delay_alu instid0(VALU_DEP_2) | instskip(SKIP_3) | instid1(VALU_DEP_3)
	v_pack_b32_f16 v252, v253, v252
	v_lshrrev_b32_e32 v253, 16, v240
	v_bfe_u32 v240, v240, 24, 4
	s_waitcnt vmcnt(2)
	v_pk_fma_f16 v246, v247, v252, v247 op_sel:[0,0,1] op_sel_hi:[0,1,1]
	s_delay_alu instid0(VALU_DEP_3) | instskip(NEXT) | instid1(VALU_DEP_3)
	v_and_b32_e32 v253, 15, v253
	v_cvt_f16_u16_e64 v240, v240
	s_delay_alu instid0(VALU_DEP_3) | instskip(NEXT) | instid1(VALU_DEP_3)
	v_pk_fma_f16 v21, v246, v22, v21 op_sel:[0,1,0]
	v_cvt_f16_u16_e64 v253, v253
	v_pk_fma_f16 v18, v246, v232, v18 op_sel:[0,1,0]
	s_delay_alu instid0(VALU_DEP_2) | instskip(SKIP_1) | instid1(VALU_DEP_2)
	v_pack_b32_f16 v240, v253, v240
	v_lshrrev_b32_e32 v253, 8, v241
	v_pk_fma_f16 v240, v247, v240, v247 op_sel:[0,0,1] op_sel_hi:[0,1,1]
	s_delay_alu instid0(VALU_DEP_2) | instskip(NEXT) | instid1(VALU_DEP_2)
	v_and_b32_e32 v253, 15, v253
	v_pk_fma_f16 v20, v240, v22, v20 op_sel:[0,1,0]
	s_delay_alu instid0(VALU_DEP_2) | instskip(SKIP_1) | instid1(VALU_DEP_2)
	v_cvt_f16_u16_e64 v253, v253
	v_pk_fma_f16 v17, v240, v232, v17 op_sel:[0,1,0]
	v_pack_b32_f16 v253, v254, v253
	v_lshrrev_b32_e32 v254, 16, v241
	v_bfe_u32 v241, v241, 24, 4
	s_waitcnt vmcnt(1)
	s_delay_alu instid0(VALU_DEP_3) | instskip(NEXT) | instid1(VALU_DEP_3)
	v_pk_fma_f16 v247, v248, v253, v248 op_sel:[0,0,1] op_sel_hi:[0,1,1]
	v_and_b32_e32 v254, 15, v254
	s_delay_alu instid0(VALU_DEP_3) | instskip(NEXT) | instid1(VALU_DEP_3)
	v_cvt_f16_u16_e64 v241, v241
	v_pk_fma_f16 v21, v247, v23, v21 op_sel_hi:[1,0,1]
	s_delay_alu instid0(VALU_DEP_3) | instskip(SKIP_1) | instid1(VALU_DEP_2)
	v_cvt_f16_u16_e64 v254, v254
	v_pk_fma_f16 v18, v247, v233, v18 op_sel_hi:[1,0,1]
	v_pack_b32_f16 v241, v254, v241
	v_lshrrev_b32_e32 v254, 8, v243
	s_delay_alu instid0(VALU_DEP_2) | instskip(NEXT) | instid1(VALU_DEP_2)
	v_pk_fma_f16 v241, v248, v241, v248 op_sel:[0,0,1] op_sel_hi:[0,1,1]
	v_and_b32_e32 v254, 15, v254
	s_delay_alu instid0(VALU_DEP_2) | instskip(NEXT) | instid1(VALU_DEP_2)
	v_pk_fma_f16 v20, v241, v23, v20 op_sel_hi:[1,0,1]
	v_cvt_f16_u16_e64 v254, v254
	v_pk_fma_f16 v17, v241, v233, v17 op_sel_hi:[1,0,1]
	s_delay_alu instid0(VALU_DEP_2) | instskip(SKIP_3) | instid1(VALU_DEP_3)
	v_pack_b32_f16 v254, v255, v254
	v_lshrrev_b32_e32 v255, 16, v243
	v_bfe_u32 v243, v243, 24, 4
	s_waitcnt vmcnt(0)
	v_pk_fma_f16 v248, v16, v254, v16 op_sel:[0,0,1] op_sel_hi:[0,1,1]
	s_delay_alu instid0(VALU_DEP_3) | instskip(NEXT) | instid1(VALU_DEP_3)
	v_and_b32_e32 v255, 15, v255
	v_cvt_f16_u16_e64 v243, v243
	s_delay_alu instid0(VALU_DEP_3) | instskip(NEXT) | instid1(VALU_DEP_3)
	v_pk_fma_f16 v21, v248, v23, v21 op_sel:[0,1,0]
	v_cvt_f16_u16_e64 v255, v255
	v_pk_fma_f16 v18, v248, v233, v18 op_sel:[0,1,0]
	s_delay_alu instid0(VALU_DEP_2) | instskip(NEXT) | instid1(VALU_DEP_1)
	v_pack_b32_f16 v243, v255, v243
	v_pk_fma_f16 v16, v16, v243, v16 op_sel:[0,0,1] op_sel_hi:[0,1,1]
	s_delay_alu instid0(VALU_DEP_1)
	v_pk_fma_f16 v20, v16, v23, v20 op_sel:[0,1,0]
	v_pk_fma_f16 v19, v16, v233, v17 op_sel:[0,1,0]
	v_add_co_u32 v16, vcc_lo, v185, s9
	v_add_co_ci_u32_e32 v17, vcc_lo, 0, v186, vcc_lo
	global_load_b32 v22, v[16:17], off
	v_add_co_u32 v16, vcc_lo, v181, s9
	v_add_co_ci_u32_e32 v17, vcc_lo, 0, v182, vcc_lo
	global_load_b32 v23, v[16:17], off
	;; [unrolled: 3-line block ×16, first 2 shown]
	s_waitcnt vmcnt(15)
	v_ashrrev_i32_e32 v17, v217, v22
	s_delay_alu instid0(VALU_DEP_1) | instskip(SKIP_3) | instid1(VALU_DEP_3)
	v_lshrrev_b32_e32 v22, 8, v17
	v_and_b32_e32 v243, 15, v17
	s_waitcnt vmcnt(14)
	v_ashrrev_i32_e32 v23, v217, v23
	v_and_b32_e32 v22, 15, v22
	s_delay_alu instid0(VALU_DEP_3) | instskip(NEXT) | instid1(VALU_DEP_3)
	v_cvt_f16_u16_e64 v243, v243
	v_and_b32_e32 v244, 15, v23
	v_fma_f32 v57, v57, v221, v219
	s_delay_alu instid0(VALU_DEP_4) | instskip(NEXT) | instid1(VALU_DEP_3)
	v_cvt_f16_u16_e32 v22, v22
	v_cvt_f16_u16_e64 v244, v244
	s_delay_alu instid0(VALU_DEP_2) | instskip(SKIP_2) | instid1(VALU_DEP_2)
	v_pack_b32_f16 v22, v243, v22
	v_lshrrev_b32_e32 v243, 16, v17
	v_bfe_u32 v17, v17, 24, 4
	v_and_b32_e32 v243, 15, v243
	s_delay_alu instid0(VALU_DEP_2) | instskip(NEXT) | instid1(VALU_DEP_2)
	v_cvt_f16_u16_e32 v17, v17
	v_cvt_f16_u16_e64 v243, v243
	s_delay_alu instid0(VALU_DEP_1) | instskip(SKIP_2) | instid1(VALU_DEP_2)
	v_pack_b32_f16 v17, v243, v17
	v_lshrrev_b32_e32 v243, 8, v23
	s_waitcnt vmcnt(13)
	v_pk_fma_f16 v17, v222, v17, v222 op_sel:[0,0,1] op_sel_hi:[0,1,1]
	s_delay_alu instid0(VALU_DEP_2) | instskip(NEXT) | instid1(VALU_DEP_2)
	v_and_b32_e32 v243, 15, v243
	v_pk_fma_f16 v20, v17, v226, v20 op_sel_hi:[1,0,1]
	s_delay_alu instid0(VALU_DEP_2)
	v_cvt_f16_u16_e64 v243, v243
	s_waitcnt vmcnt(9)
	v_ashrrev_i32_e32 v230, v217, v230
	s_waitcnt lgkmcnt(0)
	v_pk_fma_f16 v17, v17, v234, v19 op_sel_hi:[1,0,1]
	v_pack_b32_f16 v243, v244, v243
	v_lshrrev_b32_e32 v244, 16, v23
	v_bfe_u32 v23, v23, 24, 4
	v_and_b32_e32 v245, 15, v230
	s_delay_alu instid0(VALU_DEP_3) | instskip(NEXT) | instid1(VALU_DEP_3)
	v_and_b32_e32 v244, 15, v244
	v_cvt_f16_u16_e32 v23, v23
	s_delay_alu instid0(VALU_DEP_3) | instskip(NEXT) | instid1(VALU_DEP_3)
	v_cvt_f16_u16_e64 v245, v245
	v_cvt_f16_u16_e64 v244, v244
	s_delay_alu instid0(VALU_DEP_1) | instskip(SKIP_3) | instid1(VALU_DEP_4)
	v_pack_b32_f16 v23, v244, v23
	v_pk_fma_f16 v244, v222, v22, v222 op_sel:[0,0,1] op_sel_hi:[0,1,1]
	v_ashrrev_i32_e32 v22, v217, v224
	v_pk_fma_f16 v222, v223, v243, v223 op_sel:[0,0,1] op_sel_hi:[0,1,1]
	v_pk_fma_f16 v223, v223, v23, v223 op_sel:[0,0,1] op_sel_hi:[0,1,1]
	s_delay_alu instid0(VALU_DEP_4) | instskip(NEXT) | instid1(VALU_DEP_4)
	v_pk_fma_f16 v21, v244, v226, v21 op_sel_hi:[1,0,1]
	v_lshrrev_b32_e32 v23, 8, v22
	v_and_b32_e32 v224, 15, v22
	v_pk_fma_f16 v18, v244, v234, v18 op_sel_hi:[1,0,1]
	v_pk_fma_f16 v20, v223, v226, v20 op_sel:[0,1,0]
	v_pk_fma_f16 v21, v222, v226, v21 op_sel:[0,1,0]
	v_and_b32_e32 v23, 15, v23
	v_cvt_f16_u16_e64 v224, v224
	v_pk_fma_f16 v17, v223, v234, v17 op_sel:[0,1,0]
	v_pk_fma_f16 v18, v222, v234, v18 op_sel:[0,1,0]
	s_delay_alu instid0(VALU_DEP_4) | instskip(NEXT) | instid1(VALU_DEP_1)
	v_cvt_f16_u16_e32 v23, v23
	v_pack_b32_f16 v23, v224, v23
	v_lshrrev_b32_e32 v224, 16, v22
	v_bfe_u32 v22, v22, 24, 4
	s_delay_alu instid0(VALU_DEP_2) | instskip(NEXT) | instid1(VALU_DEP_2)
	v_and_b32_e32 v224, 15, v224
	v_cvt_f16_u16_e32 v22, v22
	s_delay_alu instid0(VALU_DEP_2) | instskip(NEXT) | instid1(VALU_DEP_1)
	v_cvt_f16_u16_e64 v224, v224
	v_pack_b32_f16 v22, v224, v22
	v_ashrrev_i32_e32 v224, v217, v225
	s_delay_alu instid0(VALU_DEP_1) | instskip(SKIP_1) | instid1(VALU_DEP_2)
	v_lshrrev_b32_e32 v225, 8, v224
	v_and_b32_e32 v243, 15, v224
	v_and_b32_e32 v225, 15, v225
	s_delay_alu instid0(VALU_DEP_2) | instskip(NEXT) | instid1(VALU_DEP_2)
	v_cvt_f16_u16_e64 v243, v243
	v_cvt_f16_u16_e64 v225, v225
	s_delay_alu instid0(VALU_DEP_1) | instskip(SKIP_3) | instid1(VALU_DEP_3)
	v_pack_b32_f16 v225, v243, v225
	v_lshrrev_b32_e32 v243, 16, v224
	v_bfe_u32 v224, v224, 24, 4
	s_waitcnt vmcnt(7)
	v_pk_fma_f16 v225, v232, v225, v232 op_sel:[0,0,1] op_sel_hi:[0,1,1]
	s_delay_alu instid0(VALU_DEP_3) | instskip(NEXT) | instid1(VALU_DEP_3)
	v_and_b32_e32 v243, 15, v243
	v_cvt_f16_u16_e64 v224, v224
	s_delay_alu instid0(VALU_DEP_2) | instskip(NEXT) | instid1(VALU_DEP_1)
	v_cvt_f16_u16_e64 v243, v243
	v_pack_b32_f16 v224, v243, v224
	v_lshrrev_b32_e32 v243, 8, v230
	s_delay_alu instid0(VALU_DEP_2) | instskip(NEXT) | instid1(VALU_DEP_2)
	v_pk_fma_f16 v224, v232, v224, v232 op_sel:[0,0,1] op_sel_hi:[0,1,1]
	v_and_b32_e32 v243, 15, v243
	s_delay_alu instid0(VALU_DEP_1) | instskip(NEXT) | instid1(VALU_DEP_1)
	v_cvt_f16_u16_e64 v243, v243
	v_pack_b32_f16 v243, v245, v243
	v_lshrrev_b32_e32 v245, 16, v230
	v_bfe_u32 v230, v230, 24, 4
	s_waitcnt vmcnt(6)
	s_delay_alu instid0(VALU_DEP_3) | instskip(NEXT) | instid1(VALU_DEP_3)
	v_pk_fma_f16 v232, v233, v243, v233 op_sel:[0,0,1] op_sel_hi:[0,1,1]
	v_and_b32_e32 v245, 15, v245
	s_delay_alu instid0(VALU_DEP_3) | instskip(NEXT) | instid1(VALU_DEP_2)
	v_cvt_f16_u16_e64 v230, v230
	v_cvt_f16_u16_e64 v245, v245
	s_delay_alu instid0(VALU_DEP_1)
	v_pack_b32_f16 v230, v245, v230
	v_pk_fma_f16 v245, v231, v23, v231 op_sel:[0,0,1] op_sel_hi:[0,1,1]
	v_pk_fma_f16 v231, v231, v22, v231 op_sel:[0,0,1] op_sel_hi:[0,1,1]
	s_waitcnt vmcnt(5)
	v_ashrrev_i32_e32 v22, v217, v238
	v_pk_fma_f16 v230, v233, v230, v233 op_sel:[0,0,1] op_sel_hi:[0,1,1]
	v_pk_fma_f16 v21, v245, v227, v21 op_sel_hi:[1,0,1]
	v_pk_fma_f16 v20, v231, v227, v20 op_sel_hi:[1,0,1]
	s_delay_alu instid0(VALU_DEP_4)
	v_lshrrev_b32_e32 v23, 8, v22
	v_and_b32_e32 v233, 15, v22
	v_pk_fma_f16 v17, v231, v235, v17 op_sel_hi:[1,0,1]
	v_pk_fma_f16 v21, v225, v227, v21 op_sel:[0,1,0]
	v_pk_fma_f16 v20, v224, v227, v20 op_sel:[0,1,0]
	v_and_b32_e32 v23, 15, v23
	v_cvt_f16_u16_e64 v233, v233
	v_pk_fma_f16 v17, v224, v235, v17 op_sel:[0,1,0]
	v_pk_fma_f16 v18, v245, v235, v18 op_sel_hi:[1,0,1]
	v_pk_fma_f16 v21, v232, v228, v21 op_sel_hi:[1,0,1]
	v_cvt_f16_u16_e32 v23, v23
	v_pk_fma_f16 v20, v230, v228, v20 op_sel_hi:[1,0,1]
	v_pk_fma_f16 v17, v230, v236, v17 op_sel_hi:[1,0,1]
	v_pk_fma_f16 v18, v225, v235, v18 op_sel:[0,1,0]
	s_delay_alu instid0(VALU_DEP_4) | instskip(SKIP_2) | instid1(VALU_DEP_4)
	v_pack_b32_f16 v23, v233, v23
	v_lshrrev_b32_e32 v233, 16, v22
	v_bfe_u32 v22, v22, 24, 4
	v_pk_fma_f16 v18, v232, v236, v18 op_sel_hi:[1,0,1]
	s_delay_alu instid0(VALU_DEP_3) | instskip(NEXT) | instid1(VALU_DEP_3)
	v_and_b32_e32 v233, 15, v233
	v_cvt_f16_u16_e32 v22, v22
	s_delay_alu instid0(VALU_DEP_2) | instskip(NEXT) | instid1(VALU_DEP_1)
	v_cvt_f16_u16_e64 v233, v233
	v_pack_b32_f16 v22, v233, v22
	s_waitcnt vmcnt(4)
	v_ashrrev_i32_e32 v233, v217, v239
	s_delay_alu instid0(VALU_DEP_1) | instskip(SKIP_1) | instid1(VALU_DEP_2)
	v_lshrrev_b32_e32 v238, 8, v233
	v_and_b32_e32 v239, 15, v233
	v_and_b32_e32 v238, 15, v238
	s_delay_alu instid0(VALU_DEP_2) | instskip(NEXT) | instid1(VALU_DEP_2)
	v_cvt_f16_u16_e64 v239, v239
	v_cvt_f16_u16_e64 v238, v238
	s_delay_alu instid0(VALU_DEP_1) | instskip(SKIP_3) | instid1(VALU_DEP_3)
	v_pack_b32_f16 v238, v239, v238
	v_lshrrev_b32_e32 v239, 16, v233
	v_bfe_u32 v233, v233, 24, 4
	s_waitcnt vmcnt(1)
	v_pk_fma_f16 v238, v242, v238, v242 op_sel:[0,0,1] op_sel_hi:[0,1,1]
	s_delay_alu instid0(VALU_DEP_3) | instskip(NEXT) | instid1(VALU_DEP_3)
	v_and_b32_e32 v239, 15, v239
	v_cvt_f16_u16_e64 v233, v233
	s_delay_alu instid0(VALU_DEP_2) | instskip(NEXT) | instid1(VALU_DEP_1)
	v_cvt_f16_u16_e64 v239, v239
	v_pack_b32_f16 v233, v239, v233
	v_ashrrev_i32_e32 v239, v217, v240
	s_delay_alu instid0(VALU_DEP_2) | instskip(NEXT) | instid1(VALU_DEP_2)
	v_pk_fma_f16 v233, v242, v233, v242 op_sel:[0,0,1] op_sel_hi:[0,1,1]
	v_lshrrev_b32_e32 v240, 8, v239
	v_and_b32_e32 v243, 15, v239
	s_delay_alu instid0(VALU_DEP_2) | instskip(NEXT) | instid1(VALU_DEP_2)
	v_and_b32_e32 v240, 15, v240
	v_cvt_f16_u16_e64 v243, v243
	s_delay_alu instid0(VALU_DEP_2) | instskip(NEXT) | instid1(VALU_DEP_1)
	v_cvt_f16_u16_e64 v240, v240
	v_pack_b32_f16 v240, v243, v240
	v_lshrrev_b32_e32 v243, 16, v239
	v_bfe_u32 v239, v239, 24, 4
	s_waitcnt vmcnt(0)
	s_delay_alu instid0(VALU_DEP_3) | instskip(NEXT) | instid1(VALU_DEP_3)
	v_pk_fma_f16 v240, v16, v240, v16 op_sel:[0,0,1] op_sel_hi:[0,1,1]
	v_and_b32_e32 v243, 15, v243
	s_delay_alu instid0(VALU_DEP_3) | instskip(NEXT) | instid1(VALU_DEP_2)
	v_cvt_f16_u16_e64 v239, v239
	v_cvt_f16_u16_e64 v243, v243
	s_delay_alu instid0(VALU_DEP_1) | instskip(SKIP_2) | instid1(VALU_DEP_3)
	v_pack_b32_f16 v239, v243, v239
	v_pk_fma_f16 v243, v241, v23, v241 op_sel:[0,0,1] op_sel_hi:[0,1,1]
	v_pk_fma_f16 v241, v241, v22, v241 op_sel:[0,0,1] op_sel_hi:[0,1,1]
	;; [unrolled: 1-line block ×3, first 2 shown]
	s_delay_alu instid0(VALU_DEP_3) | instskip(NEXT) | instid1(VALU_DEP_3)
	v_pk_fma_f16 v21, v243, v228, v21 op_sel:[0,1,0]
	v_pk_fma_f16 v20, v241, v228, v20 op_sel:[0,1,0]
	;; [unrolled: 1-line block ×4, first 2 shown]
	s_delay_alu instid0(VALU_DEP_4) | instskip(NEXT) | instid1(VALU_DEP_4)
	v_pk_fma_f16 v21, v238, v229, v21 op_sel_hi:[1,0,1]
	v_pk_fma_f16 v20, v233, v229, v20 op_sel_hi:[1,0,1]
	s_delay_alu instid0(VALU_DEP_4) | instskip(NEXT) | instid1(VALU_DEP_4)
	v_pk_fma_f16 v17, v233, v237, v17 op_sel_hi:[1,0,1]
	v_pk_fma_f16 v18, v238, v237, v18 op_sel_hi:[1,0,1]
	s_delay_alu instid0(VALU_DEP_4) | instskip(NEXT) | instid1(VALU_DEP_4)
	v_pk_fma_f16 v22, v240, v229, v21 op_sel:[0,1,0]
	v_pk_fma_f16 v23, v16, v229, v20 op_sel:[0,1,0]
	s_delay_alu instid0(VALU_DEP_4)
	v_pk_fma_f16 v21, v16, v237, v17 op_sel:[0,1,0]
	v_add_co_u32 v16, vcc_lo, v153, s9
	v_add_co_ci_u32_e32 v17, vcc_lo, 0, v154, vcc_lo
	v_pk_fma_f16 v20, v240, v237, v18 op_sel:[0,1,0]
	global_load_b32 v18, v[16:17], off
	v_add_co_u32 v16, vcc_lo, v149, s9
	v_add_co_ci_u32_e32 v17, vcc_lo, 0, v150, vcc_lo
	global_load_b32 v19, v[16:17], off
	v_add_co_u32 v16, vcc_lo, v155, s9
	v_add_co_ci_u32_e32 v17, vcc_lo, 0, v156, vcc_lo
	;; [unrolled: 3-line block ×15, first 2 shown]
	global_load_b32 v16, v[16:17], off
	s_waitcnt vmcnt(15)
	v_ashrrev_i32_e32 v17, v217, v18
	s_delay_alu instid0(VALU_DEP_1) | instskip(SKIP_3) | instid1(VALU_DEP_3)
	v_lshrrev_b32_e32 v18, 8, v17
	v_and_b32_e32 v222, 15, v17
	s_waitcnt vmcnt(14)
	v_ashrrev_i32_e32 v19, v217, v19
	v_and_b32_e32 v18, 15, v18
	s_delay_alu instid0(VALU_DEP_3) | instskip(NEXT) | instid1(VALU_DEP_3)
	v_cvt_f16_u16_e64 v222, v222
	v_and_b32_e32 v224, 15, v19
	s_delay_alu instid0(VALU_DEP_3) | instskip(NEXT) | instid1(VALU_DEP_2)
	v_cvt_f16_u16_e32 v18, v18
	v_cvt_f16_u16_e64 v224, v224
	s_delay_alu instid0(VALU_DEP_2) | instskip(SKIP_2) | instid1(VALU_DEP_2)
	v_pack_b32_f16 v18, v222, v18
	v_lshrrev_b32_e32 v222, 16, v17
	v_bfe_u32 v17, v17, 24, 4
	v_and_b32_e32 v222, 15, v222
	s_delay_alu instid0(VALU_DEP_2) | instskip(NEXT) | instid1(VALU_DEP_2)
	v_cvt_f16_u16_e32 v17, v17
	v_cvt_f16_u16_e64 v222, v222
	s_delay_alu instid0(VALU_DEP_1) | instskip(SKIP_1) | instid1(VALU_DEP_1)
	v_pack_b32_f16 v17, v222, v17
	v_lshrrev_b32_e32 v222, 8, v19
	v_and_b32_e32 v222, 15, v222
	s_delay_alu instid0(VALU_DEP_1) | instskip(NEXT) | instid1(VALU_DEP_1)
	v_cvt_f16_u16_e64 v222, v222
	v_pack_b32_f16 v224, v224, v222
	v_lshrrev_b32_e32 v222, 16, v19
	v_bfe_u32 v19, v19, 24, 4
	s_waitcnt vmcnt(12)
	s_delay_alu instid0(VALU_DEP_3) | instskip(NEXT) | instid1(VALU_DEP_3)
	v_pk_fma_f16 v224, v225, v224, v225 op_sel:[0,0,1] op_sel_hi:[0,1,1]
	v_and_b32_e32 v222, 15, v222
	s_delay_alu instid0(VALU_DEP_3) | instskip(NEXT) | instid1(VALU_DEP_2)
	v_cvt_f16_u16_e32 v19, v19
	v_cvt_f16_u16_e64 v222, v222
	s_delay_alu instid0(VALU_DEP_1)
	v_pack_b32_f16 v19, v222, v19
	v_pk_fma_f16 v222, v223, v18, v223 op_sel:[0,0,1] op_sel_hi:[0,1,1]
	v_pk_fma_f16 v223, v223, v17, v223 op_sel:[0,0,1] op_sel_hi:[0,1,1]
	s_waitcnt vmcnt(11)
	v_ashrrev_i32_e32 v17, v217, v226
	v_pk_fma_f16 v225, v225, v19, v225 op_sel:[0,0,1] op_sel_hi:[0,1,1]
	s_delay_alu instid0(VALU_DEP_2) | instskip(SKIP_1) | instid1(VALU_DEP_2)
	v_lshrrev_b32_e32 v18, 8, v17
	v_and_b32_e32 v19, 15, v17
	v_and_b32_e32 v18, 15, v18
	s_delay_alu instid0(VALU_DEP_2) | instskip(NEXT) | instid1(VALU_DEP_2)
	v_cvt_f16_u16_e32 v19, v19
	v_cvt_f16_u16_e32 v18, v18
	s_delay_alu instid0(VALU_DEP_1) | instskip(SKIP_2) | instid1(VALU_DEP_2)
	v_pack_b32_f16 v18, v19, v18
	v_lshrrev_b32_e32 v19, 16, v17
	v_bfe_u32 v17, v17, 24, 4
	v_and_b32_e32 v19, 15, v19
	s_delay_alu instid0(VALU_DEP_2) | instskip(NEXT) | instid1(VALU_DEP_2)
	v_cvt_f16_u16_e32 v17, v17
	v_cvt_f16_u16_e32 v19, v19
	s_delay_alu instid0(VALU_DEP_1) | instskip(SKIP_2) | instid1(VALU_DEP_1)
	v_pack_b32_f16 v17, v19, v17
	s_waitcnt vmcnt(10)
	v_ashrrev_i32_e32 v19, v217, v227
	v_lshrrev_b32_e32 v226, 8, v19
	v_and_b32_e32 v227, 15, v19
	s_delay_alu instid0(VALU_DEP_2) | instskip(NEXT) | instid1(VALU_DEP_2)
	v_and_b32_e32 v226, 15, v226
	v_cvt_f16_u16_e64 v227, v227
	s_delay_alu instid0(VALU_DEP_2) | instskip(NEXT) | instid1(VALU_DEP_1)
	v_cvt_f16_u16_e64 v226, v226
	v_pack_b32_f16 v237, v227, v226
	v_lshrrev_b32_e32 v226, 16, v19
	v_bfe_u32 v19, v19, 24, 4
	s_delay_alu instid0(VALU_DEP_2) | instskip(NEXT) | instid1(VALU_DEP_2)
	v_and_b32_e32 v226, 15, v226
	v_cvt_f16_u16_e32 v19, v19
	s_delay_alu instid0(VALU_DEP_2) | instskip(NEXT) | instid1(VALU_DEP_1)
	v_cvt_f16_u16_e64 v226, v226
	v_pack_b32_f16 v19, v226, v19
	s_waitcnt vmcnt(9)
	v_ashrrev_i32_e32 v226, v217, v228
	s_delay_alu instid0(VALU_DEP_1) | instskip(SKIP_1) | instid1(VALU_DEP_2)
	v_lshrrev_b32_e32 v227, 8, v226
	v_and_b32_e32 v228, 15, v226
	v_and_b32_e32 v227, 15, v227
	s_delay_alu instid0(VALU_DEP_2) | instskip(NEXT) | instid1(VALU_DEP_2)
	v_cvt_f16_u16_e64 v228, v228
	v_cvt_f16_u16_e64 v227, v227
	s_delay_alu instid0(VALU_DEP_1) | instskip(SKIP_4) | instid1(VALU_DEP_3)
	v_pack_b32_f16 v238, v228, v227
	v_lshrrev_b32_e32 v227, 16, v226
	v_bfe_u32 v226, v226, 24, 4
	s_waitcnt vmcnt(7)
	v_pk_fma_f16 v228, v230, v237, v230 op_sel:[0,0,1] op_sel_hi:[0,1,1]
	v_and_b32_e32 v227, 15, v227
	s_delay_alu instid0(VALU_DEP_3) | instskip(NEXT) | instid1(VALU_DEP_2)
	v_cvt_f16_u16_e64 v226, v226
	v_cvt_f16_u16_e64 v227, v227
	s_delay_alu instid0(VALU_DEP_1)
	v_pack_b32_f16 v239, v227, v226
	v_pk_fma_f16 v227, v229, v17, v229 op_sel:[0,0,1] op_sel_hi:[0,1,1]
	s_waitcnt vmcnt(5)
	v_ashrrev_i32_e32 v17, v217, v232
	v_pk_fma_f16 v226, v229, v18, v229 op_sel:[0,0,1] op_sel_hi:[0,1,1]
	v_pk_fma_f16 v229, v230, v19, v230 op_sel:[0,0,1] op_sel_hi:[0,1,1]
	v_pk_fma_f16 v230, v231, v238, v231 op_sel:[0,0,1] op_sel_hi:[0,1,1]
	v_pk_fma_f16 v231, v231, v239, v231 op_sel:[0,0,1] op_sel_hi:[0,1,1]
	v_lshrrev_b32_e32 v18, 8, v17
	v_and_b32_e32 v19, 15, v17
	s_delay_alu instid0(VALU_DEP_2) | instskip(NEXT) | instid1(VALU_DEP_2)
	v_and_b32_e32 v18, 15, v18
	v_cvt_f16_u16_e32 v19, v19
	s_delay_alu instid0(VALU_DEP_2) | instskip(NEXT) | instid1(VALU_DEP_1)
	v_cvt_f16_u16_e32 v18, v18
	v_pack_b32_f16 v18, v19, v18
	v_lshrrev_b32_e32 v19, 16, v17
	v_bfe_u32 v17, v17, 24, 4
	s_delay_alu instid0(VALU_DEP_2) | instskip(NEXT) | instid1(VALU_DEP_2)
	v_and_b32_e32 v19, 15, v19
	v_cvt_f16_u16_e32 v17, v17
	s_delay_alu instid0(VALU_DEP_2) | instskip(NEXT) | instid1(VALU_DEP_1)
	v_cvt_f16_u16_e32 v19, v19
	v_pack_b32_f16 v17, v19, v17
	s_waitcnt vmcnt(4)
	v_ashrrev_i32_e32 v19, v217, v233
	s_delay_alu instid0(VALU_DEP_1) | instskip(SKIP_1) | instid1(VALU_DEP_2)
	v_lshrrev_b32_e32 v232, 8, v19
	v_and_b32_e32 v233, 15, v19
	v_and_b32_e32 v232, 15, v232
	s_delay_alu instid0(VALU_DEP_2) | instskip(NEXT) | instid1(VALU_DEP_2)
	v_cvt_f16_u16_e64 v233, v233
	v_cvt_f16_u16_e64 v232, v232
	s_delay_alu instid0(VALU_DEP_1) | instskip(SKIP_2) | instid1(VALU_DEP_2)
	v_pack_b32_f16 v237, v233, v232
	v_lshrrev_b32_e32 v232, 16, v19
	v_bfe_u32 v19, v19, 24, 4
	v_and_b32_e32 v232, 15, v232
	s_delay_alu instid0(VALU_DEP_2) | instskip(NEXT) | instid1(VALU_DEP_2)
	v_cvt_f16_u16_e32 v19, v19
	v_cvt_f16_u16_e64 v232, v232
	s_delay_alu instid0(VALU_DEP_1) | instskip(SKIP_2) | instid1(VALU_DEP_1)
	v_pack_b32_f16 v19, v232, v19
	s_waitcnt vmcnt(3)
	v_ashrrev_i32_e32 v232, v217, v234
	v_lshrrev_b32_e32 v233, 8, v232
	v_and_b32_e32 v234, 15, v232
	s_delay_alu instid0(VALU_DEP_2) | instskip(NEXT) | instid1(VALU_DEP_2)
	v_and_b32_e32 v233, 15, v233
	v_cvt_f16_u16_e64 v234, v234
	s_delay_alu instid0(VALU_DEP_2) | instskip(NEXT) | instid1(VALU_DEP_1)
	v_cvt_f16_u16_e64 v233, v233
	v_pack_b32_f16 v238, v234, v233
	v_lshrrev_b32_e32 v233, 16, v232
	v_bfe_u32 v232, v232, 24, 4
	s_waitcnt vmcnt(1)
	v_pk_fma_f16 v234, v236, v237, v236 op_sel:[0,0,1] op_sel_hi:[0,1,1]
	s_delay_alu instid0(VALU_DEP_3) | instskip(NEXT) | instid1(VALU_DEP_3)
	v_and_b32_e32 v233, 15, v233
	v_cvt_f16_u16_e64 v232, v232
	s_delay_alu instid0(VALU_DEP_2) | instskip(NEXT) | instid1(VALU_DEP_1)
	v_cvt_f16_u16_e64 v233, v233
	v_pack_b32_f16 v239, v233, v232
	v_pk_fma_f16 v232, v235, v18, v235 op_sel:[0,0,1] op_sel_hi:[0,1,1]
	v_pk_fma_f16 v233, v235, v17, v235 op_sel:[0,0,1] op_sel_hi:[0,1,1]
	;; [unrolled: 1-line block ×3, first 2 shown]
	s_waitcnt vmcnt(0)
	v_pk_fma_f16 v236, v16, v238, v16 op_sel:[0,0,1] op_sel_hi:[0,1,1]
	v_pk_fma_f16 v237, v16, v239, v16 op_sel:[0,0,1] op_sel_hi:[0,1,1]
	ds_load_b128 v[16:19], v76 offset:32
	ds_load_b128 v[238:241], v76 offset:48
	s_waitcnt lgkmcnt(1)
	v_pk_fma_f16 v22, v222, v16, v22 op_sel_hi:[1,0,1]
	v_pk_fma_f16 v23, v223, v16, v23 op_sel_hi:[1,0,1]
	s_delay_alu instid0(VALU_DEP_2) | instskip(NEXT) | instid1(VALU_DEP_2)
	v_pk_fma_f16 v22, v224, v16, v22 op_sel:[0,1,0]
	v_pk_fma_f16 v16, v225, v16, v23 op_sel:[0,1,0]
	s_delay_alu instid0(VALU_DEP_2) | instskip(NEXT) | instid1(VALU_DEP_2)
	v_pk_fma_f16 v22, v226, v17, v22 op_sel_hi:[1,0,1]
	v_pk_fma_f16 v16, v227, v17, v16 op_sel_hi:[1,0,1]
	s_delay_alu instid0(VALU_DEP_2) | instskip(NEXT) | instid1(VALU_DEP_2)
	v_pk_fma_f16 v22, v228, v17, v22 op_sel:[0,1,0]
	v_pk_fma_f16 v16, v229, v17, v16 op_sel:[0,1,0]
	s_delay_alu instid0(VALU_DEP_2) | instskip(NEXT) | instid1(VALU_DEP_2)
	;; [unrolled: 6-line block ×3, first 2 shown]
	v_pk_fma_f16 v17, v234, v19, v17 op_sel_hi:[1,0,1]
	v_pk_fma_f16 v16, v235, v19, v16 op_sel_hi:[1,0,1]
	s_delay_alu instid0(VALU_DEP_2) | instskip(NEXT) | instid1(VALU_DEP_2)
	v_pk_fma_f16 v22, v236, v19, v17 op_sel:[0,1,0]
	v_pk_fma_f16 v23, v237, v19, v16 op_sel:[0,1,0]
	ds_load_b128 v[16:19], v76 offset:288
	ds_load_b128 v[242:245], v76 offset:304
	s_waitcnt lgkmcnt(1)
	v_pk_fma_f16 v20, v222, v16, v20 op_sel_hi:[1,0,1]
	v_pk_fma_f16 v21, v223, v16, v21 op_sel_hi:[1,0,1]
	s_delay_alu instid0(VALU_DEP_2) | instskip(NEXT) | instid1(VALU_DEP_2)
	v_pk_fma_f16 v20, v224, v16, v20 op_sel:[0,1,0]
	v_pk_fma_f16 v16, v225, v16, v21 op_sel:[0,1,0]
	s_delay_alu instid0(VALU_DEP_2) | instskip(NEXT) | instid1(VALU_DEP_2)
	v_pk_fma_f16 v20, v226, v17, v20 op_sel_hi:[1,0,1]
	v_pk_fma_f16 v16, v227, v17, v16 op_sel_hi:[1,0,1]
	s_delay_alu instid0(VALU_DEP_2) | instskip(NEXT) | instid1(VALU_DEP_2)
	v_pk_fma_f16 v20, v228, v17, v20 op_sel:[0,1,0]
	v_pk_fma_f16 v16, v229, v17, v16 op_sel:[0,1,0]
	s_delay_alu instid0(VALU_DEP_2) | instskip(NEXT) | instid1(VALU_DEP_2)
	;; [unrolled: 6-line block ×3, first 2 shown]
	v_pk_fma_f16 v17, v234, v19, v17 op_sel_hi:[1,0,1]
	v_pk_fma_f16 v16, v235, v19, v16 op_sel_hi:[1,0,1]
	s_delay_alu instid0(VALU_DEP_2) | instskip(NEXT) | instid1(VALU_DEP_2)
	v_pk_fma_f16 v18, v236, v19, v17 op_sel:[0,1,0]
	v_pk_fma_f16 v19, v237, v19, v16 op_sel:[0,1,0]
	v_add_co_u32 v16, vcc_lo, v121, s9
	v_add_co_ci_u32_e32 v17, vcc_lo, 0, v122, vcc_lo
	global_load_b32 v20, v[16:17], off
	v_add_co_u32 v16, vcc_lo, v117, s9
	v_add_co_ci_u32_e32 v17, vcc_lo, 0, v118, vcc_lo
	global_load_b32 v21, v[16:17], off
	;; [unrolled: 3-line block ×15, first 2 shown]
	v_add_co_u32 v16, vcc_lo, v95, s9
	v_add_co_ci_u32_e32 v17, vcc_lo, 0, v96, vcc_lo
	v_add_co_u32 v77, vcc_lo, v77, s18
	v_add_co_ci_u32_e32 v78, vcc_lo, 0, v78, vcc_lo
	global_load_b32 v16, v[16:17], off
	v_add_co_u32 v69, vcc_lo, v69, s16
	v_add_co_ci_u32_e32 v70, vcc_lo, s17, v70, vcc_lo
	v_add_co_u32 v79, vcc_lo, v79, s16
	v_add_co_ci_u32_e32 v80, vcc_lo, s17, v80, vcc_lo
	;; [unrolled: 2-line block ×49, first 2 shown]
	v_add_co_u32 v175, vcc_lo, v175, s6
	s_waitcnt vmcnt(15)
	v_ashrrev_i32_e32 v17, v217, v20
	v_add_co_ci_u32_e32 v176, vcc_lo, 0, v176, vcc_lo
	v_add_co_u32 v177, vcc_lo, v177, s6
	s_delay_alu instid0(VALU_DEP_3)
	v_lshrrev_b32_e32 v20, 8, v17
	v_and_b32_e32 v235, 15, v17
	v_add_co_ci_u32_e32 v178, vcc_lo, 0, v178, vcc_lo
	s_waitcnt vmcnt(14)
	v_ashrrev_i32_e32 v21, v217, v21
	v_and_b32_e32 v20, 15, v20
	v_cvt_f16_u16_e64 v235, v235
	v_add_co_u32 v179, vcc_lo, v179, s6
	s_delay_alu instid0(VALU_DEP_4) | instskip(NEXT) | instid1(VALU_DEP_4)
	v_and_b32_e32 v236, 15, v21
	v_cvt_f16_u16_e32 v20, v20
	v_add_co_ci_u32_e32 v180, vcc_lo, 0, v180, vcc_lo
	v_add_co_u32 v181, vcc_lo, v181, s6
	s_delay_alu instid0(VALU_DEP_3) | instskip(SKIP_4) | instid1(VALU_DEP_4)
	v_pack_b32_f16 v20, v235, v20
	v_lshrrev_b32_e32 v235, 16, v17
	v_bfe_u32 v17, v17, 24, 4
	v_cvt_f16_u16_e64 v236, v236
	v_add_co_ci_u32_e32 v182, vcc_lo, 0, v182, vcc_lo
	v_and_b32_e32 v235, 15, v235
	s_delay_alu instid0(VALU_DEP_4)
	v_cvt_f16_u16_e32 v17, v17
	s_waitcnt vmcnt(13)
	v_pk_fma_f16 v20, v222, v20, v222 op_sel:[0,0,1] op_sel_hi:[0,1,1]
	v_add_co_u32 v183, vcc_lo, v183, s6
	v_cvt_f16_u16_e64 v235, v235
	v_add_co_ci_u32_e32 v184, vcc_lo, 0, v184, vcc_lo
	v_add_co_u32 v185, vcc_lo, v185, s6
	s_delay_alu instid0(VALU_DEP_3) | instskip(SKIP_3) | instid1(VALU_DEP_3)
	v_pack_b32_f16 v17, v235, v17
	v_lshrrev_b32_e32 v235, 8, v21
	v_add_co_ci_u32_e32 v186, vcc_lo, 0, v186, vcc_lo
	v_add_co_u32 v187, vcc_lo, v187, s6
	v_and_b32_e32 v235, 15, v235
	v_pk_fma_f16 v222, v222, v17, v222 op_sel:[0,0,1] op_sel_hi:[0,1,1]
	s_waitcnt vmcnt(11)
	v_ashrrev_i32_e32 v17, v217, v224
	v_add_co_ci_u32_e32 v188, vcc_lo, 0, v188, vcc_lo
	v_cvt_f16_u16_e64 v235, v235
	s_waitcnt vmcnt(9)
	v_ashrrev_i32_e32 v226, v217, v226
	v_and_b32_e32 v224, 15, v17
	v_add_co_u32 v189, vcc_lo, v189, s6
	v_pack_b32_f16 v235, v236, v235
	v_lshrrev_b32_e32 v236, 16, v21
	v_bfe_u32 v21, v21, 24, 4
	v_cvt_f16_u16_e64 v224, v224
	v_and_b32_e32 v237, 15, v226
	v_pk_fma_f16 v235, v223, v235, v223 op_sel:[0,0,1] op_sel_hi:[0,1,1]
	v_and_b32_e32 v236, 15, v236
	v_cvt_f16_u16_e32 v21, v21
	v_add_co_ci_u32_e32 v190, vcc_lo, 0, v190, vcc_lo
	v_cvt_f16_u16_e64 v237, v237
	s_delay_alu instid0(VALU_DEP_4) | instskip(SKIP_2) | instid1(VALU_DEP_3)
	v_cvt_f16_u16_e64 v236, v236
	v_add_co_u32 v191, vcc_lo, v191, s6
	v_add_co_ci_u32_e32 v192, vcc_lo, 0, v192, vcc_lo
	v_pack_b32_f16 v21, v236, v21
	s_waitcnt lgkmcnt(0)
	v_pk_fma_f16 v18, v20, v242, v18 op_sel_hi:[1,0,1]
	v_pk_fma_f16 v19, v222, v242, v19 op_sel_hi:[1,0,1]
	v_add_co_u32 v193, vcc_lo, v193, s6
	v_pk_fma_f16 v21, v223, v21, v223 op_sel:[0,0,1] op_sel_hi:[0,1,1]
	v_lshrrev_b32_e32 v223, 8, v17
	v_add_co_ci_u32_e32 v194, vcc_lo, 0, v194, vcc_lo
	v_add_co_u32 v195, vcc_lo, v195, s6
	s_delay_alu instid0(VALU_DEP_3) | instskip(SKIP_3) | instid1(VALU_DEP_4)
	v_and_b32_e32 v223, 15, v223
	v_pk_fma_f16 v18, v235, v242, v18 op_sel:[0,1,0]
	v_pk_fma_f16 v19, v21, v242, v19 op_sel:[0,1,0]
	v_add_co_ci_u32_e32 v196, vcc_lo, 0, v196, vcc_lo
	v_cvt_f16_u16_e64 v223, v223
	v_add_co_u32 v197, vcc_lo, v197, s6
	v_add_co_ci_u32_e32 v198, vcc_lo, 0, v198, vcc_lo
	s_delay_alu instid0(VALU_DEP_3)
	v_pack_b32_f16 v223, v224, v223
	v_lshrrev_b32_e32 v224, 16, v17
	v_bfe_u32 v17, v17, 24, 4
	v_add_co_u32 v199, vcc_lo, v199, s6
	s_waitcnt vmcnt(8)
	v_pk_fma_f16 v223, v227, v223, v227 op_sel:[0,0,1] op_sel_hi:[0,1,1]
	v_and_b32_e32 v224, 15, v224
	v_cvt_f16_u16_e32 v17, v17
	s_waitcnt vmcnt(3)
	v_ashrrev_i32_e32 v232, v217, v232
	v_add_co_ci_u32_e32 v200, vcc_lo, 0, v200, vcc_lo
	v_cvt_f16_u16_e64 v224, v224
	v_pk_fma_f16 v18, v223, v243, v18 op_sel_hi:[1,0,1]
	v_add_co_u32 v201, vcc_lo, v201, s6
	v_add_co_ci_u32_e32 v202, vcc_lo, 0, v202, vcc_lo
	s_delay_alu instid0(VALU_DEP_4) | instskip(SKIP_3) | instid1(VALU_DEP_3)
	v_pack_b32_f16 v17, v224, v17
	v_ashrrev_i32_e32 v224, v217, v225
	v_add_co_u32 v203, vcc_lo, v203, s6
	v_add_co_ci_u32_e32 v204, vcc_lo, 0, v204, vcc_lo
	v_lshrrev_b32_e32 v225, 8, v224
	v_and_b32_e32 v236, 15, v224
	v_pk_fma_f16 v227, v227, v17, v227 op_sel:[0,0,1] op_sel_hi:[0,1,1]
	v_ashrrev_i32_e32 v17, v217, v230
	v_add_co_u32 v205, vcc_lo, v205, s6
	v_and_b32_e32 v225, 15, v225
	v_cvt_f16_u16_e64 v236, v236
	s_delay_alu instid0(VALU_DEP_4) | instskip(SKIP_3) | instid1(VALU_DEP_4)
	v_and_b32_e32 v230, 15, v17
	v_pk_fma_f16 v19, v227, v243, v19 op_sel_hi:[1,0,1]
	v_add_co_ci_u32_e32 v206, vcc_lo, 0, v206, vcc_lo
	v_cvt_f16_u16_e64 v225, v225
	v_cvt_f16_u16_e64 v230, v230
	v_add_co_u32 v207, vcc_lo, v207, s6
	v_add_co_ci_u32_e32 v208, vcc_lo, 0, v208, vcc_lo
	s_delay_alu instid0(VALU_DEP_4) | instskip(SKIP_3) | instid1(VALU_DEP_4)
	v_pack_b32_f16 v225, v236, v225
	v_lshrrev_b32_e32 v236, 16, v224
	v_bfe_u32 v224, v224, 24, 4
	v_add_co_u32 v209, vcc_lo, v209, s6
	v_pk_fma_f16 v225, v228, v225, v228 op_sel:[0,0,1] op_sel_hi:[0,1,1]
	s_delay_alu instid0(VALU_DEP_4) | instskip(NEXT) | instid1(VALU_DEP_4)
	v_and_b32_e32 v236, 15, v236
	v_cvt_f16_u16_e64 v224, v224
	v_add_co_ci_u32_e32 v210, vcc_lo, 0, v210, vcc_lo
	s_delay_alu instid0(VALU_DEP_4) | instskip(NEXT) | instid1(VALU_DEP_4)
	v_pk_fma_f16 v18, v225, v243, v18 op_sel:[0,1,0]
	v_cvt_f16_u16_e64 v236, v236
	v_add_co_u32 v211, vcc_lo, v211, s6
	v_add_co_ci_u32_e32 v212, vcc_lo, 0, v212, vcc_lo
	s_delay_alu instid0(VALU_DEP_3) | instskip(SKIP_3) | instid1(VALU_DEP_3)
	v_pack_b32_f16 v224, v236, v224
	v_lshrrev_b32_e32 v236, 8, v226
	v_add_co_u32 v213, vcc_lo, v213, s6
	v_add_co_ci_u32_e32 v214, vcc_lo, 0, v214, vcc_lo
	v_and_b32_e32 v236, 15, v236
	v_pk_fma_f16 v224, v228, v224, v228 op_sel:[0,0,1] op_sel_hi:[0,1,1]
	v_add_co_u32 v215, vcc_lo, v215, s6
	v_add_co_ci_u32_e32 v216, vcc_lo, 0, v216, vcc_lo
	s_delay_alu instid0(VALU_DEP_4) | instskip(NEXT) | instid1(VALU_DEP_4)
	v_cvt_f16_u16_e64 v236, v236
	v_pk_fma_f16 v19, v224, v243, v19 op_sel:[0,1,0]
	s_delay_alu instid0(VALU_DEP_2) | instskip(SKIP_2) | instid1(VALU_DEP_3)
	v_pack_b32_f16 v236, v237, v236
	v_lshrrev_b32_e32 v237, 16, v226
	v_bfe_u32 v226, v226, 24, 4
	v_pk_fma_f16 v228, v229, v236, v229 op_sel:[0,0,1] op_sel_hi:[0,1,1]
	s_delay_alu instid0(VALU_DEP_3) | instskip(NEXT) | instid1(VALU_DEP_3)
	v_and_b32_e32 v237, 15, v237
	v_cvt_f16_u16_e64 v226, v226
	s_delay_alu instid0(VALU_DEP_3) | instskip(NEXT) | instid1(VALU_DEP_3)
	v_pk_fma_f16 v18, v228, v244, v18 op_sel_hi:[1,0,1]
	v_cvt_f16_u16_e64 v237, v237
	s_delay_alu instid0(VALU_DEP_1) | instskip(SKIP_1) | instid1(VALU_DEP_2)
	v_pack_b32_f16 v226, v237, v226
	v_and_b32_e32 v237, 15, v232
	v_pk_fma_f16 v226, v229, v226, v229 op_sel:[0,0,1] op_sel_hi:[0,1,1]
	v_lshrrev_b32_e32 v229, 8, v17
	s_delay_alu instid0(VALU_DEP_3) | instskip(NEXT) | instid1(VALU_DEP_3)
	v_cvt_f16_u16_e64 v237, v237
	v_pk_fma_f16 v19, v226, v244, v19 op_sel_hi:[1,0,1]
	s_delay_alu instid0(VALU_DEP_3) | instskip(NEXT) | instid1(VALU_DEP_1)
	v_and_b32_e32 v229, 15, v229
	v_cvt_f16_u16_e64 v229, v229
	s_delay_alu instid0(VALU_DEP_1) | instskip(SKIP_3) | instid1(VALU_DEP_3)
	v_pack_b32_f16 v229, v230, v229
	v_lshrrev_b32_e32 v230, 16, v17
	v_bfe_u32 v17, v17, 24, 4
	s_waitcnt vmcnt(2)
	v_pk_fma_f16 v229, v233, v229, v233 op_sel:[0,0,1] op_sel_hi:[0,1,1]
	s_delay_alu instid0(VALU_DEP_3) | instskip(NEXT) | instid1(VALU_DEP_3)
	v_and_b32_e32 v230, 15, v230
	v_cvt_f16_u16_e32 v17, v17
	s_delay_alu instid0(VALU_DEP_3) | instskip(NEXT) | instid1(VALU_DEP_3)
	v_pk_fma_f16 v18, v229, v244, v18 op_sel:[0,1,0]
	v_cvt_f16_u16_e64 v230, v230
	s_delay_alu instid0(VALU_DEP_1) | instskip(SKIP_1) | instid1(VALU_DEP_2)
	v_pack_b32_f16 v17, v230, v17
	v_ashrrev_i32_e32 v230, v217, v231
	v_pk_fma_f16 v233, v233, v17, v233 op_sel:[0,0,1] op_sel_hi:[0,1,1]
	s_delay_alu instid0(VALU_DEP_2) | instskip(SKIP_2) | instid1(VALU_DEP_4)
	v_lshrrev_b32_e32 v231, 8, v230
	v_and_b32_e32 v236, 15, v230
	v_pk_fma_f16 v17, v222, v238, v23 op_sel_hi:[1,0,1]
	v_pk_fma_f16 v19, v233, v244, v19 op_sel:[0,1,0]
	s_delay_alu instid0(VALU_DEP_4) | instskip(NEXT) | instid1(VALU_DEP_4)
	v_and_b32_e32 v231, 15, v231
	v_cvt_f16_u16_e64 v236, v236
	s_delay_alu instid0(VALU_DEP_4) | instskip(NEXT) | instid1(VALU_DEP_3)
	v_pk_fma_f16 v17, v21, v238, v17 op_sel:[0,1,0]
	v_cvt_f16_u16_e64 v231, v231
	s_delay_alu instid0(VALU_DEP_2) | instskip(NEXT) | instid1(VALU_DEP_2)
	v_pk_fma_f16 v17, v227, v239, v17 op_sel_hi:[1,0,1]
	v_pack_b32_f16 v231, v236, v231
	v_lshrrev_b32_e32 v236, 16, v230
	v_bfe_u32 v230, v230, 24, 4
	s_delay_alu instid0(VALU_DEP_4)
	v_pk_fma_f16 v17, v224, v239, v17 op_sel:[0,1,0]
	s_waitcnt vmcnt(1)
	v_pk_fma_f16 v231, v234, v231, v234 op_sel:[0,0,1] op_sel_hi:[0,1,1]
	v_and_b32_e32 v236, 15, v236
	v_cvt_f16_u16_e64 v230, v230
	v_pk_fma_f16 v17, v226, v240, v17 op_sel_hi:[1,0,1]
	s_delay_alu instid0(VALU_DEP_4) | instskip(NEXT) | instid1(VALU_DEP_4)
	v_pk_fma_f16 v18, v231, v245, v18 op_sel_hi:[1,0,1]
	v_cvt_f16_u16_e64 v236, v236
	s_delay_alu instid0(VALU_DEP_3) | instskip(NEXT) | instid1(VALU_DEP_2)
	v_pk_fma_f16 v17, v233, v240, v17 op_sel:[0,1,0]
	v_pack_b32_f16 v230, v236, v230
	v_lshrrev_b32_e32 v236, 8, v232
	s_delay_alu instid0(VALU_DEP_2) | instskip(NEXT) | instid1(VALU_DEP_2)
	v_pk_fma_f16 v230, v234, v230, v234 op_sel:[0,0,1] op_sel_hi:[0,1,1]
	v_and_b32_e32 v236, 15, v236
	s_delay_alu instid0(VALU_DEP_2) | instskip(NEXT) | instid1(VALU_DEP_2)
	v_pk_fma_f16 v17, v230, v241, v17 op_sel_hi:[1,0,1]
	v_cvt_f16_u16_e64 v236, v236
	v_pk_fma_f16 v19, v230, v245, v19 op_sel_hi:[1,0,1]
	s_delay_alu instid0(VALU_DEP_2) | instskip(SKIP_3) | instid1(VALU_DEP_3)
	v_pack_b32_f16 v236, v237, v236
	v_lshrrev_b32_e32 v237, 16, v232
	v_bfe_u32 v232, v232, 24, 4
	s_waitcnt vmcnt(0)
	v_pk_fma_f16 v234, v16, v236, v16 op_sel:[0,0,1] op_sel_hi:[0,1,1]
	s_delay_alu instid0(VALU_DEP_3) | instskip(NEXT) | instid1(VALU_DEP_3)
	v_and_b32_e32 v237, 15, v237
	v_cvt_f16_u16_e64 v232, v232
	s_delay_alu instid0(VALU_DEP_3) | instskip(NEXT) | instid1(VALU_DEP_3)
	v_pk_fma_f16 v18, v234, v245, v18 op_sel:[0,1,0]
	v_cvt_f16_u16_e64 v237, v237
	s_delay_alu instid0(VALU_DEP_1) | instskip(NEXT) | instid1(VALU_DEP_1)
	v_pack_b32_f16 v232, v237, v232
	v_pk_fma_f16 v232, v16, v232, v16 op_sel:[0,0,1] op_sel_hi:[0,1,1]
	v_pk_fma_f16 v16, v20, v238, v22 op_sel_hi:[1,0,1]
	s_delay_alu instid0(VALU_DEP_2) | instskip(NEXT) | instid1(VALU_DEP_2)
	v_pk_fma_f16 v17, v232, v241, v17 op_sel:[0,1,0]
	v_pk_fma_f16 v16, v235, v238, v16 op_sel:[0,1,0]
	;; [unrolled: 1-line block ×3, first 2 shown]
	s_delay_alu instid0(VALU_DEP_2) | instskip(NEXT) | instid1(VALU_DEP_1)
	v_pk_fma_f16 v16, v223, v239, v16 op_sel_hi:[1,0,1]
	v_pk_fma_f16 v16, v225, v239, v16 op_sel:[0,1,0]
	s_delay_alu instid0(VALU_DEP_1) | instskip(NEXT) | instid1(VALU_DEP_1)
	v_pk_fma_f16 v16, v228, v240, v16 op_sel_hi:[1,0,1]
	v_pk_fma_f16 v16, v229, v240, v16 op_sel:[0,1,0]
	s_delay_alu instid0(VALU_DEP_1) | instskip(NEXT) | instid1(VALU_DEP_1)
	v_pk_fma_f16 v16, v231, v241, v16 op_sel_hi:[1,0,1]
	v_pk_fma_f16 v16, v234, v241, v16 op_sel:[0,1,0]
	s_cbranch_scc1 .LBB19_27
; %bb.26:                               ;   in Loop: Header=BB19_17 Depth=1
	v_dual_mov_b32 v21, v58 :: v_dual_mov_b32 v20, v59
	s_branch .LBB19_17
.LBB19_27:
	ds_store_b128 v65, v[16:19]
.LBB19_28:
	s_cmp_eq_u64 s[24:25], 0
	s_cselect_b32 s1, -1, 0
	s_cmp_lg_u32 s14, 0
	s_cselect_b32 s4, -1, 0
	s_delay_alu instid0(SALU_CYCLE_1) | instskip(NEXT) | instid1(SALU_CYCLE_1)
	s_or_b32 s1, s4, s1
	s_or_b32 s0, s0, s1
	s_delay_alu instid0(SALU_CYCLE_1) | instskip(NEXT) | instid1(SALU_CYCLE_1)
	s_xor_b32 s0, s0, -1
	s_and_saveexec_b32 s1, s0
	s_cbranch_execz .LBB19_30
; %bb.29:
	s_ashr_i32 s13, s12, 31
	v_cmp_eq_u32_e32 vcc_lo, 1, v61
	s_lshl_b64 s[4:5], s[12:13], 2
	s_delay_alu instid0(SALU_CYCLE_1) | instskip(SKIP_3) | instid1(VALU_DEP_1)
	s_add_u32 s4, s24, s4
	s_addc_u32 s5, s25, s5
	s_load_b32 s0, s[4:5], 0x0
	v_cndmask_b32_e32 v0, v58, v59, vcc_lo
	v_max_f32_e32 v1, v0, v0
	s_waitcnt lgkmcnt(0)
	v_max_f32_e64 v2, s0, s0
	s_delay_alu instid0(VALU_DEP_1) | instskip(NEXT) | instid1(VALU_DEP_1)
	v_max_f32_e32 v2, v2, v1
	v_sub_f32_e32 v3, s0, v2
	v_sub_f32_e32 v4, v0, v2
	s_delay_alu instid0(VALU_DEP_2) | instskip(SKIP_1) | instid1(VALU_DEP_2)
	v_mul_f32_e32 v0, 0x3fb8aa3b, v3
	v_cmp_ngt_f32_e64 s0, 0xc2ce8ed0, v3
	v_fma_f32 v5, 0x3fb8aa3b, v3, -v0
	v_rndne_f32_e32 v6, v0
	s_delay_alu instid0(VALU_DEP_2) | instskip(SKIP_2) | instid1(VALU_DEP_2)
	v_fmac_f32_e32 v5, 0x32a5705f, v3
	v_mul_f32_e32 v1, 0x3fb8aa3b, v4
	v_cndmask_b32_e32 v59, v59, v2, vcc_lo
	v_fma_f32 v7, 0x3fb8aa3b, v4, -v1
	v_rndne_f32_e32 v8, v1
	s_delay_alu instid0(VALU_DEP_2) | instskip(NEXT) | instid1(VALU_DEP_1)
	v_dual_sub_f32 v0, v0, v6 :: v_dual_fmac_f32 v7, 0x32a5705f, v4
	v_dual_sub_f32 v1, v1, v8 :: v_dual_add_f32 v0, v0, v5
	s_delay_alu instid0(VALU_DEP_1) | instskip(NEXT) | instid1(VALU_DEP_2)
	v_add_f32_e32 v1, v1, v7
	v_exp_f32_e32 v0, v0
	v_cvt_i32_f32_e32 v7, v8
	s_delay_alu instid0(VALU_DEP_2)
	v_exp_f32_e32 v5, v1
	v_cvt_i32_f32_e32 v1, v6
	v_lshl_add_u32 v6, v61, 3, v65
	s_waitcnt_depctr 0xfff
	v_ldexp_f32 v8, v0, v1
	ds_load_b64 v[0:1], v6
	v_ldexp_f32 v5, v5, v7
	v_cndmask_b32_e64 v7, 0, v8, s0
	v_cmp_ngt_f32_e64 s0, 0xc2ce8ed0, v4
	s_delay_alu instid0(VALU_DEP_1) | instskip(SKIP_1) | instid1(VALU_DEP_1)
	v_cndmask_b32_e64 v5, 0, v5, s0
	v_cmp_nlt_f32_e64 s0, 0x42b17218, v3
	v_cndmask_b32_e64 v3, 0x7f800000, v7, s0
	v_cmp_nlt_f32_e64 s0, 0x42b17218, v4
	v_cndmask_b32_e32 v7, v56, v57, vcc_lo
	s_delay_alu instid0(VALU_DEP_2) | instskip(SKIP_1) | instid1(VALU_DEP_2)
	v_cndmask_b32_e64 v4, 0x7f800000, v5, s0
	v_cmp_eq_u32_e64 s0, 0, v60
	v_cvt_f16_f32_e32 v5, v4
	s_delay_alu instid0(VALU_DEP_2) | instskip(SKIP_2) | instid1(VALU_DEP_3)
	v_cndmask_b32_e64 v3, 0, v3, s0
	v_cmp_eq_u32_e64 s0, 0, v61
	s_waitcnt lgkmcnt(0)
	v_pk_mul_f16 v0, v5, v0 op_sel_hi:[0,1]
	s_delay_alu instid0(VALU_DEP_3) | instskip(NEXT) | instid1(VALU_DEP_3)
	v_fmac_f32_e32 v3, v7, v4
	v_cndmask_b32_e64 v58, v58, v2, s0
	v_pk_mul_f16 v1, v5, v1 op_sel_hi:[0,1]
	s_delay_alu instid0(VALU_DEP_3)
	v_cndmask_b32_e32 v57, v57, v3, vcc_lo
	v_cndmask_b32_e64 v56, v56, v3, s0
	ds_store_b64 v6, v[0:1]
.LBB19_30:
	s_or_b32 exec_lo, exec_lo, s1
	s_delay_alu instid0(SALU_CYCLE_1)
	s_mov_b32 s0, exec_lo
	v_cmpx_eq_u32_e32 0, v61
	s_cbranch_execz .LBB19_32
; %bb.31:
	v_mov_b32_e32 v0, 0xfeffffff
	v_dual_mov_b32 v2, 0 :: v_dual_add_nc_u32 v1, 0x400, v66
	ds_store_2addr_b32 v1, v0, v0 offset1:32
	ds_store_2addr_b32 v1, v2, v2 offset0:64 offset1:96
.LBB19_32:
	s_or_b32 exec_lo, exec_lo, s0
	v_cmp_eq_u32_e64 s0, 0, v60
	s_waitcnt lgkmcnt(0)
	s_barrier
	buffer_gl0_inv
	s_and_saveexec_b32 s1, s0
	s_cbranch_execz .LBB19_34
; %bb.33:
	v_lshlrev_b32_e32 v0, 2, v61
	s_delay_alu instid0(VALU_DEP_1)
	v_add_nc_u32_e32 v0, 0x400, v0
	ds_store_2addr_b32 v0, v58, v59 offset1:32
.LBB19_34:
	s_or_b32 exec_lo, exec_lo, s1
	s_cmp_lt_i32 s15, s34
	s_waitcnt lgkmcnt(0)
	s_barrier
	buffer_gl0_inv
	s_cbranch_scc1 .LBB19_36
; %bb.35:
	s_load_b32 s4, s[2:3], 0xd4
	s_cbranch_execz .LBB19_37
	s_branch .LBB19_44
.LBB19_36:
                                        ; implicit-def: $sgpr4
.LBB19_37:
	v_xor_b32_e32 v1, 16, v68
	v_xor_b32_e32 v3, 8, v68
	ds_load_b32 v0, v66 offset:1024
	v_xor_b32_e32 v4, 4, v68
	v_xor_b32_e32 v5, 2, v68
	v_cmp_gt_i32_e32 vcc_lo, 32, v1
	v_xor_b32_e32 v6, 1, v68
	s_waitcnt lgkmcnt(0)
	s_load_b32 s4, s[2:3], 0xd4
	v_lshlrev_b32_e32 v11, 3, v60
	v_cndmask_b32_e32 v1, v68, v1, vcc_lo
	v_cmp_gt_i32_e32 vcc_lo, 32, v3
	v_cndmask_b32_e32 v3, v68, v3, vcc_lo
	v_cmp_gt_i32_e32 vcc_lo, 32, v4
	;; [unrolled: 2-line block ×3, first 2 shown]
	s_delay_alu instid0(VALU_DEP_2)
	v_lshlrev_b32_e32 v4, 2, v4
	v_lshlrev_b32_e32 v2, 2, v1
	v_cndmask_b32_e32 v5, v68, v5, vcc_lo
	v_cmp_gt_i32_e32 vcc_lo, 32, v6
	ds_bpermute_b32 v1, v2, v0
	v_dual_max_f32 v0, v0, v0 :: v_dual_lshlrev_b32 v5, 2, v5
	v_cndmask_b32_e32 v6, v68, v6, vcc_lo
	s_waitcnt lgkmcnt(0)
	s_delay_alu instid0(VALU_DEP_1) | instskip(NEXT) | instid1(VALU_DEP_1)
	v_dual_max_f32 v1, v1, v1 :: v_dual_lshlrev_b32 v6, 2, v6
	v_dual_max_f32 v0, v0, v1 :: v_dual_lshlrev_b32 v3, 2, v3
	ds_bpermute_b32 v1, v3, v0
	s_waitcnt lgkmcnt(0)
	v_max_f32_e32 v1, v1, v1
	s_delay_alu instid0(VALU_DEP_1) | instskip(SKIP_3) | instid1(VALU_DEP_1)
	v_max_f32_e32 v0, v0, v1
	ds_bpermute_b32 v1, v4, v0
	s_waitcnt lgkmcnt(0)
	v_max_f32_e32 v1, v1, v1
	v_max_f32_e32 v0, v0, v1
	ds_bpermute_b32 v1, v5, v0
	s_waitcnt lgkmcnt(0)
	v_max_f32_e32 v1, v1, v1
	s_delay_alu instid0(VALU_DEP_1) | instskip(SKIP_3) | instid1(VALU_DEP_1)
	v_max_f32_e32 v0, v0, v1
	ds_bpermute_b32 v1, v6, v0
	s_waitcnt lgkmcnt(0)
	v_max_f32_e32 v1, v1, v1
	v_max_f32_e32 v0, v0, v1
	s_delay_alu instid0(VALU_DEP_1) | instskip(NEXT) | instid1(VALU_DEP_1)
	v_sub_f32_e32 v1, v58, v0
	v_mul_f32_e32 v7, 0x3fb8aa3b, v1
	v_cmp_ngt_f32_e32 vcc_lo, 0xc2ce8ed0, v1
	s_delay_alu instid0(VALU_DEP_2) | instskip(SKIP_1) | instid1(VALU_DEP_1)
	v_fma_f32 v8, 0x3fb8aa3b, v1, -v7
	v_rndne_f32_e32 v9, v7
	v_dual_fmamk_f32 v8, v1, 0x32a5705f, v8 :: v_dual_sub_f32 v7, v7, v9
	s_delay_alu instid0(VALU_DEP_1)
	v_add_f32_e32 v7, v7, v8
	v_cvt_i32_f32_e32 v8, v9
	ds_load_b64 v[9:10], v65
	v_exp_f32_e32 v7, v7
	s_waitcnt_depctr 0xfff
	v_ldexp_f32 v7, v7, v8
	s_delay_alu instid0(VALU_DEP_1) | instskip(SKIP_1) | instid1(VALU_DEP_2)
	v_cndmask_b32_e32 v7, 0, v7, vcc_lo
	v_cmp_nlt_f32_e32 vcc_lo, 0x42b17218, v1
	v_cndmask_b32_e32 v7, 0x7f800000, v7, vcc_lo
	s_delay_alu instid0(VALU_DEP_1)
	v_mul_f32_e32 v1, v56, v7
	ds_bpermute_b32 v1, v2, v1
	s_waitcnt lgkmcnt(0)
	v_fmac_f32_e32 v1, v56, v7
	v_cvt_f16_f32_e32 v7, v7
	ds_bpermute_b32 v8, v3, v1
	v_pk_mul_f16 v9, v7, v9 op_sel_hi:[0,1]
	v_pk_mul_f16 v10, v7, v10 op_sel_hi:[0,1]
	v_add_nc_u32_e32 v7, v62, v11
	ds_store_b64 v65, v[9:10]
	ds_store_b64 v7, v[9:10]
	s_waitcnt lgkmcnt(2)
	v_add_f32_e32 v1, v1, v8
	ds_bpermute_b32 v8, v4, v1
	s_waitcnt lgkmcnt(0)
	v_add_f32_e32 v1, v1, v8
	ds_bpermute_b32 v8, v5, v1
	;; [unrolled: 3-line block ×3, first 2 shown]
	s_and_saveexec_b32 s1, s0
	s_cbranch_execz .LBB19_39
; %bb.38:
	s_waitcnt lgkmcnt(0)
	v_dual_add_f32 v1, v1, v8 :: v_dual_lshlrev_b32 v8, 2, v61
	ds_store_b32 v8, v1 offset:1280
.LBB19_39:
	s_or_b32 exec_lo, exec_lo, s1
	s_waitcnt lgkmcnt(0)
	s_barrier
	buffer_gl0_inv
	ds_load_b32 v1, v66 offset:1280
	ds_load_u16 v8, v64
	ds_load_u16 v9, v64 offset:256
	ds_load_u16 v10, v64 offset:512
	;; [unrolled: 1-line block ×3, first 2 shown]
	s_cmp_eq_u32 s4, 1
	s_mul_i32 s2, s33, s34
	s_cselect_b32 s1, -1, 0
	s_add_i32 s2, s2, s15
	s_delay_alu instid0(SALU_CYCLE_1) | instskip(NEXT) | instid1(SALU_CYCLE_1)
	s_mul_i32 s2, s2, s35
	s_add_i32 s2, s2, s12
	s_delay_alu instid0(SALU_CYCLE_1) | instskip(NEXT) | instid1(SALU_CYCLE_1)
	s_mul_i32 s3, s4, s2
	s_add_i32 s3, s3, s14
	s_waitcnt lgkmcnt(4)
	ds_bpermute_b32 v12, v2, v1
	s_waitcnt lgkmcnt(4)
	v_cvt_f32_f16_e32 v8, v8
	s_waitcnt lgkmcnt(3)
	v_cvt_f32_f16_e32 v9, v9
	;; [unrolled: 2-line block ×3, first 2 shown]
	v_add_f32_e32 v8, 0, v8
	s_delay_alu instid0(VALU_DEP_1) | instskip(SKIP_3) | instid1(VALU_DEP_2)
	v_add_f32_e32 v8, v8, v9
	s_waitcnt lgkmcnt(1)
	v_cvt_f32_f16_e32 v9, v11
	s_waitcnt lgkmcnt(0)
	v_dual_add_f32 v8, v8, v10 :: v_dual_add_f32 v1, v1, v12
	s_delay_alu instid0(VALU_DEP_1)
	v_add_f32_e32 v10, v8, v9
	ds_bpermute_b32 v12, v3, v1
	s_waitcnt lgkmcnt(0)
	v_add_f32_e32 v1, v1, v12
	ds_bpermute_b32 v12, v4, v1
	s_waitcnt lgkmcnt(0)
	;; [unrolled: 3-line block ×4, first 2 shown]
	v_add_f32_e32 v56, v1, v12
	s_delay_alu instid0(VALU_DEP_1) | instskip(SKIP_1) | instid1(VALU_DEP_2)
	v_div_scale_f32 v1, null, v56, v56, v10
	v_div_scale_f32 v11, vcc_lo, v10, v56, v10
	v_rcp_f32_e32 v8, v1
	s_waitcnt_depctr 0xfff
	v_fma_f32 v9, -v1, v8, 1.0
	s_delay_alu instid0(VALU_DEP_1) | instskip(NEXT) | instid1(VALU_DEP_1)
	v_fmac_f32_e32 v8, v9, v8
	v_mul_f32_e32 v9, v11, v8
	s_delay_alu instid0(VALU_DEP_1) | instskip(NEXT) | instid1(VALU_DEP_1)
	v_fma_f32 v12, -v1, v9, v11
	v_fmac_f32_e32 v9, v12, v8
	s_delay_alu instid0(VALU_DEP_1) | instskip(NEXT) | instid1(VALU_DEP_1)
	v_fma_f32 v1, -v1, v9, v11
	v_div_fmas_f32 v1, v1, v8, v9
	v_mov_b32_e32 v9, 0
	v_lshl_or_b32 v8, s3, 7, v63
	s_or_b32 s3, s15, 1
	s_delay_alu instid0(VALU_DEP_3) | instskip(SKIP_1) | instid1(VALU_DEP_2)
	v_div_fixup_f32 v1, v1, v56, v10
	s_cmp_ge_i32 s3, s34
	v_lshlrev_b64 v[8:9], 2, v[8:9]
	s_delay_alu instid0(VALU_DEP_2) | instskip(SKIP_1) | instid1(VALU_DEP_3)
	v_cndmask_b32_e64 v10, v10, v1, s1
	v_mov_b32_e32 v1, v59
	v_add_co_u32 v8, vcc_lo, s28, v8
	s_delay_alu instid0(VALU_DEP_4)
	v_add_co_ci_u32_e32 v9, vcc_lo, s29, v9, vcc_lo
	global_store_b32 v[8:9], v10, off
	s_waitcnt_vscnt null, 0x0
	s_barrier
	buffer_gl0_inv
	s_cbranch_scc1 .LBB19_43
; %bb.40:
	v_or_b32_e32 v1, 0x400, v66
	ds_load_b32 v1, v1 offset:128
	s_waitcnt lgkmcnt(0)
	ds_bpermute_b32 v8, v2, v1
	s_waitcnt lgkmcnt(0)
	v_dual_max_f32 v1, v1, v1 :: v_dual_max_f32 v8, v8, v8
	s_delay_alu instid0(VALU_DEP_1) | instskip(SKIP_3) | instid1(VALU_DEP_1)
	v_max_f32_e32 v1, v1, v8
	ds_bpermute_b32 v8, v3, v1
	s_waitcnt lgkmcnt(0)
	v_max_f32_e32 v8, v8, v8
	v_max_f32_e32 v1, v1, v8
	ds_bpermute_b32 v8, v4, v1
	s_waitcnt lgkmcnt(0)
	v_max_f32_e32 v8, v8, v8
	s_delay_alu instid0(VALU_DEP_1) | instskip(SKIP_3) | instid1(VALU_DEP_1)
	v_max_f32_e32 v1, v1, v8
	ds_bpermute_b32 v8, v5, v1
	s_waitcnt lgkmcnt(0)
	v_max_f32_e32 v8, v8, v8
	v_max_f32_e32 v1, v1, v8
	ds_bpermute_b32 v8, v6, v1
	s_waitcnt lgkmcnt(0)
	v_max_f32_e32 v8, v8, v8
	s_delay_alu instid0(VALU_DEP_1) | instskip(NEXT) | instid1(VALU_DEP_1)
	v_max_f32_e32 v1, v1, v8
	v_sub_f32_e32 v8, v59, v1
	s_delay_alu instid0(VALU_DEP_1) | instskip(SKIP_1) | instid1(VALU_DEP_2)
	v_mul_f32_e32 v9, 0x3fb8aa3b, v8
	v_cmp_ngt_f32_e32 vcc_lo, 0xc2ce8ed0, v8
	v_fma_f32 v10, 0x3fb8aa3b, v8, -v9
	v_rndne_f32_e32 v11, v9
	s_delay_alu instid0(VALU_DEP_1) | instskip(NEXT) | instid1(VALU_DEP_1)
	v_dual_fmamk_f32 v10, v8, 0x32a5705f, v10 :: v_dual_sub_f32 v9, v9, v11
	v_add_f32_e32 v9, v9, v10
	v_cvt_i32_f32_e32 v10, v11
	ds_load_b64 v[11:12], v65 offset:8
	v_exp_f32_e32 v9, v9
	s_waitcnt_depctr 0xfff
	v_ldexp_f32 v9, v9, v10
	s_delay_alu instid0(VALU_DEP_1) | instskip(SKIP_1) | instid1(VALU_DEP_2)
	v_cndmask_b32_e32 v9, 0, v9, vcc_lo
	v_cmp_nlt_f32_e32 vcc_lo, 0x42b17218, v8
	v_cndmask_b32_e32 v8, 0x7f800000, v9, vcc_lo
	s_delay_alu instid0(VALU_DEP_1)
	v_mul_f32_e32 v9, v57, v8
	ds_bpermute_b32 v9, v2, v9
	s_waitcnt lgkmcnt(0)
	v_fmac_f32_e32 v9, v57, v8
	v_cvt_f16_f32_e32 v8, v8
	ds_bpermute_b32 v10, v3, v9
	v_pk_mul_f16 v11, v8, v11 op_sel_hi:[0,1]
	v_pk_mul_f16 v12, v8, v12 op_sel_hi:[0,1]
	v_add_nc_u32_e32 v8, 0x500, v66
	ds_store_b64 v65, v[11:12] offset:8
	ds_store_b64 v7, v[11:12]
	s_waitcnt lgkmcnt(2)
	v_add_f32_e32 v9, v9, v10
	ds_bpermute_b32 v10, v4, v9
	s_waitcnt lgkmcnt(0)
	v_add_f32_e32 v9, v9, v10
	ds_bpermute_b32 v10, v5, v9
	;; [unrolled: 3-line block ×3, first 2 shown]
	s_and_saveexec_b32 s3, s0
	s_cbranch_execz .LBB19_42
; %bb.41:
	v_lshlrev_b32_e32 v7, 2, v61
	s_waitcnt lgkmcnt(0)
	v_add_f32_e32 v9, v9, v10
	ds_store_b32 v7, v9 offset:1408
.LBB19_42:
	s_or_b32 exec_lo, exec_lo, s3
	s_waitcnt lgkmcnt(0)
	s_barrier
	buffer_gl0_inv
	ds_load_b32 v7, v8 offset:128
	ds_load_u16 v8, v64
	ds_load_u16 v9, v64 offset:256
	ds_load_u16 v10, v64 offset:512
	;; [unrolled: 1-line block ×3, first 2 shown]
	s_add_i32 s2, s2, s35
	s_delay_alu instid0(SALU_CYCLE_1) | instskip(NEXT) | instid1(SALU_CYCLE_1)
	s_mul_i32 s0, s4, s2
	s_add_i32 s0, s0, s14
	s_waitcnt lgkmcnt(4)
	ds_bpermute_b32 v2, v2, v7
	s_waitcnt lgkmcnt(0)
	v_add_f32_e32 v2, v7, v2
	ds_bpermute_b32 v3, v3, v2
	s_waitcnt lgkmcnt(0)
	v_add_f32_e32 v2, v2, v3
	;; [unrolled: 3-line block ×3, first 2 shown]
	ds_bpermute_b32 v3, v5, v2
	v_cvt_f32_f16_e32 v5, v9
	s_waitcnt lgkmcnt(0)
	v_add_f32_e32 v2, v2, v3
	v_cvt_f32_f16_e32 v3, v8
	ds_bpermute_b32 v4, v6, v2
	v_add_f32_e32 v3, 0, v3
	v_cvt_f32_f16_e32 v6, v10
	s_delay_alu instid0(VALU_DEP_2) | instskip(SKIP_1) | instid1(VALU_DEP_2)
	v_add_f32_e32 v3, v3, v5
	v_cvt_f32_f16_e32 v5, v11
	v_add_f32_e32 v3, v3, v6
	s_delay_alu instid0(VALU_DEP_1) | instskip(SKIP_2) | instid1(VALU_DEP_1)
	v_add_f32_e32 v5, v3, v5
	s_waitcnt lgkmcnt(0)
	v_add_f32_e32 v57, v2, v4
	v_div_scale_f32 v3, null, v57, v57, v5
	v_div_scale_f32 v6, vcc_lo, v5, v57, v5
	s_delay_alu instid0(VALU_DEP_2) | instskip(SKIP_2) | instid1(VALU_DEP_1)
	v_rcp_f32_e32 v4, v3
	s_waitcnt_depctr 0xfff
	v_fma_f32 v2, -v3, v4, 1.0
	v_fmac_f32_e32 v4, v2, v4
	s_delay_alu instid0(VALU_DEP_1) | instskip(NEXT) | instid1(VALU_DEP_1)
	v_mul_f32_e32 v7, v6, v4
	v_fma_f32 v2, -v3, v7, v6
	s_delay_alu instid0(VALU_DEP_1) | instskip(SKIP_1) | instid1(VALU_DEP_2)
	v_fmac_f32_e32 v7, v2, v4
	v_lshl_or_b32 v2, s0, 7, v63
	v_fma_f32 v6, -v3, v7, v6
	v_mov_b32_e32 v3, 0
	s_delay_alu instid0(VALU_DEP_2) | instskip(NEXT) | instid1(VALU_DEP_2)
	v_div_fmas_f32 v4, v6, v4, v7
	v_lshlrev_b64 v[2:3], 2, v[2:3]
	s_delay_alu instid0(VALU_DEP_2) | instskip(NEXT) | instid1(VALU_DEP_2)
	v_div_fixup_f32 v4, v4, v57, v5
	v_add_co_u32 v2, vcc_lo, s28, v2
	s_delay_alu instid0(VALU_DEP_3) | instskip(NEXT) | instid1(VALU_DEP_3)
	v_add_co_ci_u32_e32 v3, vcc_lo, s29, v3, vcc_lo
	v_cndmask_b32_e64 v4, v5, v4, s1
	global_store_b32 v[2:3], v4, off
.LBB19_43:
	v_dual_mov_b32 v59, v1 :: v_dual_mov_b32 v58, v0
.LBB19_44:
	v_or_b32_e32 v0, s15, v60
	v_cmp_gt_u32_e32 vcc_lo, 2, v63
	s_waitcnt lgkmcnt(0)
	s_cmp_lg_u32 s4, 1
	s_cselect_b32 s1, -1, 0
	v_cmp_gt_i32_e64 s0, s34, v0
	s_and_b32 s1, vcc_lo, s1
	s_delay_alu instid0(VALU_DEP_1) | instid1(SALU_CYCLE_1)
	s_and_b32 s0, s1, s0
	s_delay_alu instid0(SALU_CYCLE_1)
	s_and_saveexec_b32 s1, s0
	s_cbranch_execz .LBB19_46
; %bb.45:
	v_mad_u64_u32 v[1:2], null, s33, s34, v[0:1]
	v_cmp_eq_u32_e32 vcc_lo, 1, v63
	s_delay_alu instid0(VALU_DEP_2) | instskip(SKIP_1) | instid1(VALU_DEP_2)
	v_mad_u64_u32 v[2:3], null, v1, s35, s[12:13]
	v_cndmask_b32_e32 v3, v56, v57, vcc_lo
	v_mad_u64_u32 v[0:1], null, s4, v2, s[14:15]
	v_dual_mov_b32 v1, 0 :: v_dual_cndmask_b32 v2, v58, v59
	s_delay_alu instid0(VALU_DEP_1) | instskip(NEXT) | instid1(VALU_DEP_1)
	v_lshlrev_b64 v[0:1], 3, v[0:1]
	v_add_co_u32 v0, vcc_lo, s30, v0
	s_delay_alu instid0(VALU_DEP_2)
	v_add_co_ci_u32_e32 v1, vcc_lo, s31, v1, vcc_lo
	global_store_b64 v[0:1], v[2:3], off
.LBB19_46:
	s_nop 0
	s_sendmsg sendmsg(MSG_DEALLOC_VGPRS)
	s_endpgm
	.section	.rodata,"a",@progbits
	.p2align	6, 0x0
	.amdhsa_kernel _ZL18flash_attn_ext_vecILi128ELi2EL9ggml_type3ELS0_3ELb0EEvPKcS2_S2_S2_S2_PKiPfP15HIP_vector_typeIfLj2EEffffjfiS6_IjLj3EEiiiiiiiiiiiliiliiiiil
		.amdhsa_group_segment_fixed_size 3584
		.amdhsa_private_segment_fixed_size 0
		.amdhsa_kernarg_size 464
		.amdhsa_user_sgpr_count 13
		.amdhsa_user_sgpr_dispatch_ptr 1
		.amdhsa_user_sgpr_queue_ptr 0
		.amdhsa_user_sgpr_kernarg_segment_ptr 1
		.amdhsa_user_sgpr_dispatch_id 0
		.amdhsa_user_sgpr_private_segment_size 0
		.amdhsa_wavefront_size32 1
		.amdhsa_uses_dynamic_stack 0
		.amdhsa_enable_private_segment 0
		.amdhsa_system_sgpr_workgroup_id_x 1
		.amdhsa_system_sgpr_workgroup_id_y 1
		.amdhsa_system_sgpr_workgroup_id_z 1
		.amdhsa_system_sgpr_workgroup_info 0
		.amdhsa_system_vgpr_workitem_id 2
		.amdhsa_next_free_vgpr 256
		.amdhsa_next_free_sgpr 52
		.amdhsa_reserve_vcc 1
		.amdhsa_float_round_mode_32 0
		.amdhsa_float_round_mode_16_64 0
		.amdhsa_float_denorm_mode_32 3
		.amdhsa_float_denorm_mode_16_64 3
		.amdhsa_dx10_clamp 1
		.amdhsa_ieee_mode 1
		.amdhsa_fp16_overflow 0
		.amdhsa_workgroup_processor_mode 1
		.amdhsa_memory_ordered 1
		.amdhsa_forward_progress 0
		.amdhsa_shared_vgpr_count 0
		.amdhsa_exception_fp_ieee_invalid_op 0
		.amdhsa_exception_fp_denorm_src 0
		.amdhsa_exception_fp_ieee_div_zero 0
		.amdhsa_exception_fp_ieee_overflow 0
		.amdhsa_exception_fp_ieee_underflow 0
		.amdhsa_exception_fp_ieee_inexact 0
		.amdhsa_exception_int_div_zero 0
	.end_amdhsa_kernel
	.section	.text._ZL18flash_attn_ext_vecILi128ELi2EL9ggml_type3ELS0_3ELb0EEvPKcS2_S2_S2_S2_PKiPfP15HIP_vector_typeIfLj2EEffffjfiS6_IjLj3EEiiiiiiiiiiiliiliiiiil,"axG",@progbits,_ZL18flash_attn_ext_vecILi128ELi2EL9ggml_type3ELS0_3ELb0EEvPKcS2_S2_S2_S2_PKiPfP15HIP_vector_typeIfLj2EEffffjfiS6_IjLj3EEiiiiiiiiiiiliiliiiiil,comdat
.Lfunc_end19:
	.size	_ZL18flash_attn_ext_vecILi128ELi2EL9ggml_type3ELS0_3ELb0EEvPKcS2_S2_S2_S2_PKiPfP15HIP_vector_typeIfLj2EEffffjfiS6_IjLj3EEiiiiiiiiiiiliiliiiiil, .Lfunc_end19-_ZL18flash_attn_ext_vecILi128ELi2EL9ggml_type3ELS0_3ELb0EEvPKcS2_S2_S2_S2_PKiPfP15HIP_vector_typeIfLj2EEffffjfiS6_IjLj3EEiiiiiiiiiiiliiliiiiil
                                        ; -- End function
	.section	.AMDGPU.csdata,"",@progbits
; Kernel info:
; codeLenInByte = 19984
; NumSgprs: 54
; NumVgprs: 256
; ScratchSize: 0
; MemoryBound: 0
; FloatMode: 240
; IeeeMode: 1
; LDSByteSize: 3584 bytes/workgroup (compile time only)
; SGPRBlocks: 6
; VGPRBlocks: 31
; NumSGPRsForWavesPerEU: 54
; NumVGPRsForWavesPerEU: 256
; Occupancy: 5
; WaveLimiterHint : 0
; COMPUTE_PGM_RSRC2:SCRATCH_EN: 0
; COMPUTE_PGM_RSRC2:USER_SGPR: 13
; COMPUTE_PGM_RSRC2:TRAP_HANDLER: 0
; COMPUTE_PGM_RSRC2:TGID_X_EN: 1
; COMPUTE_PGM_RSRC2:TGID_Y_EN: 1
; COMPUTE_PGM_RSRC2:TGID_Z_EN: 1
; COMPUTE_PGM_RSRC2:TIDIG_COMP_CNT: 2
	.section	.text._ZL33flash_attn_stream_k_fixup_uniformILi128ELi2ELi1EEvPfPK15HIP_vector_typeIfLj2EEiiiiiiS1_IjLj3EES5_S5_,"axG",@progbits,_ZL33flash_attn_stream_k_fixup_uniformILi128ELi2ELi1EEvPfPK15HIP_vector_typeIfLj2EEiiiiiiS1_IjLj3EES5_S5_,comdat
	.globl	_ZL33flash_attn_stream_k_fixup_uniformILi128ELi2ELi1EEvPfPK15HIP_vector_typeIfLj2EEiiiiiiS1_IjLj3EES5_S5_ ; -- Begin function _ZL33flash_attn_stream_k_fixup_uniformILi128ELi2ELi1EEvPfPK15HIP_vector_typeIfLj2EEiiiiiiS1_IjLj3EES5_S5_
	.p2align	8
	.type	_ZL33flash_attn_stream_k_fixup_uniformILi128ELi2ELi1EEvPfPK15HIP_vector_typeIfLj2EEiiiiiiS1_IjLj3EES5_S5_,@function
_ZL33flash_attn_stream_k_fixup_uniformILi128ELi2ELi1EEvPfPK15HIP_vector_typeIfLj2EEiiiiiiS1_IjLj3EES5_S5_: ; @_ZL33flash_attn_stream_k_fixup_uniformILi128ELi2ELi1EEvPfPK15HIP_vector_typeIfLj2EEiiiiiiS1_IjLj3EES5_S5_
; %bb.0:
	s_clause 0x1
	s_load_b256 s[4:11], s[0:1], 0x1c
	s_load_b128 s[16:19], s[0:1], 0x3c
	s_waitcnt lgkmcnt(0)
	s_mul_hi_u32 s2, s7, s13
	s_delay_alu instid0(SALU_CYCLE_1) | instskip(NEXT) | instid1(SALU_CYCLE_1)
	s_add_i32 s2, s13, s2
	s_lshr_b32 s2, s2, s8
	s_delay_alu instid0(SALU_CYCLE_1) | instskip(SKIP_2) | instid1(SALU_CYCLE_1)
	s_mul_i32 s3, s2, s9
	s_load_b64 s[8:9], s[0:1], 0x10
	s_sub_i32 s7, s13, s3
	s_mul_hi_u32 s3, s7, s10
	s_delay_alu instid0(SALU_CYCLE_1) | instskip(NEXT) | instid1(SALU_CYCLE_1)
	s_add_i32 s3, s7, s3
	s_lshr_b32 s3, s3, s11
	s_delay_alu instid0(SALU_CYCLE_1) | instskip(NEXT) | instid1(SALU_CYCLE_1)
	s_mul_i32 s10, s3, s16
	s_sub_i32 s10, s7, s10
	s_delay_alu instid0(SALU_CYCLE_1) | instskip(NEXT) | instid1(SALU_CYCLE_1)
	s_mul_hi_u32 s7, s10, s17
	s_add_i32 s7, s10, s7
	s_delay_alu instid0(SALU_CYCLE_1) | instskip(NEXT) | instid1(SALU_CYCLE_1)
	s_lshr_b32 s7, s7, s18
	s_mul_i32 s11, s7, s19
	s_delay_alu instid0(SALU_CYCLE_1) | instskip(NEXT) | instid1(SALU_CYCLE_1)
	s_sub_i32 s10, s10, s11
	s_lshl_b32 s11, s10, 1
	s_delay_alu instid0(SALU_CYCLE_1) | instskip(SKIP_4) | instid1(SALU_CYCLE_1)
	s_add_i32 s11, s11, s14
	s_waitcnt lgkmcnt(0)
	s_cmp_lt_i32 s11, s8
	s_cselect_b32 s11, -1, 0
	s_add_i32 s12, s7, s15
	s_cmp_lt_i32 s12, s5
	s_cselect_b32 s12, -1, 0
	s_delay_alu instid0(SALU_CYCLE_1) | instskip(NEXT) | instid1(SALU_CYCLE_1)
	s_and_b32 s11, s11, s12
	s_and_not1_b32 vcc_lo, exec_lo, s11
	s_cbranch_vccnz .LBB20_6
; %bb.1:
	s_mul_i32 s2, s2, s8
	s_mul_i32 s5, s3, s5
	s_add_i32 s2, s2, s14
	s_delay_alu instid0(SALU_CYCLE_1) | instskip(NEXT) | instid1(SALU_CYCLE_1)
	s_mul_i32 s2, s2, s9
	s_add_i32 s8, s2, s15
	s_load_b128 s[0:3], s[0:1], 0x0
	s_add_i32 s5, s8, s5
	s_mul_i32 s8, s9, s10
	s_add_i32 s5, s5, s7
	s_lshl_b32 s7, s8, 8
	s_lshl_b32 s5, s5, 7
	s_add_i32 s10, s14, s15
	s_add_i32 s7, s7, s5
	s_mul_i32 s5, s13, s6
	v_or_b32_e32 v1, s7, v0
	s_add_i32 s9, s5, s6
	s_delay_alu instid0(VALU_DEP_1) | instskip(NEXT) | instid1(VALU_DEP_1)
	v_ashrrev_i32_e32 v2, 31, v1
	v_lshlrev_b64 v[1:2], 2, v[1:2]
	s_waitcnt lgkmcnt(0)
	s_delay_alu instid0(VALU_DEP_1) | instskip(NEXT) | instid1(VALU_DEP_2)
	v_add_co_u32 v1, vcc_lo, s0, v1
	v_add_co_ci_u32_e32 v2, vcc_lo, s1, v2, vcc_lo
	s_lshl_b32 s0, s9, 1
	s_delay_alu instid0(SALU_CYCLE_1) | instskip(SKIP_2) | instid1(SALU_CYCLE_1)
	s_add_i32 s0, s10, s0
	global_load_b32 v5, v[1:2], off
	s_add_i32 s0, s0, -2
	s_ashr_i32 s1, s0, 31
	s_delay_alu instid0(SALU_CYCLE_1) | instskip(NEXT) | instid1(SALU_CYCLE_1)
	s_lshl_b64 s[0:1], s[0:1], 3
	s_add_u32 s0, s2, s0
	s_addc_u32 s1, s3, s1
	s_add_i32 s7, s9, -2
	s_load_b32 s11, s[0:1], 0x4
	s_cmp_lt_i32 s7, s5
	s_cbranch_scc1 .LBB20_4
; %bb.2:
	s_lshl_b32 s14, s4, 3
	s_load_b32 s12, s[0:1], 0x0
	s_ashr_i32 s15, s14, 31
	s_delay_alu instid0(SALU_CYCLE_1) | instskip(NEXT) | instid1(SALU_CYCLE_1)
	s_lshl_b64 s[0:1], s[14:15], 2
	s_add_u32 s7, s2, s0
	s_addc_u32 s8, s3, s1
	s_add_i32 s13, s13, 1
	s_lshl_b32 s1, s10, 7
	s_mul_i32 s0, s6, s13
	s_delay_alu instid0(SALU_CYCLE_1)
	s_lshl_b32 s6, s0, 8
	s_lshl_b32 s0, s0, 1
	s_add_i32 s1, s1, s6
	s_add_i32 s0, s10, s0
	v_or_b32_e32 v0, s1, v0
	s_lshl_b32 s1, s4, 1
	s_waitcnt lgkmcnt(0)
	v_mov_b32_e32 v6, s11
	s_add_i32 s0, s0, s1
	s_add_i32 s4, s9, -1
	v_dual_mov_b32 v0, s12 :: v_dual_add_nc_u32 v3, 0xfffffe00, v0
	s_add_i32 s0, s0, -4
.LBB20_3:                               ; =>This Inner Loop Header: Depth=1
	s_delay_alu instid0(VALU_DEP_1) | instskip(SKIP_1) | instid1(SALU_CYCLE_1)
	v_ashrrev_i32_e32 v4, 31, v3
	s_ashr_i32 s1, s0, 31
	s_lshl_b64 s[10:11], s[0:1], 3
	s_delay_alu instid0(SALU_CYCLE_1) | instskip(NEXT) | instid1(VALU_DEP_1)
	s_add_u32 s10, s2, s10
	v_lshlrev_b64 v[7:8], 2, v[3:4]
	s_addc_u32 s11, s3, s11
	s_add_i32 s4, s4, -1
	s_add_i32 s0, s0, -2
	s_cmp_le_i32 s4, s5
	s_load_b64 s[10:11], s[10:11], 0x0
	v_add_co_u32 v7, vcc_lo, s7, v7
	v_add_co_ci_u32_e32 v8, vcc_lo, s8, v8, vcc_lo
	global_load_b32 v4, v[7:8], off
	v_max_f32_e32 v7, v0, v0
	s_waitcnt lgkmcnt(0)
	v_max_f32_e64 v8, s10, s10
	s_delay_alu instid0(VALU_DEP_1) | instskip(NEXT) | instid1(VALU_DEP_1)
	v_max_f32_e32 v7, v7, v8
	v_sub_f32_e32 v8, s10, v7
	s_delay_alu instid0(VALU_DEP_1) | instskip(NEXT) | instid1(VALU_DEP_1)
	v_dual_sub_f32 v0, v0, v7 :: v_dual_mul_f32 v9, 0x3fb8aa3b, v8
	v_fma_f32 v10, 0x3fb8aa3b, v8, -v9
	v_rndne_f32_e32 v11, v9
	s_delay_alu instid0(VALU_DEP_3) | instskip(NEXT) | instid1(VALU_DEP_2)
	v_mul_f32_e32 v12, 0x3fb8aa3b, v0
	v_dual_fmac_f32 v10, 0x32a5705f, v8 :: v_dual_sub_f32 v9, v9, v11
	v_cvt_i32_f32_e32 v11, v11
	s_delay_alu instid0(VALU_DEP_3) | instskip(SKIP_1) | instid1(VALU_DEP_4)
	v_fma_f32 v13, 0x3fb8aa3b, v0, -v12
	v_rndne_f32_e32 v14, v12
	v_add_f32_e32 v9, v9, v10
	v_cmp_ngt_f32_e32 vcc_lo, 0xc2ce8ed0, v8
	s_delay_alu instid0(VALU_DEP_3) | instskip(NEXT) | instid1(VALU_DEP_3)
	v_sub_f32_e32 v10, v12, v14
	v_exp_f32_e32 v9, v9
	s_waitcnt_depctr 0xfff
	v_ldexp_f32 v9, v9, v11
	v_cvt_i32_f32_e32 v11, v14
	s_delay_alu instid0(VALU_DEP_2) | instskip(SKIP_1) | instid1(VALU_DEP_2)
	v_cndmask_b32_e32 v9, 0, v9, vcc_lo
	v_cmp_nlt_f32_e32 vcc_lo, 0x42b17218, v8
	v_cndmask_b32_e32 v9, 0x7f800000, v9, vcc_lo
	v_cmp_ngt_f32_e32 vcc_lo, 0xc2ce8ed0, v0
	v_fmac_f32_e32 v13, 0x32a5705f, v0
	s_delay_alu instid0(VALU_DEP_1) | instskip(NEXT) | instid1(VALU_DEP_1)
	v_add_f32_e32 v10, v10, v13
	v_exp_f32_e32 v10, v10
	s_waitcnt_depctr 0xfff
	v_ldexp_f32 v10, v10, v11
	s_delay_alu instid0(VALU_DEP_1)
	v_dual_mov_b32 v11, v6 :: v_dual_cndmask_b32 v10, 0, v10
	v_cmp_le_f32_e32 vcc_lo, 0xc1a00000, v8
	s_waitcnt vmcnt(1)
	v_dual_cndmask_b32 v8, 0, v9 :: v_dual_mov_b32 v9, v5
	v_cmp_nlt_f32_e32 vcc_lo, 0x42b17218, v0
	v_cndmask_b32_e32 v5, 0x7f800000, v10, vcc_lo
	s_delay_alu instid0(VALU_DEP_3) | instskip(SKIP_2) | instid1(VALU_DEP_3)
	v_mul_f32_e32 v10, s11, v8
	v_cmp_le_f32_e32 vcc_lo, 0xc1a00000, v0
	v_mov_b32_e32 v0, v7
	v_mov_b32_e32 v6, v10
	s_waitcnt vmcnt(0)
	v_dual_cndmask_b32 v12, 0, v5 :: v_dual_mul_f32 v5, v4, v8
	s_delay_alu instid0(VALU_DEP_1) | instskip(NEXT) | instid1(VALU_DEP_2)
	v_dual_fmac_f32 v6, v11, v12 :: v_dual_add_nc_u32 v3, 0xffffff00, v3
	v_fmac_f32_e32 v5, v9, v12
	s_cbranch_scc0 .LBB20_3
	s_branch .LBB20_5
.LBB20_4:
	s_waitcnt lgkmcnt(0)
	v_mov_b32_e32 v6, s11
.LBB20_5:
	s_waitcnt vmcnt(0)
	s_delay_alu instid0(VALU_DEP_1) | instskip(NEXT) | instid1(VALU_DEP_1)
	v_div_scale_f32 v0, null, v6, v6, v5
	v_rcp_f32_e32 v3, v0
	s_waitcnt_depctr 0xfff
	v_fma_f32 v4, -v0, v3, 1.0
	s_delay_alu instid0(VALU_DEP_1) | instskip(SKIP_1) | instid1(VALU_DEP_1)
	v_fmac_f32_e32 v3, v4, v3
	v_div_scale_f32 v4, vcc_lo, v5, v6, v5
	v_mul_f32_e32 v7, v4, v3
	s_delay_alu instid0(VALU_DEP_1) | instskip(NEXT) | instid1(VALU_DEP_1)
	v_fma_f32 v8, -v0, v7, v4
	v_fmac_f32_e32 v7, v8, v3
	s_delay_alu instid0(VALU_DEP_1) | instskip(NEXT) | instid1(VALU_DEP_1)
	v_fma_f32 v0, -v0, v7, v4
	v_div_fmas_f32 v0, v0, v3, v7
	s_delay_alu instid0(VALU_DEP_1)
	v_div_fixup_f32 v0, v0, v6, v5
	global_store_b32 v[1:2], v0, off
.LBB20_6:
	s_nop 0
	s_sendmsg sendmsg(MSG_DEALLOC_VGPRS)
	s_endpgm
	.section	.rodata,"a",@progbits
	.p2align	6, 0x0
	.amdhsa_kernel _ZL33flash_attn_stream_k_fixup_uniformILi128ELi2ELi1EEvPfPK15HIP_vector_typeIfLj2EEiiiiiiS1_IjLj3EES5_S5_
		.amdhsa_group_segment_fixed_size 0
		.amdhsa_private_segment_fixed_size 0
		.amdhsa_kernarg_size 76
		.amdhsa_user_sgpr_count 13
		.amdhsa_user_sgpr_dispatch_ptr 0
		.amdhsa_user_sgpr_queue_ptr 0
		.amdhsa_user_sgpr_kernarg_segment_ptr 1
		.amdhsa_user_sgpr_dispatch_id 0
		.amdhsa_user_sgpr_private_segment_size 0
		.amdhsa_wavefront_size32 1
		.amdhsa_uses_dynamic_stack 0
		.amdhsa_enable_private_segment 0
		.amdhsa_system_sgpr_workgroup_id_x 1
		.amdhsa_system_sgpr_workgroup_id_y 1
		.amdhsa_system_sgpr_workgroup_id_z 1
		.amdhsa_system_sgpr_workgroup_info 0
		.amdhsa_system_vgpr_workitem_id 0
		.amdhsa_next_free_vgpr 15
		.amdhsa_next_free_sgpr 20
		.amdhsa_reserve_vcc 1
		.amdhsa_float_round_mode_32 0
		.amdhsa_float_round_mode_16_64 0
		.amdhsa_float_denorm_mode_32 3
		.amdhsa_float_denorm_mode_16_64 3
		.amdhsa_dx10_clamp 1
		.amdhsa_ieee_mode 1
		.amdhsa_fp16_overflow 0
		.amdhsa_workgroup_processor_mode 1
		.amdhsa_memory_ordered 1
		.amdhsa_forward_progress 0
		.amdhsa_shared_vgpr_count 0
		.amdhsa_exception_fp_ieee_invalid_op 0
		.amdhsa_exception_fp_denorm_src 0
		.amdhsa_exception_fp_ieee_div_zero 0
		.amdhsa_exception_fp_ieee_overflow 0
		.amdhsa_exception_fp_ieee_underflow 0
		.amdhsa_exception_fp_ieee_inexact 0
		.amdhsa_exception_int_div_zero 0
	.end_amdhsa_kernel
	.section	.text._ZL33flash_attn_stream_k_fixup_uniformILi128ELi2ELi1EEvPfPK15HIP_vector_typeIfLj2EEiiiiiiS1_IjLj3EES5_S5_,"axG",@progbits,_ZL33flash_attn_stream_k_fixup_uniformILi128ELi2ELi1EEvPfPK15HIP_vector_typeIfLj2EEiiiiiiS1_IjLj3EES5_S5_,comdat
.Lfunc_end20:
	.size	_ZL33flash_attn_stream_k_fixup_uniformILi128ELi2ELi1EEvPfPK15HIP_vector_typeIfLj2EEiiiiiiS1_IjLj3EES5_S5_, .Lfunc_end20-_ZL33flash_attn_stream_k_fixup_uniformILi128ELi2ELi1EEvPfPK15HIP_vector_typeIfLj2EEiiiiiiS1_IjLj3EES5_S5_
                                        ; -- End function
	.section	.AMDGPU.csdata,"",@progbits
; Kernel info:
; codeLenInByte = 976
; NumSgprs: 22
; NumVgprs: 15
; ScratchSize: 0
; MemoryBound: 0
; FloatMode: 240
; IeeeMode: 1
; LDSByteSize: 0 bytes/workgroup (compile time only)
; SGPRBlocks: 2
; VGPRBlocks: 1
; NumSGPRsForWavesPerEU: 22
; NumVGPRsForWavesPerEU: 15
; Occupancy: 16
; WaveLimiterHint : 0
; COMPUTE_PGM_RSRC2:SCRATCH_EN: 0
; COMPUTE_PGM_RSRC2:USER_SGPR: 13
; COMPUTE_PGM_RSRC2:TRAP_HANDLER: 0
; COMPUTE_PGM_RSRC2:TGID_X_EN: 1
; COMPUTE_PGM_RSRC2:TGID_Y_EN: 1
; COMPUTE_PGM_RSRC2:TGID_Z_EN: 1
; COMPUTE_PGM_RSRC2:TIDIG_COMP_CNT: 0
	.section	.text._ZL33flash_attn_stream_k_fixup_generalILi128ELi2ELi1EEvPfPK15HIP_vector_typeIfLj2EEiiiiS1_IjLj3EES5_S5_S5_,"axG",@progbits,_ZL33flash_attn_stream_k_fixup_generalILi128ELi2ELi1EEvPfPK15HIP_vector_typeIfLj2EEiiiiS1_IjLj3EES5_S5_S5_,comdat
	.globl	_ZL33flash_attn_stream_k_fixup_generalILi128ELi2ELi1EEvPfPK15HIP_vector_typeIfLj2EEiiiiS1_IjLj3EES5_S5_S5_ ; -- Begin function _ZL33flash_attn_stream_k_fixup_generalILi128ELi2ELi1EEvPfPK15HIP_vector_typeIfLj2EEiiiiS1_IjLj3EES5_S5_S5_
	.p2align	8
	.type	_ZL33flash_attn_stream_k_fixup_generalILi128ELi2ELi1EEvPfPK15HIP_vector_typeIfLj2EEiiiiS1_IjLj3EES5_S5_S5_,@function
_ZL33flash_attn_stream_k_fixup_generalILi128ELi2ELi1EEvPfPK15HIP_vector_typeIfLj2EEiiiiS1_IjLj3EES5_S5_S5_: ; @_ZL33flash_attn_stream_k_fixup_generalILi128ELi2ELi1EEvPfPK15HIP_vector_typeIfLj2EEiiiiS1_IjLj3EES5_S5_S5_
; %bb.0:
	s_clause 0x1
	s_load_b128 s[4:7], s[0:1], 0x10
	s_load_b32 s20, s[0:1], 0x50
	s_mov_b32 s2, 0
	s_waitcnt lgkmcnt(0)
	s_mul_hi_i32 s3, s7, s13
	s_mul_i32 s12, s7, s13
	s_cmp_lg_u64 s[2:3], 0
	s_cbranch_scc0 .LBB21_21
; %bb.1:
	v_cvt_f32_ubyte0_e32 v1, 0
	v_cvt_f32_u32_e32 v2, s20
	s_sub_u32 s10, 0, s20
	s_subb_u32 s11, 0, 0
	s_delay_alu instid0(VALU_DEP_1) | instskip(NEXT) | instid1(VALU_DEP_1)
	v_fmamk_f32 v1, v1, 0x4f800000, v2
	v_rcp_f32_e32 v1, v1
	s_waitcnt_depctr 0xfff
	v_mul_f32_e32 v1, 0x5f7ffffc, v1
	s_delay_alu instid0(VALU_DEP_1) | instskip(NEXT) | instid1(VALU_DEP_1)
	v_mul_f32_e32 v2, 0x2f800000, v1
	v_trunc_f32_e32 v2, v2
	s_delay_alu instid0(VALU_DEP_1) | instskip(SKIP_1) | instid1(VALU_DEP_2)
	v_fmamk_f32 v1, v2, 0xcf800000, v1
	v_cvt_u32_f32_e32 v2, v2
	v_cvt_u32_f32_e32 v1, v1
	s_delay_alu instid0(VALU_DEP_2) | instskip(NEXT) | instid1(VALU_DEP_2)
	v_readfirstlane_b32 s8, v2
	v_readfirstlane_b32 s9, v1
	s_delay_alu instid0(VALU_DEP_2) | instskip(NEXT) | instid1(VALU_DEP_1)
	s_mul_i32 s16, s10, s8
	s_mul_hi_u32 s18, s10, s9
	s_mul_i32 s17, s11, s9
	s_add_i32 s16, s18, s16
	s_mul_i32 s19, s10, s9
	s_add_i32 s16, s16, s17
	s_mul_hi_u32 s18, s9, s19
	s_mul_hi_u32 s21, s8, s19
	s_mul_i32 s17, s8, s19
	s_mul_hi_u32 s19, s9, s16
	s_mul_i32 s9, s9, s16
	s_mul_hi_u32 s22, s8, s16
	s_add_u32 s9, s18, s9
	s_addc_u32 s18, 0, s19
	s_add_u32 s9, s9, s17
	s_mul_i32 s16, s8, s16
	s_addc_u32 s9, s18, s21
	s_addc_u32 s17, s22, 0
	s_add_u32 s9, s9, s16
	s_addc_u32 s16, 0, s17
	v_add_co_u32 v1, s9, v1, s9
	s_delay_alu instid0(VALU_DEP_1) | instskip(SKIP_1) | instid1(VALU_DEP_1)
	s_cmp_lg_u32 s9, 0
	s_addc_u32 s8, s8, s16
	v_readfirstlane_b32 s9, v1
	s_mul_i32 s16, s10, s8
	s_delay_alu instid0(VALU_DEP_1)
	s_mul_hi_u32 s17, s10, s9
	s_mul_i32 s11, s11, s9
	s_add_i32 s16, s17, s16
	s_mul_i32 s10, s10, s9
	s_add_i32 s16, s16, s11
	s_mul_hi_u32 s17, s8, s10
	s_mul_i32 s18, s8, s10
	s_mul_hi_u32 s10, s9, s10
	s_mul_hi_u32 s19, s9, s16
	s_mul_i32 s9, s9, s16
	s_mul_hi_u32 s11, s8, s16
	s_add_u32 s9, s10, s9
	s_addc_u32 s10, 0, s19
	s_add_u32 s9, s9, s18
	s_mul_i32 s16, s8, s16
	s_addc_u32 s9, s10, s17
	s_addc_u32 s10, s11, 0
	s_add_u32 s9, s9, s16
	s_addc_u32 s10, 0, s10
	v_add_co_u32 v1, s9, v1, s9
	s_delay_alu instid0(VALU_DEP_1) | instskip(SKIP_2) | instid1(SALU_CYCLE_1)
	s_cmp_lg_u32 s9, 0
	s_addc_u32 s16, s8, s10
	s_ashr_i32 s8, s3, 31
	s_add_u32 s10, s12, s8
	s_addc_u32 s11, s3, s8
	v_readfirstlane_b32 s3, v1
	s_mov_b32 s9, s8
	s_delay_alu instid0(SALU_CYCLE_1) | instskip(NEXT) | instid1(SALU_CYCLE_1)
	s_xor_b64 s[10:11], s[10:11], s[8:9]
	s_mul_i32 s18, s10, s16
	s_delay_alu instid0(VALU_DEP_1)
	s_mul_hi_u32 s19, s10, s3
	s_mul_hi_u32 s17, s10, s16
	;; [unrolled: 1-line block ×3, first 2 shown]
	s_mul_i32 s3, s11, s3
	s_add_u32 s18, s19, s18
	s_addc_u32 s17, 0, s17
	s_mul_hi_u32 s21, s11, s16
	s_add_u32 s3, s18, s3
	s_mul_i32 s16, s11, s16
	s_addc_u32 s3, s17, s22
	s_addc_u32 s17, s21, 0
	s_add_u32 s3, s3, s16
	s_addc_u32 s16, 0, s17
	s_mul_i32 s18, s20, s3
	s_add_u32 s17, s3, 1
	v_sub_co_u32 v1, s10, s10, s18
	s_mul_hi_u32 s18, s20, s3
	s_addc_u32 s19, s16, 0
	s_mul_i32 s21, s20, s16
	s_delay_alu instid0(VALU_DEP_1)
	v_sub_co_u32 v2, s22, v1, s20
	s_add_u32 s23, s3, 2
	s_addc_u32 s24, s16, 0
	s_add_i32 s18, s18, s21
	s_cmp_lg_u32 s10, 0
	v_readfirstlane_b32 s10, v2
	s_subb_u32 s11, s11, s18
	s_cmp_lg_u32 s22, 0
	s_subb_u32 s18, s11, 0
	s_delay_alu instid0(VALU_DEP_1) | instskip(SKIP_4) | instid1(SALU_CYCLE_1)
	s_cmp_ge_u32 s10, s20
	s_cselect_b32 s10, -1, 0
	s_cmp_eq_u32 s18, 0
	v_readfirstlane_b32 s18, v1
	s_cselect_b32 s10, s10, -1
	s_cmp_lg_u32 s10, 0
	s_cselect_b32 s10, s23, s17
	s_cselect_b32 s17, s24, s19
	s_cmp_ge_u32 s18, s20
	s_cselect_b32 s18, -1, 0
	s_cmp_eq_u32 s11, 0
	s_cselect_b32 s11, s18, -1
	s_delay_alu instid0(SALU_CYCLE_1) | instskip(SKIP_2) | instid1(SALU_CYCLE_1)
	s_cmp_lg_u32 s11, 0
	s_cselect_b32 s11, s17, s16
	s_cselect_b32 s10, s10, s3
	s_xor_b64 s[10:11], s[10:11], s[8:9]
	s_delay_alu instid0(SALU_CYCLE_1)
	s_sub_u32 s16, s10, s8
	s_load_b128 s[8:11], s[0:1], 0x44
	s_and_not1_b32 vcc_lo, exec_lo, s2
	s_cbranch_vccnz .LBB21_3
.LBB21_2:
	v_cvt_f32_u32_e32 v1, s20
	s_sub_i32 s3, 0, s20
	s_delay_alu instid0(VALU_DEP_1) | instskip(SKIP_2) | instid1(VALU_DEP_1)
	v_rcp_iflag_f32_e32 v1, v1
	s_waitcnt_depctr 0xfff
	v_mul_f32_e32 v1, 0x4f7ffffe, v1
	v_cvt_u32_f32_e32 v1, v1
	s_delay_alu instid0(VALU_DEP_1) | instskip(NEXT) | instid1(VALU_DEP_1)
	v_readfirstlane_b32 s2, v1
	s_mul_i32 s3, s3, s2
	s_delay_alu instid0(SALU_CYCLE_1) | instskip(NEXT) | instid1(SALU_CYCLE_1)
	s_mul_hi_u32 s3, s2, s3
	s_add_i32 s2, s2, s3
	s_delay_alu instid0(SALU_CYCLE_1) | instskip(NEXT) | instid1(SALU_CYCLE_1)
	s_mul_hi_u32 s2, s12, s2
	s_mul_i32 s3, s2, s20
	s_waitcnt lgkmcnt(0)
	s_add_i32 s11, s2, 1
	s_sub_i32 s3, s12, s3
	s_delay_alu instid0(SALU_CYCLE_1)
	s_sub_i32 s12, s3, s20
	s_cmp_ge_u32 s3, s20
	s_cselect_b32 s2, s11, s2
	s_cselect_b32 s3, s12, s3
	s_add_i32 s11, s2, 1
	s_cmp_ge_u32 s3, s20
	s_cselect_b32 s16, s11, s2
.LBB21_3:
	s_waitcnt lgkmcnt(0)
	s_add_i32 s11, s13, 1
	s_mov_b32 s2, 0
	s_mul_hi_i32 s3, s7, s11
	s_mul_i32 s11, s7, s11
	s_cmp_lg_u64 s[2:3], 0
	s_cbranch_scc0 .LBB21_22
; %bb.4:
	v_cvt_f32_ubyte0_e32 v1, 0
	v_cvt_f32_u32_e32 v2, s20
	s_sub_u32 s18, 0, s20
	s_subb_u32 s19, 0, 0
	s_delay_alu instid0(VALU_DEP_1) | instskip(NEXT) | instid1(VALU_DEP_1)
	v_fmamk_f32 v1, v1, 0x4f800000, v2
	v_rcp_f32_e32 v1, v1
	s_waitcnt_depctr 0xfff
	v_mul_f32_e32 v1, 0x5f7ffffc, v1
	s_delay_alu instid0(VALU_DEP_1) | instskip(NEXT) | instid1(VALU_DEP_1)
	v_mul_f32_e32 v2, 0x2f800000, v1
	v_trunc_f32_e32 v2, v2
	s_delay_alu instid0(VALU_DEP_1) | instskip(SKIP_1) | instid1(VALU_DEP_2)
	v_fmamk_f32 v1, v2, 0xcf800000, v1
	v_cvt_u32_f32_e32 v2, v2
	v_cvt_u32_f32_e32 v1, v1
	s_delay_alu instid0(VALU_DEP_2) | instskip(NEXT) | instid1(VALU_DEP_2)
	v_readfirstlane_b32 s12, v2
	v_readfirstlane_b32 s17, v1
	s_delay_alu instid0(VALU_DEP_2) | instskip(NEXT) | instid1(VALU_DEP_1)
	s_mul_i32 s21, s18, s12
	s_mul_hi_u32 s23, s18, s17
	s_mul_i32 s22, s19, s17
	s_add_i32 s21, s23, s21
	s_mul_i32 s24, s18, s17
	s_add_i32 s21, s21, s22
	s_mul_hi_u32 s23, s17, s24
	s_mul_hi_u32 s25, s12, s24
	s_mul_i32 s22, s12, s24
	s_mul_hi_u32 s24, s17, s21
	s_mul_i32 s17, s17, s21
	s_mul_hi_u32 s26, s12, s21
	s_add_u32 s17, s23, s17
	s_addc_u32 s23, 0, s24
	s_add_u32 s17, s17, s22
	s_mul_i32 s21, s12, s21
	s_addc_u32 s17, s23, s25
	s_addc_u32 s22, s26, 0
	s_add_u32 s17, s17, s21
	s_addc_u32 s21, 0, s22
	v_add_co_u32 v1, s17, v1, s17
	s_delay_alu instid0(VALU_DEP_1) | instskip(SKIP_1) | instid1(VALU_DEP_1)
	s_cmp_lg_u32 s17, 0
	s_addc_u32 s12, s12, s21
	v_readfirstlane_b32 s17, v1
	s_mul_i32 s21, s18, s12
	s_delay_alu instid0(VALU_DEP_1)
	s_mul_hi_u32 s22, s18, s17
	s_mul_i32 s19, s19, s17
	s_add_i32 s21, s22, s21
	s_mul_i32 s18, s18, s17
	s_add_i32 s21, s21, s19
	s_mul_hi_u32 s22, s12, s18
	s_mul_i32 s23, s12, s18
	s_mul_hi_u32 s18, s17, s18
	s_mul_hi_u32 s24, s17, s21
	s_mul_i32 s17, s17, s21
	s_mul_hi_u32 s19, s12, s21
	s_add_u32 s17, s18, s17
	s_addc_u32 s18, 0, s24
	s_add_u32 s17, s17, s23
	s_mul_i32 s21, s12, s21
	s_addc_u32 s17, s18, s22
	s_addc_u32 s18, s19, 0
	s_add_u32 s17, s17, s21
	s_addc_u32 s18, 0, s18
	v_add_co_u32 v1, s17, v1, s17
	s_delay_alu instid0(VALU_DEP_1) | instskip(SKIP_2) | instid1(SALU_CYCLE_1)
	s_cmp_lg_u32 s17, 0
	s_addc_u32 s12, s12, s18
	s_ashr_i32 s18, s3, 31
	s_add_u32 s22, s11, s18
	s_addc_u32 s23, s3, s18
	v_readfirstlane_b32 s3, v1
	s_mov_b32 s19, s18
	s_delay_alu instid0(SALU_CYCLE_1) | instskip(NEXT) | instid1(SALU_CYCLE_1)
	s_xor_b64 s[22:23], s[22:23], s[18:19]
	s_mul_i32 s21, s22, s12
	s_delay_alu instid0(VALU_DEP_1)
	s_mul_hi_u32 s24, s22, s3
	s_mul_hi_u32 s17, s22, s12
	;; [unrolled: 1-line block ×3, first 2 shown]
	s_mul_i32 s3, s23, s3
	s_add_u32 s21, s24, s21
	s_addc_u32 s17, 0, s17
	s_mul_hi_u32 s25, s23, s12
	s_add_u32 s3, s21, s3
	s_mul_i32 s12, s23, s12
	s_addc_u32 s3, s17, s26
	s_addc_u32 s17, s25, 0
	s_add_u32 s3, s3, s12
	s_addc_u32 s12, 0, s17
	s_mul_i32 s21, s20, s3
	s_add_u32 s17, s3, 1
	v_sub_co_u32 v1, s21, s22, s21
	s_mul_hi_u32 s22, s20, s3
	s_addc_u32 s24, s12, 0
	s_mul_i32 s25, s20, s12
	s_delay_alu instid0(VALU_DEP_1)
	v_sub_co_u32 v2, s26, v1, s20
	s_add_u32 s27, s3, 2
	s_addc_u32 s28, s12, 0
	s_add_i32 s22, s22, s25
	s_cmp_lg_u32 s21, 0
	v_readfirstlane_b32 s21, v2
	s_subb_u32 s22, s23, s22
	s_cmp_lg_u32 s26, 0
	s_subb_u32 s23, s22, 0
	s_delay_alu instid0(VALU_DEP_1) | instskip(SKIP_4) | instid1(SALU_CYCLE_1)
	s_cmp_ge_u32 s21, s20
	s_cselect_b32 s21, -1, 0
	s_cmp_eq_u32 s23, 0
	v_readfirstlane_b32 s23, v1
	s_cselect_b32 s21, s21, -1
	s_cmp_lg_u32 s21, 0
	s_cselect_b32 s17, s27, s17
	s_cselect_b32 s21, s28, s24
	s_cmp_ge_u32 s23, s20
	s_cselect_b32 s23, -1, 0
	s_cmp_eq_u32 s22, 0
	s_cselect_b32 s22, s23, -1
	s_delay_alu instid0(SALU_CYCLE_1) | instskip(SKIP_2) | instid1(SALU_CYCLE_1)
	s_cmp_lg_u32 s22, 0
	s_cselect_b32 s23, s21, s12
	s_cselect_b32 s22, s17, s3
	s_xor_b64 s[22:23], s[22:23], s[18:19]
	s_delay_alu instid0(SALU_CYCLE_1)
	s_sub_u32 s18, s22, s18
	s_and_not1_b32 vcc_lo, exec_lo, s2
	s_cbranch_vccnz .LBB21_6
.LBB21_5:
	v_cvt_f32_u32_e32 v1, s20
	s_sub_i32 s3, 0, s20
	s_delay_alu instid0(VALU_DEP_1) | instskip(SKIP_2) | instid1(VALU_DEP_1)
	v_rcp_iflag_f32_e32 v1, v1
	s_waitcnt_depctr 0xfff
	v_mul_f32_e32 v1, 0x4f7ffffe, v1
	v_cvt_u32_f32_e32 v1, v1
	s_delay_alu instid0(VALU_DEP_1) | instskip(NEXT) | instid1(VALU_DEP_1)
	v_readfirstlane_b32 s2, v1
	s_mul_i32 s3, s3, s2
	s_delay_alu instid0(SALU_CYCLE_1) | instskip(NEXT) | instid1(SALU_CYCLE_1)
	s_mul_hi_u32 s3, s2, s3
	s_add_i32 s2, s2, s3
	s_delay_alu instid0(SALU_CYCLE_1) | instskip(NEXT) | instid1(SALU_CYCLE_1)
	s_mul_hi_u32 s2, s11, s2
	s_mul_i32 s3, s2, s20
	s_delay_alu instid0(SALU_CYCLE_1)
	s_sub_i32 s3, s11, s3
	s_add_i32 s11, s2, 1
	s_sub_i32 s12, s3, s20
	s_cmp_ge_u32 s3, s20
	s_cselect_b32 s2, s11, s2
	s_cselect_b32 s3, s12, s3
	s_add_i32 s11, s2, 1
	s_cmp_ge_u32 s3, s20
	s_cselect_b32 s18, s11, s2
.LBB21_6:
	s_delay_alu instid0(SALU_CYCLE_1) | instskip(SKIP_3) | instid1(SALU_CYCLE_1)
	s_cmp_eq_u32 s16, s18
	s_mul_hi_u32 s2, s16, s8
	s_cselect_b32 s3, -1, 0
	s_add_i32 s2, s2, s16
	s_lshr_b32 s11, s2, s9
	s_delay_alu instid0(SALU_CYCLE_1) | instskip(NEXT) | instid1(SALU_CYCLE_1)
	s_mul_i32 s2, s11, s10
	s_cmp_eq_u32 s2, s16
	s_mul_hi_u32 s2, s18, s8
	s_cselect_b32 s12, -1, 0
	s_add_i32 s2, s2, s18
	s_delay_alu instid0(SALU_CYCLE_1) | instskip(NEXT) | instid1(SALU_CYCLE_1)
	s_lshr_b32 s2, s2, s9
	s_cmp_eq_u32 s11, s2
	s_mul_i32 s2, s2, s10
	s_cselect_b32 s17, -1, 0
	s_cmp_lg_u32 s2, s18
	s_cselect_b32 s2, -1, 0
	s_or_b32 s3, s3, s12
	s_and_b32 s2, s17, s2
	s_delay_alu instid0(SALU_CYCLE_1) | instskip(NEXT) | instid1(SALU_CYCLE_1)
	s_or_b32 s2, s3, s2
	s_and_b32 vcc_lo, exec_lo, s2
	s_cbranch_vccnz .LBB21_24
; %bb.7:
	s_load_b256 s[24:31], s[0:1], 0x20
	s_waitcnt lgkmcnt(0)
	s_mul_hi_u32 s2, s16, s24
	s_delay_alu instid0(SALU_CYCLE_1) | instskip(NEXT) | instid1(SALU_CYCLE_1)
	s_add_i32 s2, s2, s16
	s_lshr_b32 s18, s2, s25
	s_load_b32 s2, s[0:1], 0x40
	s_mul_i32 s3, s18, s26
	s_delay_alu instid0(SALU_CYCLE_1) | instskip(NEXT) | instid1(SALU_CYCLE_1)
	s_sub_i32 s3, s16, s3
	s_mul_hi_u32 s12, s3, s27
	s_delay_alu instid0(SALU_CYCLE_1) | instskip(NEXT) | instid1(SALU_CYCLE_1)
	s_add_i32 s12, s3, s12
	s_lshr_b32 s21, s12, s28
	s_delay_alu instid0(SALU_CYCLE_1) | instskip(NEXT) | instid1(SALU_CYCLE_1)
	s_mul_i32 s12, s21, s29
	s_sub_i32 s3, s3, s12
	s_delay_alu instid0(SALU_CYCLE_1) | instskip(NEXT) | instid1(SALU_CYCLE_1)
	s_mul_hi_u32 s12, s3, s30
	s_add_i32 s12, s3, s12
	s_delay_alu instid0(SALU_CYCLE_1) | instskip(SKIP_3) | instid1(SALU_CYCLE_1)
	s_lshr_b32 s22, s12, s31
	s_mov_b32 s12, 0
	s_waitcnt lgkmcnt(0)
	s_mul_i32 s2, s22, s2
	s_sub_i32 s2, s3, s2
	s_delay_alu instid0(SALU_CYCLE_1) | instskip(NEXT) | instid1(SALU_CYCLE_1)
	s_mul_hi_u32 s3, s2, s8
	s_add_i32 s2, s2, s3
	s_delay_alu instid0(SALU_CYCLE_1) | instskip(NEXT) | instid1(SALU_CYCLE_1)
	s_lshr_b32 s23, s2, s9
	s_lshl_b32 s2, s23, 1
	s_delay_alu instid0(SALU_CYCLE_1) | instskip(NEXT) | instid1(SALU_CYCLE_1)
	s_add_i32 s2, s2, s14
	s_cmp_lt_i32 s2, s4
	s_cselect_b32 s2, -1, 0
	s_add_i32 s3, s22, s15
	s_delay_alu instid0(SALU_CYCLE_1) | instskip(SKIP_1) | instid1(SALU_CYCLE_1)
	s_cmp_lt_i32 s3, s6
	s_cselect_b32 s3, -1, 0
	s_and_b32 s2, s2, s3
	s_delay_alu instid0(SALU_CYCLE_1)
	s_and_not1_b32 vcc_lo, exec_lo, s2
	s_cbranch_vccnz .LBB21_24
; %bb.8:
	s_load_b128 s[0:3], s[0:1], 0x0
	s_lshl_b32 s24, s20, 3
	s_mov_b32 s25, s12
	s_add_i32 s17, s14, s15
	s_lshl_b64 s[24:25], s[24:25], 2
	s_mul_i32 s4, s18, s4
	s_mul_i32 s21, s21, s6
	v_cvt_f32_ubyte0_e32 v4, 0
	v_cvt_f32_u32_e32 v5, s20
	s_waitcnt lgkmcnt(0)
	s_add_u32 s18, s2, s24
	s_addc_u32 s19, s3, s25
	s_add_i32 s4, s4, s14
	s_delay_alu instid0(SALU_CYCLE_1) | instskip(SKIP_4) | instid1(SALU_CYCLE_1)
	s_mul_i32 s4, s4, s5
	s_mul_i32 s5, s5, s23
	s_add_i32 s4, s4, s15
	s_lshl_b32 s5, s5, 8
	s_add_i32 s4, s4, s21
	s_add_i32 s4, s4, s22
	s_delay_alu instid0(SALU_CYCLE_1) | instskip(NEXT) | instid1(SALU_CYCLE_1)
	s_lshl_b32 s4, s4, 7
	s_add_i32 s5, s5, s4
	s_delay_alu instid0(SALU_CYCLE_1) | instskip(SKIP_1) | instid1(VALU_DEP_2)
	v_or_b32_e32 v1, s5, v0
	v_lshl_or_b32 v0, s17, 7, v0
	v_ashrrev_i32_e32 v2, 31, v1
	s_delay_alu instid0(VALU_DEP_1) | instskip(NEXT) | instid1(VALU_DEP_1)
	v_lshlrev_b64 v[1:2], 2, v[1:2]
	v_add_co_u32 v1, vcc_lo, s0, v1
	s_delay_alu instid0(VALU_DEP_2) | instskip(SKIP_1) | instid1(SALU_CYCLE_1)
	v_add_co_ci_u32_e32 v2, vcc_lo, s1, v2, vcc_lo
	s_lshl_b32 s0, s13, 1
	s_add_i32 s0, s0, s17
	global_load_b32 v3, v[1:2], off
	s_ashr_i32 s1, s0, 31
	s_delay_alu instid0(SALU_CYCLE_1) | instskip(NEXT) | instid1(SALU_CYCLE_1)
	s_lshl_b64 s[0:1], s[0:1], 3
	s_add_u32 s0, s2, s0
	s_addc_u32 s1, s3, s1
	s_add_i32 s14, s13, -1
	s_load_b64 s[0:1], s[0:1], 0x0
	v_fmac_f32_e32 v5, 0x4f800000, v4
	s_sub_i32 s6, 0, s20
	s_waitcnt lgkmcnt(0)
	v_mov_b32_e32 v8, s0
	s_delay_alu instid0(VALU_DEP_2) | instskip(SKIP_2) | instid1(VALU_DEP_2)
	v_rcp_f32_e32 v4, v5
	v_cvt_f32_u32_e32 v5, s20
	v_mov_b32_e32 v7, s1
	v_rcp_iflag_f32_e32 v5, v5
	s_waitcnt_depctr 0xfff
	v_mul_f32_e32 v4, 0x5f7ffffc, v4
	s_delay_alu instid0(VALU_DEP_1) | instskip(SKIP_1) | instid1(VALU_DEP_2)
	v_mul_f32_e32 v6, 0x2f800000, v4
	v_mul_f32_e32 v9, 0x4f7ffffe, v5
	v_trunc_f32_e32 v6, v6
	s_delay_alu instid0(VALU_DEP_1) | instskip(SKIP_1) | instid1(VALU_DEP_4)
	v_fmac_f32_e32 v4, 0xcf800000, v6
	v_cvt_u32_f32_e32 v5, v6
	v_cvt_u32_f32_e32 v6, v9
	s_delay_alu instid0(VALU_DEP_3)
	v_cvt_u32_f32_e32 v4, v4
.LBB21_9:                               ; =>This Inner Loop Header: Depth=1
	s_mul_hi_i32 s13, s14, s7
	s_mul_i32 s4, s14, s7
	s_cmp_lg_u64 s[12:13], 0
	s_mov_b32 s5, -1
                                        ; implicit-def: $sgpr0_sgpr1
	s_cbranch_scc0 .LBB21_11
; %bb.10:                               ;   in Loop: Header=BB21_9 Depth=1
	v_readfirstlane_b32 s0, v4
	v_readfirstlane_b32 s1, v5
	s_sub_u32 s5, 0, s20
	s_subb_u32 s15, 0, 0
	s_delay_alu instid0(VALU_DEP_2) | instskip(NEXT) | instid1(VALU_DEP_1)
	s_mul_hi_u32 s21, s5, s0
	s_mul_i32 s22, s5, s1
	s_mul_i32 s23, s15, s0
	s_add_i32 s21, s21, s22
	s_mul_i32 s22, s5, s0
	s_add_i32 s21, s21, s23
	s_mul_hi_u32 s23, s0, s22
	s_mul_i32 s24, s0, s21
	s_mul_hi_u32 s0, s0, s21
	s_add_u32 s23, s23, s24
	s_mul_i32 s25, s1, s22
	s_addc_u32 s0, 0, s0
	s_mul_hi_u32 s22, s1, s22
	s_mul_hi_u32 s24, s1, s21
	s_add_u32 s23, s23, s25
	s_addc_u32 s0, s0, s22
	s_mul_i32 s21, s1, s21
	s_addc_u32 s22, s24, 0
	s_add_u32 s0, s0, s21
	s_addc_u32 s21, 0, s22
	v_add_co_u32 v9, s0, v4, s0
	s_delay_alu instid0(VALU_DEP_1) | instskip(SKIP_1) | instid1(VALU_DEP_1)
	s_cmp_lg_u32 s0, 0
	s_addc_u32 s1, s1, s21
	v_readfirstlane_b32 s0, v9
	s_mul_i32 s21, s5, s1
	s_delay_alu instid0(VALU_DEP_1)
	s_mul_hi_u32 s22, s5, s0
	s_mul_i32 s15, s15, s0
	s_add_i32 s21, s22, s21
	s_mul_i32 s5, s5, s0
	s_add_i32 s21, s21, s15
	s_mul_hi_u32 s15, s1, s5
	s_mul_i32 s23, s1, s5
	s_mul_i32 s24, s0, s21
	s_mul_hi_u32 s5, s0, s5
	s_mul_hi_u32 s0, s0, s21
	s_add_u32 s5, s5, s24
	s_addc_u32 s0, 0, s0
	s_mul_hi_u32 s22, s1, s21
	s_add_u32 s5, s5, s23
	s_addc_u32 s0, s0, s15
	s_mul_i32 s5, s1, s21
	s_addc_u32 s15, s22, 0
	s_add_u32 s0, s0, s5
	s_addc_u32 s5, 0, s15
	v_add_co_u32 v9, s0, v9, s0
	s_delay_alu instid0(VALU_DEP_1) | instskip(SKIP_2) | instid1(SALU_CYCLE_1)
	s_cmp_lg_u32 s0, 0
	s_addc_u32 s5, s1, s5
	s_ashr_i32 s0, s13, 31
	s_add_u32 s22, s4, s0
	s_addc_u32 s23, s13, s0
	v_readfirstlane_b32 s13, v9
	s_mov_b32 s1, s0
	s_delay_alu instid0(SALU_CYCLE_1) | instskip(NEXT) | instid1(SALU_CYCLE_1)
	s_xor_b64 s[22:23], s[22:23], s[0:1]
	s_mul_i32 s15, s22, s5
	s_delay_alu instid0(VALU_DEP_1)
	s_mul_hi_u32 s21, s22, s13
	s_mul_hi_u32 s24, s22, s5
	s_add_u32 s15, s21, s15
	s_mul_i32 s25, s23, s13
	s_addc_u32 s21, 0, s24
	s_mul_hi_u32 s13, s23, s13
	s_mul_hi_u32 s24, s23, s5
	s_add_u32 s15, s15, s25
	s_addc_u32 s13, s21, s13
	s_mul_i32 s5, s23, s5
	s_addc_u32 s15, s24, 0
	s_add_u32 s5, s13, s5
	s_addc_u32 s13, 0, s15
	s_mul_i32 s21, s20, s5
	s_add_u32 s15, s5, 1
	v_sub_co_u32 v9, s21, s22, s21
	s_addc_u32 s22, s13, 0
	s_mul_i32 s25, s20, s13
	s_mul_hi_u32 s27, s20, s5
	s_delay_alu instid0(VALU_DEP_1)
	v_sub_co_u32 v10, s26, v9, s20
	s_add_u32 s24, s5, 2
	s_addc_u32 s28, s13, 0
	s_add_i32 s27, s27, s25
	s_cmp_lg_u32 s21, 0
	v_readfirstlane_b32 s21, v10
	s_subb_u32 s23, s23, s27
	s_cmp_lg_u32 s26, 0
	s_subb_u32 s25, s23, 0
	s_delay_alu instid0(VALU_DEP_1) | instskip(SKIP_4) | instid1(SALU_CYCLE_1)
	s_cmp_ge_u32 s21, s20
	s_cselect_b32 s21, -1, 0
	s_cmp_eq_u32 s25, 0
	v_readfirstlane_b32 s25, v9
	s_cselect_b32 s21, s21, -1
	s_cmp_lg_u32 s21, 0
	s_cselect_b32 s15, s24, s15
	s_cselect_b32 s21, s28, s22
	s_cmp_ge_u32 s25, s20
	s_cselect_b32 s22, -1, 0
	s_cmp_eq_u32 s23, 0
	s_cselect_b32 s22, s22, -1
	s_delay_alu instid0(SALU_CYCLE_1) | instskip(SKIP_4) | instid1(SALU_CYCLE_1)
	s_cmp_lg_u32 s22, 0
	s_cselect_b32 s23, s21, s13
	s_cselect_b32 s22, s15, s5
	s_mov_b32 s5, 0
	s_xor_b64 s[22:23], s[22:23], s[0:1]
	s_sub_u32 s0, s22, s0
.LBB21_11:                              ;   in Loop: Header=BB21_9 Depth=1
	s_and_not1_b32 vcc_lo, exec_lo, s5
	s_cbranch_vccnz .LBB21_13
; %bb.12:                               ;   in Loop: Header=BB21_9 Depth=1
	v_readfirstlane_b32 s0, v6
	s_delay_alu instid0(VALU_DEP_1) | instskip(NEXT) | instid1(SALU_CYCLE_1)
	s_mul_i32 s1, s6, s0
	s_mul_hi_u32 s1, s0, s1
	s_delay_alu instid0(SALU_CYCLE_1) | instskip(NEXT) | instid1(SALU_CYCLE_1)
	s_add_i32 s0, s0, s1
	s_mul_hi_u32 s0, s4, s0
	s_delay_alu instid0(SALU_CYCLE_1) | instskip(NEXT) | instid1(SALU_CYCLE_1)
	s_mul_i32 s1, s0, s20
	s_sub_i32 s1, s4, s1
	s_add_i32 s4, s0, 1
	s_sub_i32 s5, s1, s20
	s_cmp_ge_u32 s1, s20
	s_cselect_b32 s0, s4, s0
	s_cselect_b32 s1, s5, s1
	s_add_i32 s4, s0, 1
	s_cmp_ge_u32 s1, s20
	s_cselect_b32 s0, s4, s0
.LBB21_13:                              ;   in Loop: Header=BB21_9 Depth=1
	s_delay_alu instid0(SALU_CYCLE_1)
	s_cmp_lg_u32 s16, s0
	s_cbranch_scc0 .LBB21_17
; %bb.14:                               ;   in Loop: Header=BB21_9 Depth=1
	s_add_i32 s1, s14, s20
	s_mov_b32 s5, s12
	s_lshl_b32 s1, s1, 1
	s_mov_b32 s15, s16
	s_add_i32 s4, s1, s17
	s_mul_hi_u32 s1, s0, s8
	s_lshl_b64 s[4:5], s[4:5], 3
	s_delay_alu instid0(SALU_CYCLE_1) | instskip(SKIP_2) | instid1(SALU_CYCLE_1)
	s_add_u32 s4, s2, s4
	s_addc_u32 s5, s3, s5
	s_add_i32 s1, s1, s0
	s_lshr_b32 s1, s1, s9
	s_delay_alu instid0(SALU_CYCLE_1) | instskip(NEXT) | instid1(SALU_CYCLE_1)
	s_mul_i32 s13, s1, s10
	s_cmp_eq_u32 s13, s0
	s_cselect_b32 s13, -1, 0
	s_cmp_lt_u32 s1, s11
	s_cselect_b32 s1, -1, 0
	s_delay_alu instid0(SALU_CYCLE_1)
	s_or_b32 s1, s1, s13
	s_mov_b32 s13, -1
	s_and_b32 vcc_lo, exec_lo, s1
	s_mov_b32 s1, s14
	s_cbranch_vccnz .LBB21_16
; %bb.15:                               ;   in Loop: Header=BB21_9 Depth=1
	s_add_i32 s1, s14, -1
	s_mov_b32 s13, 0
	s_mov_b32 s15, s0
.LBB21_16:                              ;   in Loop: Header=BB21_9 Depth=1
	v_lshl_add_u32 v9, s14, 8, v0
	s_load_b64 s[4:5], s[4:5], 0x0
	s_delay_alu instid0(VALU_DEP_1) | instskip(NEXT) | instid1(VALU_DEP_1)
	v_ashrrev_i32_e32 v10, 31, v9
	v_lshlrev_b64 v[9:10], 2, v[9:10]
	s_delay_alu instid0(VALU_DEP_1) | instskip(NEXT) | instid1(VALU_DEP_2)
	v_add_co_u32 v9, vcc_lo, s18, v9
	v_add_co_ci_u32_e32 v10, vcc_lo, s19, v10, vcc_lo
	s_waitcnt lgkmcnt(0)
	v_max_f32_e64 v11, s4, s4
	global_load_b32 v10, v[9:10], off
	v_max_f32_e32 v9, v8, v8
	s_delay_alu instid0(VALU_DEP_1) | instskip(NEXT) | instid1(VALU_DEP_1)
	v_max_f32_e32 v9, v9, v11
	v_sub_f32_e32 v12, v8, v9
	s_delay_alu instid0(VALU_DEP_1) | instskip(NEXT) | instid1(VALU_DEP_1)
	v_dual_mul_f32 v14, 0x3fb8aa3b, v12 :: v_dual_sub_f32 v11, s4, v9
	v_rndne_f32_e32 v18, v14
	s_delay_alu instid0(VALU_DEP_2) | instskip(SKIP_2) | instid1(VALU_DEP_4)
	v_mul_f32_e32 v13, 0x3fb8aa3b, v11
	v_fma_f32 v17, 0x3fb8aa3b, v12, -v14
	v_cmp_ngt_f32_e32 vcc_lo, 0xc2ce8ed0, v11
	v_sub_f32_e32 v14, v14, v18
	s_delay_alu instid0(VALU_DEP_4) | instskip(SKIP_2) | instid1(VALU_DEP_3)
	v_fma_f32 v15, 0x3fb8aa3b, v11, -v13
	v_rndne_f32_e32 v16, v13
	v_fmac_f32_e32 v17, 0x32a5705f, v12
	v_fmac_f32_e32 v15, 0x32a5705f, v11
	s_delay_alu instid0(VALU_DEP_2) | instskip(NEXT) | instid1(VALU_DEP_1)
	v_dual_sub_f32 v13, v13, v16 :: v_dual_add_f32 v14, v14, v17
	v_add_f32_e32 v13, v13, v15
	s_delay_alu instid0(VALU_DEP_2) | instskip(SKIP_2) | instid1(VALU_DEP_3)
	v_exp_f32_e32 v14, v14
	v_cvt_i32_f32_e32 v15, v16
	v_cvt_i32_f32_e32 v16, v18
	v_exp_f32_e32 v13, v13
	s_waitcnt_depctr 0xfff
	v_ldexp_f32 v14, v14, v16
	v_ldexp_f32 v13, v13, v15
	s_delay_alu instid0(VALU_DEP_1) | instskip(SKIP_1) | instid1(VALU_DEP_4)
	v_cndmask_b32_e32 v13, 0, v13, vcc_lo
	v_cmp_ngt_f32_e32 vcc_lo, 0xc2ce8ed0, v12
	v_cndmask_b32_e32 v14, 0, v14, vcc_lo
	v_cmp_nlt_f32_e32 vcc_lo, 0x42b17218, v11
	s_delay_alu instid0(VALU_DEP_4) | instskip(SKIP_1) | instid1(VALU_DEP_4)
	v_cndmask_b32_e32 v13, 0x7f800000, v13, vcc_lo
	v_cmp_nlt_f32_e32 vcc_lo, 0x42b17218, v12
	v_cndmask_b32_e32 v14, 0x7f800000, v14, vcc_lo
	v_cmp_le_f32_e32 vcc_lo, 0xc1a00000, v11
	s_delay_alu instid0(VALU_DEP_4) | instskip(SKIP_1) | instid1(VALU_DEP_4)
	v_cndmask_b32_e32 v11, 0, v13, vcc_lo
	v_cmp_le_f32_e32 vcc_lo, 0xc1a00000, v12
	v_cndmask_b32_e32 v12, 0, v14, vcc_lo
	s_waitcnt vmcnt(0)
	s_delay_alu instid0(VALU_DEP_3) | instskip(NEXT) | instid1(VALU_DEP_1)
	v_mul_f32_e32 v10, v10, v11
	v_dual_mul_f32 v11, s5, v11 :: v_dual_fmac_f32 v10, v3, v12
	s_delay_alu instid0(VALU_DEP_1)
	v_fmac_f32_e32 v11, v7, v12
	s_cbranch_execz .LBB21_18
	s_branch .LBB21_19
.LBB21_17:                              ;   in Loop: Header=BB21_9 Depth=1
                                        ; implicit-def: $sgpr13
                                        ; implicit-def: $vgpr10
                                        ; implicit-def: $vgpr9
                                        ; implicit-def: $vgpr11
                                        ; implicit-def: $sgpr1
                                        ; implicit-def: $sgpr15
.LBB21_18:                              ;   in Loop: Header=BB21_9 Depth=1
	v_mov_b32_e32 v11, v7
	s_waitcnt vmcnt(0)
	v_dual_mov_b32 v9, v8 :: v_dual_mov_b32 v10, v3
	s_add_i32 s1, s14, -1
	s_mov_b32 s13, 0
	s_mov_b32 s15, s16
.LBB21_19:                              ;   in Loop: Header=BB21_9 Depth=1
	s_and_not1_b32 vcc_lo, exec_lo, s13
	s_cbranch_vccz .LBB21_23
; %bb.20:                               ;   in Loop: Header=BB21_9 Depth=1
	v_dual_mov_b32 v7, v11 :: v_dual_mov_b32 v8, v9
	s_waitcnt vmcnt(0)
	v_mov_b32_e32 v3, v10
	s_mov_b32 s16, s15
	s_mov_b32 s14, s1
	s_branch .LBB21_9
.LBB21_21:
                                        ; implicit-def: $sgpr16_sgpr17
	s_load_b128 s[8:11], s[0:1], 0x44
	s_branch .LBB21_2
.LBB21_22:
                                        ; implicit-def: $sgpr18_sgpr19
	s_branch .LBB21_5
.LBB21_23:
	v_div_scale_f32 v0, null, v11, v11, v10
	s_waitcnt vmcnt(0)
	s_delay_alu instid0(VALU_DEP_1) | instskip(SKIP_2) | instid1(VALU_DEP_1)
	v_rcp_f32_e32 v3, v0
	s_waitcnt_depctr 0xfff
	v_fma_f32 v4, -v0, v3, 1.0
	v_fmac_f32_e32 v3, v4, v3
	v_div_scale_f32 v4, vcc_lo, v10, v11, v10
	s_delay_alu instid0(VALU_DEP_1) | instskip(NEXT) | instid1(VALU_DEP_1)
	v_mul_f32_e32 v5, v4, v3
	v_fma_f32 v6, -v0, v5, v4
	s_delay_alu instid0(VALU_DEP_1) | instskip(NEXT) | instid1(VALU_DEP_1)
	v_fmac_f32_e32 v5, v6, v3
	v_fma_f32 v0, -v0, v5, v4
	s_delay_alu instid0(VALU_DEP_1) | instskip(NEXT) | instid1(VALU_DEP_1)
	v_div_fmas_f32 v0, v0, v3, v5
	v_div_fixup_f32 v0, v0, v11, v10
	global_store_b32 v[1:2], v0, off
.LBB21_24:
	s_nop 0
	s_sendmsg sendmsg(MSG_DEALLOC_VGPRS)
	s_endpgm
	.section	.rodata,"a",@progbits
	.p2align	6, 0x0
	.amdhsa_kernel _ZL33flash_attn_stream_k_fixup_generalILi128ELi2ELi1EEvPfPK15HIP_vector_typeIfLj2EEiiiiS1_IjLj3EES5_S5_S5_
		.amdhsa_group_segment_fixed_size 0
		.amdhsa_private_segment_fixed_size 0
		.amdhsa_kernarg_size 336
		.amdhsa_user_sgpr_count 13
		.amdhsa_user_sgpr_dispatch_ptr 0
		.amdhsa_user_sgpr_queue_ptr 0
		.amdhsa_user_sgpr_kernarg_segment_ptr 1
		.amdhsa_user_sgpr_dispatch_id 0
		.amdhsa_user_sgpr_private_segment_size 0
		.amdhsa_wavefront_size32 1
		.amdhsa_uses_dynamic_stack 0
		.amdhsa_enable_private_segment 0
		.amdhsa_system_sgpr_workgroup_id_x 1
		.amdhsa_system_sgpr_workgroup_id_y 1
		.amdhsa_system_sgpr_workgroup_id_z 1
		.amdhsa_system_sgpr_workgroup_info 0
		.amdhsa_system_vgpr_workitem_id 0
		.amdhsa_next_free_vgpr 19
		.amdhsa_next_free_sgpr 32
		.amdhsa_reserve_vcc 1
		.amdhsa_float_round_mode_32 0
		.amdhsa_float_round_mode_16_64 0
		.amdhsa_float_denorm_mode_32 3
		.amdhsa_float_denorm_mode_16_64 3
		.amdhsa_dx10_clamp 1
		.amdhsa_ieee_mode 1
		.amdhsa_fp16_overflow 0
		.amdhsa_workgroup_processor_mode 1
		.amdhsa_memory_ordered 1
		.amdhsa_forward_progress 0
		.amdhsa_shared_vgpr_count 0
		.amdhsa_exception_fp_ieee_invalid_op 0
		.amdhsa_exception_fp_denorm_src 0
		.amdhsa_exception_fp_ieee_div_zero 0
		.amdhsa_exception_fp_ieee_overflow 0
		.amdhsa_exception_fp_ieee_underflow 0
		.amdhsa_exception_fp_ieee_inexact 0
		.amdhsa_exception_int_div_zero 0
	.end_amdhsa_kernel
	.section	.text._ZL33flash_attn_stream_k_fixup_generalILi128ELi2ELi1EEvPfPK15HIP_vector_typeIfLj2EEiiiiS1_IjLj3EES5_S5_S5_,"axG",@progbits,_ZL33flash_attn_stream_k_fixup_generalILi128ELi2ELi1EEvPfPK15HIP_vector_typeIfLj2EEiiiiS1_IjLj3EES5_S5_S5_,comdat
.Lfunc_end21:
	.size	_ZL33flash_attn_stream_k_fixup_generalILi128ELi2ELi1EEvPfPK15HIP_vector_typeIfLj2EEiiiiS1_IjLj3EES5_S5_S5_, .Lfunc_end21-_ZL33flash_attn_stream_k_fixup_generalILi128ELi2ELi1EEvPfPK15HIP_vector_typeIfLj2EEiiiiS1_IjLj3EES5_S5_S5_
                                        ; -- End function
	.section	.AMDGPU.csdata,"",@progbits
; Kernel info:
; codeLenInByte = 3220
; NumSgprs: 34
; NumVgprs: 19
; ScratchSize: 0
; MemoryBound: 0
; FloatMode: 240
; IeeeMode: 1
; LDSByteSize: 0 bytes/workgroup (compile time only)
; SGPRBlocks: 4
; VGPRBlocks: 2
; NumSGPRsForWavesPerEU: 34
; NumVGPRsForWavesPerEU: 19
; Occupancy: 16
; WaveLimiterHint : 0
; COMPUTE_PGM_RSRC2:SCRATCH_EN: 0
; COMPUTE_PGM_RSRC2:USER_SGPR: 13
; COMPUTE_PGM_RSRC2:TRAP_HANDLER: 0
; COMPUTE_PGM_RSRC2:TGID_X_EN: 1
; COMPUTE_PGM_RSRC2:TGID_Y_EN: 1
; COMPUTE_PGM_RSRC2:TGID_Z_EN: 1
; COMPUTE_PGM_RSRC2:TIDIG_COMP_CNT: 0
	.section	.text._ZL18flash_attn_ext_vecILi128ELi2EL9ggml_type3ELS0_3ELb1EEvPKcS2_S2_S2_S2_PKiPfP15HIP_vector_typeIfLj2EEffffjfiS6_IjLj3EEiiiiiiiiiiiliiliiiiil,"axG",@progbits,_ZL18flash_attn_ext_vecILi128ELi2EL9ggml_type3ELS0_3ELb1EEvPKcS2_S2_S2_S2_PKiPfP15HIP_vector_typeIfLj2EEffffjfiS6_IjLj3EEiiiiiiiiiiiliiliiiiil,comdat
	.globl	_ZL18flash_attn_ext_vecILi128ELi2EL9ggml_type3ELS0_3ELb1EEvPKcS2_S2_S2_S2_PKiPfP15HIP_vector_typeIfLj2EEffffjfiS6_IjLj3EEiiiiiiiiiiiliiliiiiil ; -- Begin function _ZL18flash_attn_ext_vecILi128ELi2EL9ggml_type3ELS0_3ELb1EEvPKcS2_S2_S2_S2_PKiPfP15HIP_vector_typeIfLj2EEffffjfiS6_IjLj3EEiiiiiiiiiiiliiliiiiil
	.p2align	8
	.type	_ZL18flash_attn_ext_vecILi128ELi2EL9ggml_type3ELS0_3ELb1EEvPKcS2_S2_S2_S2_PKiPfP15HIP_vector_typeIfLj2EEffffjfiS6_IjLj3EEiiiiiiiiiiiliiliiiiil,@function
_ZL18flash_attn_ext_vecILi128ELi2EL9ggml_type3ELS0_3ELb1EEvPKcS2_S2_S2_S2_PKiPfP15HIP_vector_typeIfLj2EEffffjfiS6_IjLj3EEiiiiiiiiiiiliiliiiiil: ; @_ZL18flash_attn_ext_vecILi128ELi2EL9ggml_type3ELS0_3ELb1EEvPKcS2_S2_S2_S2_PKiPfP15HIP_vector_typeIfLj2EEffffjfiS6_IjLj3EEiiiiiiiiiiiliiliiiiil
; %bb.0:
	s_clause 0x2
	s_load_b64 s[34:35], s[2:3], 0x64
	s_load_b64 s[38:39], s[2:3], 0x80
	;; [unrolled: 1-line block ×3, first 2 shown]
	v_mov_b32_e32 v67, 1.0
	s_load_b64 s[36:37], s[2:3], 0x50
	s_waitcnt lgkmcnt(0)
	v_cvt_f32_u32_e32 v1, s35
	s_sub_i32 s5, 0, s35
	s_delay_alu instid0(VALU_DEP_1) | instskip(SKIP_2) | instid1(VALU_DEP_1)
	v_rcp_iflag_f32_e32 v1, v1
	s_waitcnt_depctr 0xfff
	v_mul_f32_e32 v1, 0x4f7ffffe, v1
	v_cvt_u32_f32_e32 v1, v1
	s_delay_alu instid0(VALU_DEP_1) | instskip(NEXT) | instid1(VALU_DEP_1)
	v_readfirstlane_b32 s4, v1
	s_mul_i32 s5, s5, s4
	s_delay_alu instid0(SALU_CYCLE_1) | instskip(NEXT) | instid1(SALU_CYCLE_1)
	s_mul_hi_u32 s5, s4, s5
	s_add_i32 s4, s4, s5
	s_delay_alu instid0(SALU_CYCLE_1) | instskip(NEXT) | instid1(SALU_CYCLE_1)
	s_mul_hi_u32 s4, s15, s4
	s_mul_i32 s5, s4, s35
	s_add_i32 s6, s4, 1
	s_sub_i32 s5, s15, s5
	s_delay_alu instid0(SALU_CYCLE_1)
	s_sub_i32 s7, s5, s35
	s_cmp_ge_u32 s5, s35
	s_cselect_b32 s4, s6, s4
	s_cselect_b32 s5, s7, s5
	s_add_i32 s6, s4, 1
	s_cmp_ge_u32 s5, s35
	s_cselect_b32 s33, s6, s4
	s_abs_i32 s4, s39
	s_abs_i32 s8, s35
	v_cvt_f32_u32_e32 v1, s4
	s_sub_i32 s6, 0, s4
	s_xor_b32 s7, s35, s39
	s_delay_alu instid0(SALU_CYCLE_1) | instskip(NEXT) | instid1(VALU_DEP_1)
	s_ashr_i32 s7, s7, 31
	v_rcp_iflag_f32_e32 v1, v1
	s_waitcnt_depctr 0xfff
	v_mul_f32_e32 v1, 0x4f7ffffe, v1
	s_delay_alu instid0(VALU_DEP_1) | instskip(NEXT) | instid1(VALU_DEP_1)
	v_cvt_u32_f32_e32 v1, v1
	v_readfirstlane_b32 s5, v1
	s_delay_alu instid0(VALU_DEP_1) | instskip(NEXT) | instid1(SALU_CYCLE_1)
	s_mul_i32 s6, s6, s5
	s_mul_hi_u32 s6, s5, s6
	s_delay_alu instid0(SALU_CYCLE_1) | instskip(SKIP_4) | instid1(SALU_CYCLE_1)
	s_add_i32 s5, s5, s6
	s_mul_i32 s6, s33, s35
	s_mul_hi_u32 s5, s8, s5
	s_sub_i32 s12, s15, s6
	s_mul_i32 s9, s5, s4
	s_sub_i32 s6, s8, s9
	s_add_i32 s8, s5, 1
	s_sub_i32 s9, s6, s4
	s_cmp_ge_u32 s6, s4
	s_cselect_b32 s5, s8, s5
	s_cselect_b32 s6, s9, s6
	s_add_i32 s8, s5, 1
	s_cmp_ge_u32 s6, s4
	s_cselect_b32 s4, s8, s5
	s_abs_i32 s40, s40
	s_xor_b32 s4, s4, s7
	v_cvt_f32_u32_e32 v1, s40
	s_sub_i32 s43, s4, s7
	s_load_b128 s[8:11], s[2:3], 0x40
	s_abs_i32 s44, s43
	s_delay_alu instid0(SALU_CYCLE_1) | instskip(SKIP_1) | instid1(VALU_DEP_1)
	v_cvt_f32_u32_e32 v2, s44
	v_rcp_iflag_f32_e32 v1, v1
	v_rcp_iflag_f32_e32 v2, v2
	s_waitcnt_depctr 0xfff
	v_dual_mul_f32 v1, 0x4f7ffffe, v1 :: v_dual_mul_f32 v2, 0x4f7ffffe, v2
	s_delay_alu instid0(VALU_DEP_1) | instskip(SKIP_2) | instid1(VALU_DEP_3)
	v_cvt_u32_f32_e32 v1, v1
	s_waitcnt lgkmcnt(0)
	v_cmp_le_f32_e64 s4, s9, 0
	v_cvt_u32_f32_e32 v2, v2
	s_delay_alu instid0(VALU_DEP_3) | instskip(NEXT) | instid1(VALU_DEP_3)
	v_readfirstlane_b32 s39, v1
	s_and_b32 vcc_lo, exec_lo, s4
	s_delay_alu instid0(VALU_DEP_2)
	v_readfirstlane_b32 s42, v2
	s_cbranch_vccnz .LBB22_2
; %bb.1:
	s_sub_i32 s4, s12, s36
	s_add_i32 s5, s12, 1
	s_lshl_b32 s4, s4, 1
	v_mov_b32_e32 v1, s10
	s_or_b32 s4, s4, 1
	s_cmp_lt_u32 s12, s36
	s_cselect_b32 vcc_lo, -1, 0
	s_delay_alu instid0(VALU_DEP_1)
	v_cndmask_b32_e32 v3, s11, v1, vcc_lo
	s_and_b32 s6, vcc_lo, exec_lo
	s_cselect_b32 s4, s5, s4
	s_mov_b32 s5, 0x3e76c4e1
	v_cvt_f32_i32_e32 v1, s4
	v_cmp_neq_f32_e32 vcc_lo, 1.0, v3
	s_delay_alu instid0(VALU_DEP_2) | instskip(NEXT) | instid1(VALU_DEP_1)
	v_cndmask_b32_e32 v4, 1.0, v1, vcc_lo
	v_cmp_eq_f32_e32 vcc_lo, 0, v4
	v_cndmask_b32_e64 v5, |v3|, 1.0, vcc_lo
	s_delay_alu instid0(VALU_DEP_1) | instskip(NEXT) | instid1(VALU_DEP_1)
	v_frexp_mant_f32_e32 v1, v5
	v_cmp_gt_f32_e64 s4, 0x3f2aaaab, v1
	s_delay_alu instid0(VALU_DEP_1) | instskip(NEXT) | instid1(VALU_DEP_1)
	v_cndmask_b32_e64 v2, 1.0, 2.0, s4
	v_mul_f32_e32 v1, v1, v2
	s_delay_alu instid0(VALU_DEP_1) | instskip(SKIP_1) | instid1(VALU_DEP_2)
	v_add_f32_e32 v2, 1.0, v1
	v_add_f32_e32 v7, -1.0, v1
	v_rcp_f32_e32 v6, v2
	s_waitcnt_depctr 0xfff
	v_mul_f32_e32 v8, v7, v6
	s_delay_alu instid0(VALU_DEP_1) | instskip(NEXT) | instid1(VALU_DEP_1)
	v_dual_add_f32 v9, -1.0, v2 :: v_dual_mul_f32 v10, v2, v8
	v_sub_f32_e32 v1, v1, v9
	v_cndmask_b32_e64 v3, v3, 1.0, vcc_lo
	s_delay_alu instid0(VALU_DEP_3) | instskip(NEXT) | instid1(VALU_DEP_2)
	v_fma_f32 v2, v8, v2, -v10
	v_cmp_eq_f32_e64 s6, 0, v3
	s_delay_alu instid0(VALU_DEP_2) | instskip(NEXT) | instid1(VALU_DEP_1)
	v_fmac_f32_e32 v2, v8, v1
	v_add_f32_e32 v1, v10, v2
	s_delay_alu instid0(VALU_DEP_1) | instskip(NEXT) | instid1(VALU_DEP_1)
	v_dual_sub_f32 v10, v1, v10 :: v_dual_sub_f32 v9, v7, v1
	v_dual_sub_f32 v2, v10, v2 :: v_dual_sub_f32 v7, v7, v9
	s_delay_alu instid0(VALU_DEP_1) | instskip(NEXT) | instid1(VALU_DEP_1)
	v_sub_f32_e32 v1, v7, v1
	v_add_f32_e32 v1, v2, v1
	s_delay_alu instid0(VALU_DEP_1) | instskip(NEXT) | instid1(VALU_DEP_1)
	v_add_f32_e32 v1, v9, v1
	v_mul_f32_e32 v1, v6, v1
	s_delay_alu instid0(VALU_DEP_1) | instskip(NEXT) | instid1(VALU_DEP_1)
	v_add_f32_e32 v6, v8, v1
	v_sub_f32_e32 v2, v6, v8
	v_mul_f32_e32 v7, v6, v6
	s_delay_alu instid0(VALU_DEP_2) | instskip(NEXT) | instid1(VALU_DEP_2)
	v_sub_f32_e32 v8, v1, v2
	v_fma_f32 v9, v6, v6, -v7
	s_delay_alu instid0(VALU_DEP_2) | instskip(NEXT) | instid1(VALU_DEP_1)
	v_add_f32_e32 v1, v8, v8
	v_fmac_f32_e32 v9, v6, v1
	v_cvt_f64_f32_e32 v[1:2], v5
	s_delay_alu instid0(VALU_DEP_2) | instskip(NEXT) | instid1(VALU_DEP_1)
	v_add_f32_e32 v10, v7, v9
	v_fmaak_f32 v11, s5, v10, 0x3e91f4c4
	v_sub_f32_e32 v7, v10, v7
	v_mul_f32_e32 v14, v6, v10
	s_delay_alu instid0(VALU_DEP_3) | instskip(NEXT) | instid1(VALU_DEP_3)
	v_fmaak_f32 v11, v10, v11, 0x3ecccdef
	v_sub_f32_e32 v7, v9, v7
	s_delay_alu instid0(VALU_DEP_2) | instskip(NEXT) | instid1(VALU_DEP_1)
	v_mul_f32_e32 v12, v10, v11
	v_fma_f32 v9, v10, v11, -v12
	s_delay_alu instid0(VALU_DEP_1) | instskip(NEXT) | instid1(VALU_DEP_1)
	v_fmac_f32_e32 v9, v7, v11
	v_add_f32_e32 v11, v12, v9
	v_frexp_exp_i32_f64_e32 v1, v[1:2]
	s_delay_alu instid0(VALU_DEP_2) | instskip(NEXT) | instid1(VALU_DEP_1)
	v_sub_f32_e32 v12, v11, v12
	v_sub_f32_e32 v2, v9, v12
	v_fma_f32 v12, v10, v6, -v14
	s_delay_alu instid0(VALU_DEP_2) | instskip(NEXT) | instid1(VALU_DEP_2)
	v_add_f32_e32 v2, 0x31739010, v2
	v_dual_add_f32 v13, 0x3f2aaaaa, v11 :: v_dual_fmac_f32 v12, v10, v8
	v_ldexp_f32 v8, v8, 1
	s_delay_alu instid0(VALU_DEP_2) | instskip(NEXT) | instid1(VALU_DEP_1)
	v_dual_add_f32 v9, 0xbf2aaaaa, v13 :: v_dual_fmac_f32 v12, v7, v6
	v_sub_f32_e32 v9, v11, v9
	s_delay_alu instid0(VALU_DEP_1) | instskip(NEXT) | instid1(VALU_DEP_3)
	v_add_f32_e32 v2, v2, v9
	v_add_f32_e32 v9, v14, v12
	s_delay_alu instid0(VALU_DEP_2) | instskip(NEXT) | instid1(VALU_DEP_1)
	v_add_f32_e32 v7, v13, v2
	v_sub_f32_e32 v10, v13, v7
	s_delay_alu instid0(VALU_DEP_3) | instskip(SKIP_2) | instid1(VALU_DEP_4)
	v_mul_f32_e32 v11, v9, v7
	v_sub_f32_e32 v13, v9, v14
	v_subrev_co_ci_u32_e64 v1, s4, 0, v1, s4
	v_add_f32_e32 v2, v2, v10
	s_delay_alu instid0(VALU_DEP_4) | instskip(NEXT) | instid1(VALU_DEP_4)
	v_fma_f32 v10, v9, v7, -v11
	v_sub_f32_e32 v12, v12, v13
	s_delay_alu instid0(VALU_DEP_4) | instskip(NEXT) | instid1(VALU_DEP_3)
	v_cvt_f32_i32_e32 v1, v1
	v_fmac_f32_e32 v10, v9, v2
	v_ldexp_f32 v2, v6, 1
	s_delay_alu instid0(VALU_DEP_2) | instskip(NEXT) | instid1(VALU_DEP_1)
	v_fmac_f32_e32 v10, v12, v7
	v_add_f32_e32 v6, v11, v10
	s_delay_alu instid0(VALU_DEP_1) | instskip(NEXT) | instid1(VALU_DEP_1)
	v_add_f32_e32 v7, v2, v6
	v_dual_sub_f32 v2, v7, v2 :: v_dual_sub_f32 v9, v6, v11
	s_delay_alu instid0(VALU_DEP_1) | instskip(NEXT) | instid1(VALU_DEP_2)
	v_sub_f32_e32 v2, v6, v2
	v_sub_f32_e32 v9, v10, v9
	s_delay_alu instid0(VALU_DEP_1) | instskip(NEXT) | instid1(VALU_DEP_1)
	v_add_f32_e32 v6, v8, v9
	v_dual_mul_f32 v11, 0x3f317218, v1 :: v_dual_add_f32 v2, v6, v2
	s_delay_alu instid0(VALU_DEP_1) | instskip(NEXT) | instid1(VALU_DEP_2)
	v_fma_f32 v10, 0x3f317218, v1, -v11
	v_add_f32_e32 v8, v7, v2
	s_delay_alu instid0(VALU_DEP_1) | instskip(NEXT) | instid1(VALU_DEP_1)
	v_sub_f32_e32 v7, v8, v7
	v_dual_fmamk_f32 v1, v1, 0xb102e308, v10 :: v_dual_sub_f32 v2, v2, v7
	s_delay_alu instid0(VALU_DEP_1) | instskip(NEXT) | instid1(VALU_DEP_1)
	v_add_f32_e32 v6, v11, v1
	v_add_f32_e32 v9, v6, v8
	s_delay_alu instid0(VALU_DEP_1) | instskip(NEXT) | instid1(VALU_DEP_1)
	v_dual_sub_f32 v11, v6, v11 :: v_dual_sub_f32 v10, v9, v6
	v_sub_f32_e32 v12, v9, v10
	s_delay_alu instid0(VALU_DEP_2) | instskip(NEXT) | instid1(VALU_DEP_2)
	v_sub_f32_e32 v1, v1, v11
	v_dual_sub_f32 v7, v8, v10 :: v_dual_sub_f32 v6, v6, v12
	s_delay_alu instid0(VALU_DEP_2) | instskip(NEXT) | instid1(VALU_DEP_2)
	v_add_f32_e32 v8, v1, v2
	v_add_f32_e32 v6, v7, v6
	s_delay_alu instid0(VALU_DEP_1) | instskip(NEXT) | instid1(VALU_DEP_1)
	v_add_f32_e32 v6, v8, v6
	v_dual_sub_f32 v7, v8, v1 :: v_dual_add_f32 v10, v9, v6
	s_delay_alu instid0(VALU_DEP_1) | instskip(SKIP_1) | instid1(VALU_DEP_3)
	v_sub_f32_e32 v8, v8, v7
	v_sub_f32_e32 v2, v2, v7
	;; [unrolled: 1-line block ×3, first 2 shown]
	s_delay_alu instid0(VALU_DEP_3) | instskip(NEXT) | instid1(VALU_DEP_1)
	v_sub_f32_e32 v1, v1, v8
	v_add_f32_e32 v1, v2, v1
	s_delay_alu instid0(VALU_DEP_3) | instskip(NEXT) | instid1(VALU_DEP_1)
	v_sub_f32_e32 v2, v6, v7
	v_add_f32_e32 v1, v1, v2
	s_delay_alu instid0(VALU_DEP_1) | instskip(NEXT) | instid1(VALU_DEP_1)
	v_add_f32_e32 v2, v10, v1
	v_mul_f32_e32 v7, v4, v2
	v_sub_f32_e32 v6, v2, v10
	s_delay_alu instid0(VALU_DEP_2) | instskip(NEXT) | instid1(VALU_DEP_2)
	v_fma_f32 v2, v4, v2, -v7
	v_sub_f32_e32 v1, v1, v6
	v_cmp_class_f32_e64 s4, v7, 0x204
	s_delay_alu instid0(VALU_DEP_2) | instskip(NEXT) | instid1(VALU_DEP_1)
	v_fmac_f32_e32 v2, v4, v1
	v_add_f32_e32 v1, v7, v2
	s_delay_alu instid0(VALU_DEP_1) | instskip(NEXT) | instid1(VALU_DEP_1)
	v_cndmask_b32_e64 v6, v1, v7, s4
	v_cmp_eq_f32_e64 s4, 0x42b17218, v6
	s_delay_alu instid0(VALU_DEP_1) | instskip(SKIP_1) | instid1(VALU_DEP_2)
	v_cndmask_b32_e64 v8, 0, 0x37000000, s4
	v_cmp_neq_f32_e64 s4, 0x7f800000, |v6|
	v_sub_f32_e32 v9, v6, v8
	v_trunc_f32_e32 v6, v4
	s_delay_alu instid0(VALU_DEP_2) | instskip(NEXT) | instid1(VALU_DEP_1)
	v_mul_f32_e32 v10, 0x3fb8aa3b, v9
	v_fma_f32 v11, 0x3fb8aa3b, v9, -v10
	v_rndne_f32_e32 v12, v10
	s_delay_alu instid0(VALU_DEP_1) | instskip(NEXT) | instid1(VALU_DEP_1)
	v_dual_fmamk_f32 v11, v9, 0x32a5705f, v11 :: v_dual_sub_f32 v10, v10, v12
	v_add_f32_e32 v10, v10, v11
	v_sub_f32_e32 v1, v1, v7
	v_cvt_i32_f32_e32 v7, v12
	s_delay_alu instid0(VALU_DEP_3) | instskip(NEXT) | instid1(VALU_DEP_2)
	v_exp_f32_e32 v10, v10
	v_sub_f32_e32 v1, v2, v1
	s_delay_alu instid0(VALU_DEP_1)
	v_cndmask_b32_e64 v1, 0, v1, s4
	v_cmp_ngt_f32_e64 s4, 0xc2ce8ed0, v9
	s_waitcnt_depctr 0xfff
	v_ldexp_f32 v2, v10, v7
	v_mul_f32_e32 v7, 0.5, v4
	v_add_f32_e32 v1, v8, v1
	s_delay_alu instid0(VALU_DEP_3) | instskip(NEXT) | instid1(VALU_DEP_3)
	v_cndmask_b32_e64 v2, 0, v2, s4
	v_trunc_f32_e32 v10, v7
	v_cmp_nlt_f32_e64 s4, 0x42b17218, v9
	s_delay_alu instid0(VALU_DEP_2) | instskip(NEXT) | instid1(VALU_DEP_2)
	v_cmp_neq_f32_e64 s5, v10, v7
	v_cndmask_b32_e64 v2, 0x7f800000, v2, s4
	v_cmp_eq_f32_e64 s4, v6, v4
	s_delay_alu instid0(VALU_DEP_2) | instskip(NEXT) | instid1(VALU_DEP_2)
	v_fma_f32 v1, v2, v1, v2
	s_and_b32 vcc_lo, s4, s5
	v_cmp_class_f32_e64 s5, v2, 0x204
	v_cndmask_b32_e32 v6, 1.0, v3, vcc_lo
	s_delay_alu instid0(VALU_DEP_2) | instskip(SKIP_1) | instid1(VALU_DEP_2)
	v_cndmask_b32_e64 v1, v1, v2, s5
	v_cmp_gt_f32_e64 s5, 0, v4
	v_bfi_b32 v1, 0x7fffffff, v1, v6
	v_cndmask_b32_e32 v6, 0, v3, vcc_lo
	s_delay_alu instid0(VALU_DEP_3)
	s_xor_b32 s5, s5, s6
	v_cmp_eq_f32_e32 vcc_lo, 0x7f800000, v5
	v_cndmask_b32_e64 v2, 0x7f800000, 0, s5
	v_cndmask_b32_e64 v4, 0x7fc00000, v1, s4
	v_cmp_gt_f32_e64 s4, 0, v3
	s_or_b32 vcc_lo, vcc_lo, s6
	s_delay_alu instid0(VALU_DEP_3) | instskip(NEXT) | instid1(VALU_DEP_2)
	v_bfi_b32 v2, 0x7fffffff, v2, v6
	v_cndmask_b32_e64 v1, v1, v4, s4
	s_delay_alu instid0(VALU_DEP_1) | instskip(SKIP_1) | instid1(VALU_DEP_2)
	v_cndmask_b32_e32 v1, v1, v2, vcc_lo
	v_cmp_o_f32_e32 vcc_lo, v3, v3
	v_cndmask_b32_e32 v67, 0x7fc00000, v1, vcc_lo
.LBB22_2:
	s_load_b64 s[0:1], s[0:1], 0x4
	v_bfe_u32 v61, v0, 10, 10
	v_and_b32_e32 v60, 0x3ff, v0
	s_load_b512 s[16:31], s[2:3], 0x0
	v_bfe_u32 v0, v0, 20, 10
	s_lshl_b32 s15, s13, 1
	v_lshlrev_b32_e32 v62, 8, v61
	s_mov_b32 s6, exec_lo
	s_waitcnt lgkmcnt(0)
	v_mul_u32_u24_e32 v1, s1, v61
	s_lshr_b32 s0, s0, 16
	s_delay_alu instid0(SALU_CYCLE_1)
	s_mul_i32 s0, s0, s1
	s_delay_alu instid0(VALU_DEP_1) | instid1(SALU_CYCLE_1)
	v_mad_u32_u24 v1, s0, v60, v1
	v_cmp_lt_u32_e64 s0, 1, v61
	s_delay_alu instid0(VALU_DEP_2) | instskip(NEXT) | instid1(VALU_DEP_1)
	v_add_lshl_u32 v18, v1, v0, 4
	v_dual_mov_b32 v12, 0 :: v_dual_add_nc_u32 v1, 0x400, v18
	v_add_nc_u32_e32 v0, 0x604, v18
	ds_store_2addr_b32 v0, v12, v12 offset1:1
	ds_store_2addr_b32 v1, v12, v12 offset0:128 offset1:131
	v_cmpx_gt_u32_e32 2, v61
	s_cbranch_execz .LBB22_13
; %bb.3:
	v_or_b32_e32 v0, s15, v61
	v_lshl_add_u32 v1, v60, 2, v62
	s_mov_b32 s1, exec_lo
	s_delay_alu instid0(VALU_DEP_2)
	v_cmpx_le_i32_e64 s34, v0
	s_xor_b32 s1, exec_lo, s1
	s_cbranch_execz .LBB22_7
; %bb.4:
	v_mov_b32_e32 v0, 0
	s_mov_b32 s4, exec_lo
	ds_store_b32 v1, v0
	v_cmpx_gt_u32_e32 4, v60
	s_cbranch_execz .LBB22_6
; %bb.5:
	v_lshl_add_u32 v2, v60, 2, v1
	v_mov_b32_e32 v1, v0
	ds_store_b64 v2, v[0:1] offset:128
.LBB22_6:
	s_or_b32 exec_lo, exec_lo, s4
                                        ; implicit-def: $vgpr1
.LBB22_7:
	s_and_not1_saveexec_b32 s1, s1
	s_cbranch_execz .LBB22_13
; %bb.8:
	s_load_b128 s[48:51], s[2:3], 0x70
	v_lshlrev_b32_e32 v2, 4, v60
	s_mov_b32 s7, exec_lo
	s_waitcnt lgkmcnt(0)
	v_mul_lo_u32 v0, v61, s48
	s_mul_i32 s1, s33, s50
	s_mul_i32 s4, s15, s48
	;; [unrolled: 1-line block ×3, first 2 shown]
	s_add_i32 s1, s1, s4
	s_delay_alu instid0(SALU_CYCLE_1) | instskip(NEXT) | instid1(SALU_CYCLE_1)
	s_add_i32 s1, s1, s5
	s_ashr_i32 s4, s1, 31
	s_delay_alu instid0(VALU_DEP_1) | instskip(SKIP_3) | instid1(VALU_DEP_2)
	v_ashrrev_i32_e32 v3, 31, v0
	s_add_u32 s1, s16, s1
	s_addc_u32 s4, s17, s4
	v_add_co_u32 v0, vcc_lo, s1, v0
	v_add_co_ci_u32_e32 v3, vcc_lo, s4, v3, vcc_lo
	s_delay_alu instid0(VALU_DEP_2) | instskip(NEXT) | instid1(VALU_DEP_2)
	v_add_co_u32 v2, vcc_lo, v0, v2
	v_add_co_ci_u32_e32 v3, vcc_lo, 0, v3, vcc_lo
	v_mbcnt_lo_u32_b32 v0, -1, 0
	global_load_b128 v[7:10], v[2:3], off
	v_xor_b32_e32 v4, 4, v0
	v_xor_b32_e32 v13, 2, v0
	v_xor_b32_e32 v14, 1, v0
	s_delay_alu instid0(VALU_DEP_3) | instskip(SKIP_1) | instid1(VALU_DEP_4)
	v_cmp_gt_i32_e32 vcc_lo, 32, v4
	v_cndmask_b32_e32 v4, v0, v4, vcc_lo
	v_cmp_gt_i32_e32 vcc_lo, 32, v13
	v_cndmask_b32_e32 v13, v0, v13, vcc_lo
	;; [unrolled: 2-line block ×3, first 2 shown]
	s_waitcnt vmcnt(0)
	s_delay_alu instid0(VALU_DEP_1) | instskip(SKIP_2) | instid1(VALU_DEP_2)
	v_dual_mul_f32 v5, s8, v10 :: v_dual_lshlrev_b32 v0, 2, v0
	v_dual_mul_f32 v2, s8, v7 :: v_dual_mul_f32 v3, s8, v8
	v_dual_mul_f32 v7, s8, v9 :: v_dual_lshlrev_b32 v4, 2, v4
	v_max_f32_e64 v6, |v2|, |v2|
	v_fma_f32 v8, s8, v8, v2
	s_delay_alu instid0(VALU_DEP_2) | instskip(NEXT) | instid1(VALU_DEP_1)
	v_max_f32_e64 v6, v6, |v3|
	v_max3_f32 v6, v6, |v7|, |v5|
	ds_bpermute_b32 v11, v4, v6
	s_waitcnt lgkmcnt(0)
	v_max_f32_e32 v11, v11, v11
	s_delay_alu instid0(VALU_DEP_1) | instskip(SKIP_3) | instid1(VALU_DEP_1)
	v_dual_max_f32 v6, v6, v11 :: v_dual_lshlrev_b32 v13, 2, v13
	ds_bpermute_b32 v11, v13, v6
	s_waitcnt lgkmcnt(0)
	v_max_f32_e32 v11, v11, v11
	v_max_f32_e32 v6, v6, v11
	ds_bpermute_b32 v11, v0, v6
	s_waitcnt lgkmcnt(0)
	v_dual_fmac_f32 v8, s8, v9 :: v_dual_max_f32 v9, v11, v11
	s_delay_alu instid0(VALU_DEP_1) | instskip(SKIP_2) | instid1(VALU_DEP_1)
	v_dual_fmac_f32 v8, s8, v10 :: v_dual_max_f32 v9, v6, v9
	ds_bpermute_b32 v4, v4, v8
	v_div_scale_f32 v6, null, 0x42fe0000, 0x42fe0000, v9
	v_rcp_f32_e32 v10, v6
	s_waitcnt lgkmcnt(0)
	v_add_f32_e32 v4, v8, v4
	s_waitcnt_depctr 0xfff
	v_fma_f32 v8, -v6, v10, 1.0
	ds_bpermute_b32 v11, v13, v4
	v_div_scale_f32 v13, vcc_lo, v9, 0x42fe0000, v9
	v_fmac_f32_e32 v10, v8, v10
	s_delay_alu instid0(VALU_DEP_1) | instskip(NEXT) | instid1(VALU_DEP_1)
	v_mul_f32_e32 v8, v13, v10
	v_fma_f32 v14, -v6, v8, v13
	s_delay_alu instid0(VALU_DEP_1) | instskip(SKIP_2) | instid1(VALU_DEP_2)
	v_fmac_f32_e32 v8, v14, v10
	s_waitcnt lgkmcnt(0)
	v_add_f32_e32 v4, v4, v11
	v_fma_f32 v11, -v6, v8, v13
	ds_bpermute_b32 v6, v0, v4
	v_div_fmas_f32 v0, v11, v10, v8
	v_mov_b32_e32 v8, 0
	s_delay_alu instid0(VALU_DEP_2) | instskip(NEXT) | instid1(VALU_DEP_1)
	v_div_fixup_f32 v0, v0, 0x42fe0000, v9
	v_cmpx_neq_f32_e32 0, v0
	s_cbranch_execz .LBB22_10
; %bb.9:
	v_div_scale_f32 v8, null, v0, v0, v2
	v_div_scale_f32 v9, null, v0, v0, v3
	;; [unrolled: 1-line block ×4, first 2 shown]
	s_delay_alu instid0(VALU_DEP_4) | instskip(NEXT) | instid1(VALU_DEP_3)
	v_rcp_f32_e32 v10, v8
	v_rcp_f32_e32 v14, v9
	s_delay_alu instid0(VALU_DEP_2) | instskip(NEXT) | instid1(VALU_DEP_1)
	v_rcp_f32_e32 v15, v11
	v_rcp_f32_e32 v16, v13
	v_div_scale_f32 v20, vcc_lo, v2, v0, v2
	v_fma_f32 v17, -v8, v10, 1.0
	s_delay_alu instid0(TRANS32_DEP_3) | instskip(SKIP_4) | instid1(VALU_DEP_3)
	v_fma_f32 v19, -v9, v14, 1.0
	s_waitcnt_depctr 0xfff
	v_fma_f32 v21, -v11, v15, 1.0
	v_fma_f32 v22, -v13, v16, 1.0
	v_fmac_f32_e32 v10, v17, v10
	v_dual_fmac_f32 v14, v19, v14 :: v_dual_fmac_f32 v15, v21, v15
	v_div_scale_f32 v17, s1, v3, v0, v3
	s_delay_alu instid0(VALU_DEP_4) | instskip(SKIP_1) | instid1(VALU_DEP_3)
	v_fmac_f32_e32 v16, v22, v16
	v_div_scale_f32 v21, s5, v5, v0, v5
	v_mul_f32_e32 v23, v17, v14
	v_div_scale_f32 v19, s4, v7, v0, v7
	s_delay_alu instid0(VALU_DEP_3) | instskip(NEXT) | instid1(VALU_DEP_3)
	v_dual_mul_f32 v22, v20, v10 :: v_dual_mul_f32 v25, v21, v16
	v_fma_f32 v27, -v9, v23, v17
	s_delay_alu instid0(VALU_DEP_2) | instskip(NEXT) | instid1(VALU_DEP_3)
	v_fma_f32 v26, -v8, v22, v20
	v_fma_f32 v29, -v13, v25, v21
	v_mul_f32_e32 v24, v19, v15
	s_delay_alu instid0(VALU_DEP_2) | instskip(NEXT) | instid1(VALU_DEP_2)
	v_dual_fmac_f32 v22, v26, v10 :: v_dual_fmac_f32 v25, v29, v16
	v_fma_f32 v28, -v11, v24, v19
	v_fmac_f32_e32 v23, v27, v14
	s_delay_alu instid0(VALU_DEP_3) | instskip(NEXT) | instid1(VALU_DEP_3)
	v_fma_f32 v8, -v8, v22, v20
	v_fmac_f32_e32 v24, v28, v15
	s_delay_alu instid0(VALU_DEP_3) | instskip(NEXT) | instid1(VALU_DEP_3)
	v_fma_f32 v9, -v9, v23, v17
	v_div_fmas_f32 v8, v8, v10, v22
	s_mov_b32 vcc_lo, s1
	s_delay_alu instid0(VALU_DEP_3) | instskip(NEXT) | instid1(VALU_DEP_3)
	v_fma_f32 v11, -v11, v24, v19
	v_div_fmas_f32 v9, v9, v14, v23
	s_mov_b32 vcc_lo, s4
	v_div_fixup_f32 v2, v8, v0, v2
	s_delay_alu instid0(VALU_DEP_3)
	v_div_fmas_f32 v10, v11, v15, v24
	v_fma_f32 v11, -v13, v25, v21
	s_mov_b32 vcc_lo, s5
	v_div_fixup_f32 v3, v9, v0, v3
	v_trunc_f32_e32 v14, v2
	v_div_fixup_f32 v7, v10, v0, v7
	v_div_fmas_f32 v10, v11, v16, v25
	s_delay_alu instid0(VALU_DEP_2) | instskip(NEXT) | instid1(VALU_DEP_2)
	v_trunc_f32_e32 v9, v7
	v_div_fixup_f32 v5, v10, v0, v5
	v_trunc_f32_e32 v10, v3
	s_delay_alu instid0(VALU_DEP_3) | instskip(NEXT) | instid1(VALU_DEP_3)
	v_sub_f32_e32 v11, v7, v9
	v_trunc_f32_e32 v8, v5
	s_delay_alu instid0(VALU_DEP_3) | instskip(NEXT) | instid1(VALU_DEP_3)
	v_sub_f32_e32 v13, v3, v10
	v_cmp_ge_f32_e64 s1, |v11|, 0.5
	s_delay_alu instid0(VALU_DEP_3) | instskip(NEXT) | instid1(VALU_DEP_2)
	v_sub_f32_e32 v15, v5, v8
	v_cndmask_b32_e64 v11, 0, 1.0, s1
	s_delay_alu instid0(VALU_DEP_4) | instskip(NEXT) | instid1(VALU_DEP_2)
	v_cmp_ge_f32_e64 s1, |v13|, 0.5
	v_bfi_b32 v7, 0x7fffffff, v11, v7
	s_delay_alu instid0(VALU_DEP_2) | instskip(SKIP_2) | instid1(VALU_DEP_4)
	v_cndmask_b32_e64 v13, 0, 1.0, s1
	v_sub_f32_e32 v11, v2, v14
	v_cmp_ge_f32_e64 s1, |v15|, 0.5
	v_add_f32_e32 v7, v9, v7
	s_delay_alu instid0(VALU_DEP_4) | instskip(NEXT) | instid1(VALU_DEP_3)
	v_bfi_b32 v3, 0x7fffffff, v13, v3
	v_cndmask_b32_e64 v15, 0, 1.0, s1
	v_cmp_ge_f32_e64 s1, |v11|, 0.5
	s_delay_alu instid0(VALU_DEP_2) | instskip(NEXT) | instid1(VALU_DEP_2)
	v_bfi_b32 v5, 0x7fffffff, v15, v5
	v_cndmask_b32_e64 v9, 0, 1.0, s1
	s_delay_alu instid0(VALU_DEP_2) | instskip(NEXT) | instid1(VALU_DEP_2)
	v_add_f32_e32 v5, v8, v5
	v_bfi_b32 v2, 0x7fffffff, v9, v2
	s_delay_alu instid0(VALU_DEP_2) | instskip(NEXT) | instid1(VALU_DEP_2)
	v_cvt_i32_f32_e32 v5, v5
	v_add_f32_e32 v2, v14, v2
	v_cvt_i32_f32_e32 v7, v7
	s_delay_alu instid0(VALU_DEP_2) | instskip(SKIP_1) | instid1(VALU_DEP_3)
	v_cvt_i32_f32_e32 v2, v2
	v_add_f32_e32 v3, v10, v3
	v_and_b32_e32 v7, 0xff, v7
	s_delay_alu instid0(VALU_DEP_3) | instskip(NEXT) | instid1(VALU_DEP_3)
	v_and_b32_e32 v2, 0xff, v2
	v_cvt_i32_f32_e32 v3, v3
	s_delay_alu instid0(VALU_DEP_3) | instskip(NEXT) | instid1(VALU_DEP_2)
	v_lshlrev_b32_e32 v7, 16, v7
	v_and_b32_e32 v3, 0xff, v3
	s_delay_alu instid0(VALU_DEP_2) | instskip(NEXT) | instid1(VALU_DEP_2)
	v_lshl_or_b32 v5, v5, 24, v7
	v_lshlrev_b32_e32 v3, 8, v3
	s_delay_alu instid0(VALU_DEP_1)
	v_or3_b32 v8, v5, v3, v2
.LBB22_10:
	s_or_b32 exec_lo, exec_lo, s7
	v_and_b32_e32 v2, 7, v60
	s_mov_b32 s1, exec_lo
	ds_store_b32 v1, v8
	v_cmpx_eq_u32_e32 0, v2
	s_cbranch_execz .LBB22_12
; %bb.11:
	s_waitcnt lgkmcnt(1)
	v_dual_add_f32 v1, v4, v6 :: v_dual_add_nc_u32 v2, v62, v60
	ds_store_b64 v2, v[0:1] offset:128
.LBB22_12:
	s_or_b32 exec_lo, exec_lo, s1
.LBB22_13:
	s_delay_alu instid0(SALU_CYCLE_1)
	s_or_b32 exec_lo, exec_lo, s6
	v_and_b32_e32 v69, 1, v60
	s_waitcnt lgkmcnt(0)
	s_barrier
	buffer_gl0_inv
	s_cmp_eq_u64 s[26:27], 0
	v_lshlrev_b32_e32 v16, 2, v69
	s_mov_b32 s36, s38
	ds_load_b128 v[0:3], v12 offset:128
	ds_load_b128 v[4:7], v12 offset:144
	ds_load_2addr_b32 v[24:25], v16 offset1:2
	ds_load_2addr_b32 v[26:27], v16 offset0:4 offset1:6
	ds_load_2addr_b32 v[28:29], v16 offset0:8 offset1:10
	;; [unrolled: 1-line block ×12, first 2 shown]
	ds_load_b128 v[8:11], v12 offset:384
	ds_load_b128 v[12:15], v12 offset:400
	ds_load_2addr_b32 v[50:51], v16 offset0:84 offset1:86
	ds_load_2addr_b32 v[52:53], v16 offset0:88 offset1:90
	;; [unrolled: 1-line block ×3, first 2 shown]
	s_waitcnt lgkmcnt(0)
	s_barrier
	buffer_gl0_inv
	s_cbranch_scc1 .LBB22_15
; %bb.14:
	s_load_b32 s1, s[2:3], 0xd0
	s_mov_b32 s5, 0
	s_waitcnt lgkmcnt(0)
	s_mul_i32 s1, s1, s33
	s_delay_alu instid0(SALU_CYCLE_1) | instskip(NEXT) | instid1(SALU_CYCLE_1)
	s_add_i32 s4, s1, s13
	s_lshl_b64 s[4:5], s[4:5], 2
	s_delay_alu instid0(SALU_CYCLE_1)
	s_add_u32 s4, s26, s4
	s_addc_u32 s5, s27, s5
	s_load_b32 s36, s[4:5], 0x0
.LBB22_15:
	s_mov_b32 s16, 0
	s_mov_b32 s4, 0xfeffffff
	;; [unrolled: 1-line block ×3, first 2 shown]
	v_lshlrev_b32_e32 v17, 5, v61
	v_dual_mov_b32 v57, s17 :: v_dual_lshlrev_b32 v66, 2, v60
	v_mov_b32_e32 v56, s16
	s_mov_b32 s5, s4
	s_delay_alu instid0(VALU_DEP_3) | instskip(SKIP_3) | instid1(VALU_DEP_4)
	v_add_nc_u32_e32 v63, v17, v60
	v_mov_b32_e32 v59, s5
	v_dual_mov_b32 v58, s4 :: v_dual_add_nc_u32 v65, 0x600, v18
	v_mbcnt_lo_u32_b32 v68, -1, 0
	v_lshlrev_b32_e32 v64, 1, v63
	s_lshl_b32 s8, s14, 7
	s_waitcnt lgkmcnt(0)
	s_cmp_ge_i32 s8, s36
	s_cbranch_scc1 .LBB22_44
; %bb.16:
	s_clause 0x1
	s_load_b128 s[4:7], s[2:3], 0x98
	s_load_b64 s[26:27], s[2:3], 0x8c
	s_sub_i32 s1, 0, s44
	s_sub_i32 s10, 0, s40
	s_mul_i32 s1, s1, s42
	s_abs_i32 s17, s12
	s_mul_hi_u32 s1, s42, s1
	s_mul_i32 s10, s10, s39
	s_add_i32 s42, s42, s1
	s_mul_hi_u32 s1, s39, s10
	s_mul_hi_u32 s10, s17, s42
	s_add_i32 s1, s39, s1
	s_mul_i32 s39, s10, s44
	s_ashr_i32 s11, s33, 31
	s_sub_i32 s17, s17, s39
	s_ashr_i32 s46, s12, 31
	s_ashr_i32 s43, s43, 31
	s_abs_i32 s45, s33
	s_mul_i32 s13, s15, s41
	s_xor_b32 s41, s46, s43
	s_waitcnt lgkmcnt(0)
	s_mul_i32 s5, s33, s5
	s_mul_hi_u32 s39, s33, s4
	s_mul_i32 s42, s11, s4
	s_add_i32 s39, s39, s5
	s_add_i32 s46, s10, 1
	s_sub_i32 s5, s17, s44
	s_add_i32 s39, s39, s42
	s_cmp_ge_u32 s17, s44
	s_mul_hi_u32 s1, s45, s1
	s_cselect_b32 s10, s46, s10
	s_cselect_b32 s5, s5, s17
	s_add_i32 s17, s10, 1
	s_cmp_ge_u32 s5, s44
	s_clause 0x2
	s_load_b64 s[42:43], s[2:3], 0xa8
	s_load_b64 s[50:51], s[2:3], 0xc8
	s_load_b32 s49, s[2:3], 0xd4
	s_cselect_b32 s5, s17, s10
	s_mul_i32 s1, s1, s40
	s_xor_b32 s5, s5, s41
	s_sub_i32 s1, s45, s1
	s_sub_i32 s46, s5, s41
	s_sub_i32 s5, s1, s40
	s_mul_i32 s44, s46, s27
	s_mul_i32 s46, s46, s7
	s_ashr_i32 s45, s44, 31
	s_ashr_i32 s47, s46, 31
	s_cmp_ge_u32 s1, s40
	v_and_b32_e32 v18, 0x7e, v60
	s_cselect_b32 s1, s5, s1
	v_bfe_u32 v87, v60, 3, 27
	s_sub_i32 s5, s1, s40
	s_cmp_ge_u32 s1, s40
	v_add_nc_u32_e32 v18, v17, v18
	s_cselect_b32 s5, s5, s1
	s_mov_b32 s9, s16
	s_xor_b32 s5, s5, s11
	v_mul_hi_u32_u24_e32 v88, 20, v87
	s_sub_i32 s17, s5, s11
	v_add_nc_u32_e32 v74, s38, v18
	s_waitcnt lgkmcnt(0)
	s_mul_i32 s5, s17, s51
	s_mul_hi_u32 s7, s17, s50
	s_ashr_i32 s10, s17, 31
	s_add_i32 s48, s7, s5
	s_mul_i32 s10, s10, s50
	s_ashr_i32 s5, s13, 31
	s_add_i32 s48, s48, s10
	s_cmp_lg_u64 s[22:23], 0
	s_mul_i32 s51, s17, s50
	s_cselect_b32 s27, -1, 0
	s_lshl_b32 s10, s49, 7
	s_cmp_lt_i32 s15, s34
	v_ashrrev_i32_e32 v75, 31, v74
	s_cselect_b32 s7, -1, 0
	s_or_b32 s40, s15, 1
	s_and_b32 s7, s27, s7
	s_cmp_lt_i32 s40, s34
	v_mul_u32_u24_e32 v87, 20, v87
	s_cselect_b32 s17, -1, 0
	s_ashr_i32 s52, s38, 31
	s_and_b32 s27, s27, s17
	s_add_u32 s50, s18, s44
	s_addc_u32 s49, s19, s45
	s_lshl_b64 s[40:41], s[8:9], 1
	v_add_co_u32 v85, s9, v18, s38
	s_delay_alu instid0(VALU_DEP_1)
	v_add_co_ci_u32_e64 v86, null, 0, s52, s9
	v_cmp_eq_u32_e64 s1, 0, v69
	v_lshlrev_b64 v[69:70], 1, v[74:75]
	v_mul_lo_u32 v90, v17, s6
	v_mad_u64_u32 v[95:96], null, s33, s42, v[87:88]
	s_add_u32 s9, s22, s40
	s_addc_u32 s17, s23, s41
	v_lshlrev_b64 v[85:86], 1, v[85:86]
	s_add_u32 s9, s9, s51
	s_addc_u32 s17, s17, s48
	v_add_co_u32 v69, vcc_lo, s9, v69
	s_mul_i32 s38, s33, s43
	s_mul_i32 s11, s11, s42
	v_add_co_ci_u32_e32 v70, vcc_lo, s17, v70, vcc_lo
	v_ashrrev_i32_e32 v91, 31, v90
	v_add3_u32 v96, s38, s11, v96
	v_add_co_u32 v85, vcc_lo, s9, v85
	v_and_b32_e32 v89, 12, v66
	v_add_co_ci_u32_e32 v86, vcc_lo, s17, v86, vcc_lo
	v_add_co_u32 v87, vcc_lo, v95, v90
	v_add_nc_u32_e32 v92, 31, v17
	v_add_co_ci_u32_e32 v88, vcc_lo, v96, v91, vcc_lo
	v_add_co_u32 v93, vcc_lo, v95, v89
	v_add_co_ci_u32_e32 v94, vcc_lo, 0, v96, vcc_lo
	s_delay_alu instid0(VALU_DEP_4) | instskip(SKIP_1) | instid1(VALU_DEP_4)
	v_mul_lo_u32 v97, s6, v92
	v_add_nc_u32_e32 v19, s6, v90
	v_add_co_u32 v89, vcc_lo, v93, v90
	s_delay_alu instid0(VALU_DEP_4) | instskip(NEXT) | instid1(VALU_DEP_3)
	v_add_co_ci_u32_e32 v90, vcc_lo, v94, v91, vcc_lo
	v_add_nc_u32_e32 v20, s6, v19
	v_add_co_u32 v93, vcc_lo, v93, s46
	v_add_nc_u32_e32 v99, 30, v17
	v_add_co_ci_u32_e32 v94, vcc_lo, s47, v94, vcc_lo
	v_ashrrev_i32_e32 v98, 31, v97
	v_add_nc_u32_e32 v21, s6, v20
	v_add_co_u32 v91, vcc_lo, v93, v97
	v_mul_lo_u32 v99, s6, v99
	v_add_nc_u32_e32 v100, 29, v17
	v_add_co_ci_u32_e32 v92, vcc_lo, v94, v98, vcc_lo
	v_add_co_u32 v113, vcc_lo, v95, s46
	v_add_nc_u32_e32 v22, s6, v21
	v_add_co_ci_u32_e32 v114, vcc_lo, s47, v96, vcc_lo
	v_mul_lo_u32 v103, s6, v100
	v_add_nc_u32_e32 v102, 28, v17
	v_add_co_u32 v95, vcc_lo, v113, v97
	v_ashrrev_i32_e32 v101, 31, v99
	v_add_nc_u32_e32 v23, s6, v22
	v_add_co_ci_u32_e32 v96, vcc_lo, v114, v98, vcc_lo
	v_add_co_u32 v97, vcc_lo, v93, v99
	v_mul_lo_u32 v107, s6, v102
	v_add_co_ci_u32_e32 v98, vcc_lo, v94, v101, vcc_lo
	v_add_nc_u32_e32 v105, 27, v17
	v_add_co_u32 v99, vcc_lo, v113, v99
	v_ashrrev_i32_e32 v104, 31, v103
	v_add_nc_u32_e32 v56, s6, v23
	v_add_co_ci_u32_e32 v100, vcc_lo, v114, v101, vcc_lo
	v_add_co_u32 v101, vcc_lo, v93, v103
	v_mul_lo_u32 v111, s6, v105
	v_add_co_ci_u32_e32 v102, vcc_lo, v94, v104, vcc_lo
	v_add_nc_u32_e32 v109, 26, v17
	v_add_nc_u32_e32 v57, s6, v56
	v_add_co_u32 v103, vcc_lo, v113, v103
	v_ashrrev_i32_e32 v108, 31, v107
	v_add_co_ci_u32_e32 v104, vcc_lo, v114, v104, vcc_lo
	v_add_co_u32 v105, vcc_lo, v93, v107
	v_mul_lo_u32 v117, s6, v109
	v_add_nc_u32_e32 v58, s6, v57
	v_add_co_ci_u32_e32 v106, vcc_lo, v94, v108, vcc_lo
	v_add_nc_u32_e32 v120, 25, v17
	v_add_co_u32 v107, vcc_lo, v113, v107
	v_ashrrev_i32_e32 v112, 31, v111
	v_add_co_ci_u32_e32 v108, vcc_lo, v114, v108, vcc_lo
	v_add_co_u32 v109, vcc_lo, v93, v111
	v_add_nc_u32_e32 v59, s6, v58
	v_mul_lo_u32 v120, s6, v120
	v_add_co_ci_u32_e32 v110, vcc_lo, v94, v112, vcc_lo
	v_add_nc_u32_e32 v119, 24, v17
	v_add_co_u32 v111, vcc_lo, v113, v111
	v_ashrrev_i32_e32 v118, 31, v117
	v_add_co_ci_u32_e32 v112, vcc_lo, v114, v112, vcc_lo
	v_add_nc_u32_e32 v71, s6, v59
	v_add_co_u32 v115, vcc_lo, v93, v117
	v_mul_lo_u32 v119, s6, v119
	v_add_co_ci_u32_e32 v116, vcc_lo, v94, v118, vcc_lo
	v_add_nc_u32_e32 v121, 23, v17
	v_add_co_u32 v117, vcc_lo, v113, v117
	v_ashrrev_i32_e32 v144, 31, v120
	v_add_nc_u32_e32 v72, s6, v71
	v_add_co_ci_u32_e32 v118, vcc_lo, v114, v118, vcc_lo
	v_add_co_u32 v146, vcc_lo, v93, v120
	v_mul_lo_u32 v121, s6, v121
	v_add_nc_u32_e32 v122, 22, v17
	v_add_co_ci_u32_e32 v147, vcc_lo, v94, v144, vcc_lo
	v_ashrrev_i32_e32 v126, 31, v119
	v_add_co_u32 v120, vcc_lo, v113, v120
	v_add_nc_u32_e32 v73, s6, v72
	v_add_co_ci_u32_e32 v144, vcc_lo, v114, v144, vcc_lo
	v_add_co_u32 v148, vcc_lo, v93, v119
	v_mul_lo_u32 v122, s6, v122
	v_add_nc_u32_e32 v123, 21, v17
	v_add_co_ci_u32_e32 v149, vcc_lo, v94, v126, vcc_lo
	v_add_nc_u32_e32 v74, s6, v73
	v_ashrrev_i32_e32 v127, 31, v121
	v_add_co_u32 v150, vcc_lo, v113, v119
	v_add_co_ci_u32_e32 v126, vcc_lo, v114, v126, vcc_lo
	v_add_co_u32 v151, vcc_lo, v93, v121
	v_mul_lo_u32 v123, s6, v123
	v_add_nc_u32_e32 v75, s6, v74
	v_add_nc_u32_e32 v124, 20, v17
	v_add_co_ci_u32_e32 v152, vcc_lo, v94, v127, vcc_lo
	v_ashrrev_i32_e32 v128, 31, v122
	v_add_co_u32 v153, vcc_lo, v113, v121
	v_add_co_ci_u32_e32 v154, vcc_lo, v114, v127, vcc_lo
	v_add_co_u32 v127, vcc_lo, v93, v122
	v_add_nc_u32_e32 v76, s6, v75
	v_mul_lo_u32 v124, s6, v124
	v_add_nc_u32_e32 v125, 19, v17
	v_add_co_ci_u32_e32 v155, vcc_lo, v94, v128, vcc_lo
	v_ashrrev_i32_e32 v129, 31, v123
	v_add_co_u32 v156, vcc_lo, v113, v122
	v_add_co_ci_u32_e32 v157, vcc_lo, v114, v128, vcc_lo
	v_add_nc_u32_e32 v79, s6, v76
	v_add_co_u32 v158, vcc_lo, v93, v123
	v_mul_lo_u32 v125, s6, v125
	v_add_co_ci_u32_e32 v159, vcc_lo, v94, v129, vcc_lo
	v_ashrrev_i32_e32 v130, 31, v124
	v_add_co_u32 v160, vcc_lo, v113, v123
	v_add_nc_u32_e32 v82, s6, v79
	v_add_co_ci_u32_e32 v161, vcc_lo, v114, v129, vcc_lo
	v_add_co_u32 v162, vcc_lo, v93, v124
	v_add_co_ci_u32_e32 v163, vcc_lo, v94, v130, vcc_lo
	v_ashrrev_i32_e32 v131, 31, v125
	v_add_co_u32 v164, vcc_lo, v113, v124
	v_add_nc_u32_e32 v84, s6, v82
	v_add_co_ci_u32_e32 v165, vcc_lo, v114, v130, vcc_lo
	v_add_co_u32 v166, vcc_lo, v93, v125
	v_add_co_ci_u32_e32 v167, vcc_lo, v94, v131, vcc_lo
	s_delay_alu instid0(VALU_DEP_4) | instskip(SKIP_3) | instid1(VALU_DEP_4)
	v_ashrrev_i32_e32 v132, 31, v84
	v_add_co_u32 v168, vcc_lo, v113, v125
	v_add_co_ci_u32_e32 v169, vcc_lo, v114, v131, vcc_lo
	v_add_co_u32 v170, vcc_lo, v93, v84
	v_add_co_ci_u32_e32 v171, vcc_lo, v94, v132, vcc_lo
	v_ashrrev_i32_e32 v83, 31, v82
	v_add_co_u32 v172, vcc_lo, v113, v84
	v_add_co_ci_u32_e32 v173, vcc_lo, v114, v132, vcc_lo
	v_add_co_u32 v174, vcc_lo, v93, v82
	s_delay_alu instid0(VALU_DEP_4) | instskip(SKIP_4) | instid1(VALU_DEP_4)
	v_add_co_ci_u32_e32 v175, vcc_lo, v94, v83, vcc_lo
	v_ashrrev_i32_e32 v81, 31, v79
	v_add_co_u32 v176, vcc_lo, v113, v82
	v_add_co_ci_u32_e32 v177, vcc_lo, v114, v83, vcc_lo
	v_add_co_u32 v178, vcc_lo, v93, v79
	v_add_co_ci_u32_e32 v179, vcc_lo, v94, v81, vcc_lo
	v_ashrrev_i32_e32 v80, 31, v76
	v_add_co_u32 v180, vcc_lo, v113, v79
	v_add_co_ci_u32_e32 v181, vcc_lo, v114, v81, vcc_lo
	v_add_co_u32 v182, vcc_lo, v93, v76
	s_delay_alu instid0(VALU_DEP_4) | instskip(SKIP_4) | instid1(VALU_DEP_4)
	v_add_co_ci_u32_e32 v183, vcc_lo, v94, v80, vcc_lo
	;; [unrolled: 11-line block ×8, first 2 shown]
	v_ashrrev_i32_e32 v143, 31, v20
	v_add_co_u32 v21, vcc_lo, v113, v21
	v_add_co_ci_u32_e32 v226, vcc_lo, v114, v142, vcc_lo
	v_add_co_u32 v227, vcc_lo, v93, v20
	v_add_co_ci_u32_e32 v228, vcc_lo, v94, v143, vcc_lo
	v_and_b32_e32 v71, 30, v68
	v_ashrrev_i32_e32 v145, 31, v19
	v_add_co_u32 v20, vcc_lo, v113, v20
	v_add_co_ci_u32_e32 v229, vcc_lo, v114, v143, vcc_lo
	v_add_co_u32 v230, vcc_lo, v93, v19
	v_add_nc_u32_e32 v71, 2, v71
	v_xor_b32_e32 v72, 1, v68
	v_add_co_ci_u32_e32 v231, vcc_lo, v94, v145, vcc_lo
	v_add_co_u32 v232, vcc_lo, v113, v19
	v_add_co_ci_u32_e32 v233, vcc_lo, v114, v145, vcc_lo
	s_delay_alu instid0(VALU_DEP_4)
	v_cmp_lt_i32_e32 vcc_lo, v72, v71
	v_xor_b32_e32 v73, 8, v68
	v_mul_lo_u32 v93, v18, s26
	v_xor_b32_e32 v74, 16, v68
	s_mul_i32 s4, s33, s4
	v_cndmask_b32_e32 v19, v68, v72, vcc_lo
	v_xor_b32_e32 v72, 2, v68
	s_mov_b32 s11, s16
	v_add_co_u32 v16, s16, s4, v16
	s_delay_alu instid0(VALU_DEP_3)
	v_lshlrev_b32_e32 v71, 2, v19
	v_xor_b32_e32 v19, 4, v68
	v_cmp_gt_i32_e32 vcc_lo, 32, v72
	v_add_nc_u32_e32 v81, s26, v93
	v_add_co_ci_u32_e64 v82, null, s39, 0, s16
	s_lshl_b64 s[16:17], s[10:11], 1
	v_cndmask_b32_e32 v72, v68, v72, vcc_lo
	v_cmp_gt_i32_e32 vcc_lo, 32, v19
	v_lshlrev_b32_e32 v18, 1, v18
	s_add_u32 s11, s51, s40
	s_addc_u32 s40, s48, s41
	s_add_u32 s11, s22, s11
	v_cndmask_b32_e32 v19, v68, v19, vcc_lo
	v_cmp_gt_i32_e32 vcc_lo, 32, v73
	s_addc_u32 s22, s23, s40
	v_add_co_u32 v18, s11, s11, v18
	s_delay_alu instid0(VALU_DEP_1)
	v_add_co_ci_u32_e64 v80, null, s22, 0, s11
	v_cndmask_b32_e32 v75, v68, v73, vcc_lo
	v_cmp_gt_i32_e32 vcc_lo, 32, v74
	v_lshlrev_b32_e32 v73, 2, v19
	v_ashrrev_i32_e32 v19, 31, v81
	s_add_u32 s11, s50, s4
	s_addc_u32 s22, s49, s39
	v_cndmask_b32_e32 v76, v68, v74, vcc_lo
	v_lshlrev_b32_e32 v74, 2, v75
	v_lshlrev_b32_e32 v72, 2, v72
	s_mul_i32 s9, s8, s6
	s_mul_i32 s38, s8, s26
	v_lshlrev_b32_e32 v75, 2, v76
	v_lshlrev_b32_e32 v76, 1, v17
	v_add_co_u32 v17, vcc_lo, v16, v81
	v_add_co_ci_u32_e32 v78, vcc_lo, v82, v19, vcc_lo
	s_mul_i32 s6, s10, s6
	s_delay_alu instid0(VALU_DEP_2) | instskip(NEXT) | instid1(VALU_DEP_2)
	v_add_co_u32 v77, vcc_lo, s50, v17
	v_add_co_ci_u32_e32 v78, vcc_lo, s49, v78, vcc_lo
	v_add_co_u32 v79, vcc_lo, v18, 2
	v_add_co_ci_u32_e32 v80, vcc_lo, 0, v80, vcc_lo
	;; [unrolled: 2-line block ×3, first 2 shown]
	v_ashrrev_i32_e32 v18, 31, v93
	s_delay_alu instid0(VALU_DEP_3) | instskip(NEXT) | instid1(VALU_DEP_2)
	v_add_co_u32 v16, vcc_lo, v16, v93
	v_add_co_ci_u32_e32 v17, vcc_lo, v17, v18, vcc_lo
	v_add_co_u32 v81, vcc_lo, s11, v81
	v_add_co_ci_u32_e32 v82, vcc_lo, s22, v19, vcc_lo
	s_delay_alu instid0(VALU_DEP_4) | instskip(NEXT) | instid1(VALU_DEP_4)
	v_add_co_u32 v83, vcc_lo, s18, v16
	v_add_co_ci_u32_e32 v84, vcc_lo, s19, v17, vcc_lo
	v_add_co_u32 v85, vcc_lo, v85, 2
	s_add_u32 s11, s20, s46
	v_add_co_ci_u32_e32 v86, vcc_lo, 0, v86, vcc_lo
	s_addc_u32 s22, s21, s47
	v_add_co_u32 v16, vcc_lo, s11, v89
	v_add_co_ci_u32_e32 v17, vcc_lo, s22, v90, vcc_lo
	v_add_co_u32 v87, vcc_lo, s11, v87
	v_add_co_ci_u32_e32 v88, vcc_lo, s22, v88, vcc_lo
	s_add_u32 s4, s4, s44
	v_add_co_u32 v89, vcc_lo, v16, 4
	s_addc_u32 s11, s39, s45
	s_add_u32 s4, s18, s4
	v_add_co_ci_u32_e32 v90, vcc_lo, 0, v17, vcc_lo
	s_addc_u32 s11, s19, s11
	v_add_co_u32 v16, vcc_lo, s4, v93
	v_add_co_ci_u32_e32 v17, vcc_lo, s11, v18, vcc_lo
	v_add_co_u32 v18, vcc_lo, v91, s20
	v_add_co_ci_u32_e32 v19, vcc_lo, s21, v92, vcc_lo
	s_delay_alu instid0(VALU_DEP_4) | instskip(NEXT) | instid1(VALU_DEP_4)
	v_add_co_u32 v91, vcc_lo, v16, 60
	v_add_co_ci_u32_e32 v92, vcc_lo, 0, v17, vcc_lo
	s_delay_alu instid0(VALU_DEP_4) | instskip(NEXT) | instid1(VALU_DEP_4)
	v_add_co_u32 v93, vcc_lo, v18, 4
	v_add_co_ci_u32_e32 v94, vcc_lo, 0, v19, vcc_lo
	v_add_co_u32 v16, vcc_lo, v97, s20
	v_add_co_ci_u32_e32 v17, vcc_lo, s21, v98, vcc_lo
	v_add_co_u32 v95, vcc_lo, s20, v95
	v_add_co_ci_u32_e32 v96, vcc_lo, s21, v96, vcc_lo
	s_delay_alu instid0(VALU_DEP_4) | instskip(NEXT) | instid1(VALU_DEP_4)
	v_add_co_u32 v97, vcc_lo, v16, 4
	v_add_co_ci_u32_e32 v98, vcc_lo, 0, v17, vcc_lo
	v_add_co_u32 v16, vcc_lo, v101, s20
	v_add_co_ci_u32_e32 v17, vcc_lo, s21, v102, vcc_lo
	;; [unrolled: 7-line block ×29, first 2 shown]
	v_add_co_u32 v207, vcc_lo, s20, v21
	v_add_co_ci_u32_e32 v208, vcc_lo, s21, v226, vcc_lo
	s_delay_alu instid0(VALU_DEP_4) | instskip(NEXT) | instid1(VALU_DEP_4)
	v_add_co_u32 v209, vcc_lo, v16, 4
	v_add_co_ci_u32_e32 v210, vcc_lo, 0, v17, vcc_lo
	ds_load_b128 v[16:19], v65
	v_add_co_u32 v21, vcc_lo, v230, s20
	v_add_co_ci_u32_e32 v22, vcc_lo, s21, v231, vcc_lo
	v_add_co_u32 v211, vcc_lo, s20, v20
	v_add_co_ci_u32_e32 v212, vcc_lo, s21, v229, vcc_lo
	s_delay_alu instid0(VALU_DEP_4) | instskip(NEXT) | instid1(VALU_DEP_4)
	v_add_co_u32 v213, vcc_lo, v21, 4
	v_add_co_ci_u32_e32 v214, vcc_lo, 0, v22, vcc_lo
	v_add_co_u32 v215, vcc_lo, s20, v232
	v_add_co_ci_u32_e32 v216, vcc_lo, s21, v233, vcc_lo
	v_dual_mov_b32 v56, 0 :: v_dual_mov_b32 v57, 0
	v_and_b32_e32 v217, 4, v60
	v_dual_mov_b32 v21, 0xfeffffff :: v_dual_mov_b32 v20, 0xfeffffff
	s_mul_i32 s11, s10, s26
	s_mov_b32 s18, 0xbbbac73d
                                        ; implicit-def: $vgpr218
.LBB22_17:                              ; =>This Inner Loop Header: Depth=1
	v_add_co_u32 v22, vcc_lo, v83, s38
	v_add_co_ci_u32_e32 v23, vcc_lo, 0, v84, vcc_lo
	v_add_co_u32 v58, vcc_lo, v91, s38
	v_add_co_ci_u32_e32 v59, vcc_lo, 0, v92, vcc_lo
	global_load_b32 v219, v[22:23], off offset:4
	global_load_b32 v220, v[58:59], off offset:-60
	s_clause 0x1
	global_load_b32 v221, v[22:23], off offset:12
	global_load_b32 v222, v[22:23], off offset:24
	global_load_b32 v223, v[58:59], off offset:-40
	s_clause 0x1
	global_load_b32 v225, v[22:23], off offset:32
	global_load_b32 v226, v[22:23], off offset:44
	global_load_b32 v229, v[58:59], off offset:-20
	s_clause 0x1
	global_load_b32 v230, v[22:23], off offset:52
	global_load_b32 v232, v[22:23], off offset:64
	global_load_b32 v235, v[58:59], off
	global_load_b32 v22, v[22:23], off offset:72
	s_waitcnt vmcnt(11)
	v_lshrrev_b32_e32 v237, 4, v219
	s_waitcnt vmcnt(10)
	v_lshrrev_b32_e32 v236, 16, v220
	v_cvt_f32_f16_e64 v233, v220
	s_waitcnt vmcnt(8)
	v_and_b32_e32 v228, 0xf0f0f0f, v222
	s_waitcnt vmcnt(7)
	v_cvt_f32_f16_e64 v227, v223
	v_lshrrev_b32_e32 v223, 16, v223
	v_lshrrev_b32_e32 v222, 4, v222
	v_cvt_f32_f16_e64 v238, v236
	v_and_b32_e32 v234, 0xf0f0f0f, v219
	v_lshrrev_b32_e32 v239, 4, v221
	s_waitcnt vmcnt(4)
	v_cvt_f32_f16_e64 v220, v229
	v_lshrrev_b32_e32 v240, 16, v229
	s_waitcnt vmcnt(2)
	v_and_b32_e32 v59, 0xf0f0f0f, v232
	v_lshrrev_b32_e32 v242, 4, v232
	v_cvt_f32_f16_e64 v232, v223
	v_and_b32_e32 v229, 0xf0f0f0f, v222
	v_mul_f32_e32 v223, v1, v238
	v_dot4_i32_iu8 v222, v234, v24, 0 neg_lo:[1,1,0]
	v_lshrrev_b32_e32 v241, 4, v226
	v_dual_mul_f32 v239, v0, v233 :: v_dual_and_b32 v236, 0xf0f0f0f, v239
	s_delay_alu instid0(VALU_DEP_4) | instskip(NEXT) | instid1(VALU_DEP_4)
	v_mul_f32_e32 v244, 0x3e000000, v223
	v_cvt_f32_i32_e32 v243, v222
	s_delay_alu instid0(VALU_DEP_4) | instskip(SKIP_2) | instid1(VALU_DEP_4)
	v_and_b32_e32 v223, 0xf0f0f0f, v241
	v_and_b32_e32 v237, 0xf0f0f0f, v237
	v_dual_mul_f32 v246, v2, v227 :: v_dual_and_b32 v231, 0xf0f0f0f, v221
	v_fma_f32 v241, v239, v243, v244
	v_dual_mul_f32 v247, v3, v232 :: v_dual_and_b32 v224, 0xf0f0f0f, v225
	v_lshrrev_b32_e32 v225, 4, v225
	v_dot4_i32_iu8 v243, v228, v28, 0 neg_lo:[1,1,0]
	s_delay_alu instid0(VALU_DEP_4)
	v_add_f32_e32 v241, 0, v241
	v_dot4_i32_iu8 v245, v236, v27, 0 neg_lo:[1,1,0]
	v_and_b32_e32 v221, 0xf0f0f0f, v226
	s_waitcnt vmcnt(1)
	v_cvt_f32_f16_e64 v58, v235
	v_lshrrev_b32_e32 v235, 16, v235
	v_cvt_f32_i32_e32 v243, v243
	v_cvt_f32_i32_e32 v245, v245
	v_and_b32_e32 v219, 0xf0f0f0f, v230
	v_lshrrev_b32_e32 v230, 4, v230
	v_mul_f32_e32 v247, 0x3e000000, v247
	s_delay_alu instid0(VALU_DEP_2) | instskip(SKIP_1) | instid1(VALU_DEP_1)
	v_and_b32_e32 v222, 0xf0f0f0f, v230
	v_dot4_i32_iu8 v230, v237, v26, 0 neg_lo:[1,1,0]
	v_cvt_f32_i32_e32 v230, v230
	s_delay_alu instid0(VALU_DEP_1) | instskip(SKIP_3) | instid1(VALU_DEP_1)
	v_fma_f32 v230, v239, v230, v244
	v_and_b32_e32 v226, 0xf0f0f0f, v225
	v_cvt_f32_f16_e64 v225, v240
	v_dot4_i32_iu8 v240, v231, v25, 0 neg_lo:[1,1,0]
	v_cvt_f32_i32_e32 v240, v240
	s_delay_alu instid0(VALU_DEP_1) | instskip(SKIP_2) | instid1(VALU_DEP_3)
	v_fma_f32 v240, v239, v240, v244
	v_fmac_f32_e32 v244, v239, v245
	v_mul_f32_e32 v245, v5, v225
	v_add_f32_e32 v240, v241, v240
	v_dot4_i32_iu8 v241, v224, v29, 0 neg_lo:[1,1,0]
	s_delay_alu instid0(VALU_DEP_3) | instskip(NEXT) | instid1(VALU_DEP_3)
	v_mul_f32_e32 v245, 0x3e000000, v245
	v_add_f32_e32 v239, v240, v230
	v_cvt_f32_f16_e64 v230, v235
	s_delay_alu instid0(VALU_DEP_4)
	v_cvt_f32_i32_e32 v235, v241
	v_dot4_i32_iu8 v240, v229, v30, 0 neg_lo:[1,1,0]
	v_fma_f32 v241, v246, v243, v247
	v_add_f32_e32 v239, v239, v244
	v_dot4_i32_iu8 v244, v226, v31, 0 neg_lo:[1,1,0]
	v_fma_f32 v235, v246, v235, v247
	v_cvt_f32_i32_e32 v240, v240
	v_dot4_i32_iu8 v243, v221, v32, 0 neg_lo:[1,1,0]
	v_add_f32_e32 v239, v239, v241
	v_cvt_f32_i32_e32 v244, v244
	v_mul_f32_e32 v241, v4, v220
	v_fma_f32 v240, v246, v240, v247
	v_cvt_f32_i32_e32 v243, v243
	v_add_f32_e32 v235, v239, v235
	s_waitcnt vmcnt(0)
	v_and_b32_e32 v23, 0xf0f0f0f, v22
	v_dot4_i32_iu8 v239, v219, v33, 0 neg_lo:[1,1,0]
	v_fmac_f32_e32 v247, v246, v244
	v_fma_f32 v243, v241, v243, v245
	v_dual_add_f32 v240, v235, v240 :: v_dual_and_b32 v235, 0xf0f0f0f, v242
	s_delay_alu instid0(VALU_DEP_4) | instskip(SKIP_2) | instid1(VALU_DEP_4)
	v_cvt_f32_i32_e32 v239, v239
	v_dot4_i32_iu8 v242, v223, v34, 0 neg_lo:[1,1,0]
	v_dot4_i32_iu8 v246, v222, v35, 0 neg_lo:[1,1,0]
	v_add_f32_e32 v240, v240, v247
	v_dot4_i32_iu8 v244, v59, v36, 0 neg_lo:[1,1,0]
	v_fma_f32 v239, v241, v239, v245
	v_cvt_f32_i32_e32 v242, v242
	s_delay_alu instid0(VALU_DEP_4) | instskip(SKIP_2) | instid1(VALU_DEP_4)
	v_dual_mul_f32 v247, v7, v230 :: v_dual_add_f32 v240, v240, v243
	v_cvt_f32_i32_e32 v246, v246
	v_mul_f32_e32 v243, v6, v58
	v_fma_f32 v242, v241, v242, v245
	v_cvt_f32_i32_e32 v244, v244
	v_add_f32_e32 v239, v240, v239
	v_dot4_i32_iu8 v240, v23, v37, 0 neg_lo:[1,1,0]
	v_mul_f32_e32 v247, 0x3e000000, v247
	v_fmac_f32_e32 v245, v241, v246
	v_lshrrev_b32_e32 v22, 4, v22
	v_add_f32_e32 v239, v239, v242
	v_cvt_f32_i32_e32 v240, v240
	v_dot4_i32_iu8 v241, v235, v38, 0 neg_lo:[1,1,0]
	v_fma_f32 v242, v243, v244, v247
	s_delay_alu instid0(VALU_DEP_4) | instskip(NEXT) | instid1(VALU_DEP_3)
	v_dual_add_f32 v244, v239, v245 :: v_dual_and_b32 v239, 0xf0f0f0f, v22
	v_cvt_f32_i32_e32 v22, v241
	v_fma_f32 v240, v243, v240, v247
	s_delay_alu instid0(VALU_DEP_3) | instskip(NEXT) | instid1(VALU_DEP_4)
	v_add_f32_e32 v241, v244, v242
	v_dot4_i32_iu8 v242, v239, v39, 0 neg_lo:[1,1,0]
	s_delay_alu instid0(VALU_DEP_4) | instskip(NEXT) | instid1(VALU_DEP_3)
	v_fma_f32 v22, v243, v22, v247
	v_add_f32_e32 v240, v241, v240
	s_delay_alu instid0(VALU_DEP_3) | instskip(NEXT) | instid1(VALU_DEP_1)
	v_cvt_f32_i32_e32 v241, v242
	v_dual_add_f32 v22, v240, v22 :: v_dual_fmac_f32 v247, v243, v241
	s_delay_alu instid0(VALU_DEP_1) | instskip(SKIP_3) | instid1(VALU_DEP_1)
	v_add_f32_e32 v22, v22, v247
	ds_bpermute_b32 v240, v71, v22
	s_waitcnt lgkmcnt(0)
	v_add_f32_e32 v22, v22, v240
                                        ; implicit-def: $vgpr240
	v_cmp_ngt_f32_e64 s4, 0x3f200000, |v22|
	s_delay_alu instid0(VALU_DEP_1) | instskip(NEXT) | instid1(SALU_CYCLE_1)
	s_and_saveexec_b32 s19, s4
	s_xor_b32 s4, exec_lo, s19
	s_cbranch_execz .LBB22_19
; %bb.18:                               ;   in Loop: Header=BB22_17 Depth=1
	v_add_f32_e64 v240, |v22|, |v22|
	s_delay_alu instid0(VALU_DEP_1) | instskip(SKIP_1) | instid1(VALU_DEP_2)
	v_mul_f32_e32 v241, 0x3fb8aa3b, v240
	v_cmp_ngt_f32_e32 vcc_lo, 0xc2ce8ed0, v240
	v_rndne_f32_e32 v242, v241
	v_fma_f32 v243, 0x3fb8aa3b, v240, -v241
	s_delay_alu instid0(VALU_DEP_2) | instskip(NEXT) | instid1(VALU_DEP_2)
	v_sub_f32_e32 v241, v241, v242
	v_fmac_f32_e32 v243, 0x32a5705f, v240
	v_cvt_i32_f32_e32 v242, v242
	s_delay_alu instid0(VALU_DEP_2) | instskip(NEXT) | instid1(VALU_DEP_1)
	v_add_f32_e32 v241, v241, v243
	v_exp_f32_e32 v241, v241
	s_waitcnt_depctr 0xfff
	v_ldexp_f32 v241, v241, v242
	s_delay_alu instid0(VALU_DEP_1) | instskip(SKIP_1) | instid1(VALU_DEP_2)
	v_cndmask_b32_e32 v241, 0, v241, vcc_lo
	v_cmp_nlt_f32_e32 vcc_lo, 0x42b17218, v240
	v_cndmask_b32_e32 v240, 0x7f800000, v241, vcc_lo
	s_delay_alu instid0(VALU_DEP_1) | instskip(NEXT) | instid1(VALU_DEP_1)
	v_add_f32_e32 v240, 1.0, v240
	v_rcp_f32_e32 v240, v240
	s_waitcnt_depctr 0xfff
	v_fma_f32 v240, v240, -2.0, 1.0
.LBB22_19:                              ;   in Loop: Header=BB22_17 Depth=1
	s_and_not1_saveexec_b32 s4, s4
; %bb.20:                               ;   in Loop: Header=BB22_17 Depth=1
	v_mul_f32_e32 v240, v22, v22
	s_delay_alu instid0(VALU_DEP_1) | instskip(NEXT) | instid1(VALU_DEP_1)
	v_fmaak_f32 v241, s18, v240, 0x3ca908c9
	v_fmaak_f32 v241, v240, v241, 0xbd5c1c4e
	s_delay_alu instid0(VALU_DEP_1) | instskip(NEXT) | instid1(VALU_DEP_1)
	v_fmaak_f32 v241, v240, v241, 0x3e088382
	v_fmaak_f32 v241, v240, v241, 0xbeaaaa99
	s_delay_alu instid0(VALU_DEP_1) | instskip(NEXT) | instid1(VALU_DEP_1)
	v_mul_f32_e64 v241, |v22|, v241
	v_fma_f32 v240, v240, v241, |v22|
; %bb.21:                               ;   in Loop: Header=BB22_17 Depth=1
	s_or_b32 exec_lo, exec_lo, s4
	s_delay_alu instid0(VALU_DEP_1) | instskip(SKIP_1) | instid1(VALU_DEP_1)
	v_bfi_b32 v22, 0x7fffffff, v240, v22
	s_and_not1_b32 vcc_lo, exec_lo, s7
	v_mul_f32_e32 v22, s37, v22
	s_cbranch_vccnz .LBB22_23
; %bb.22:                               ;   in Loop: Header=BB22_17 Depth=1
	v_add_co_u32 v240, vcc_lo, v79, s13
	v_add_co_ci_u32_e32 v241, vcc_lo, s5, v80, vcc_lo
	global_load_u16 v240, v[240:241], off offset:-2
	s_waitcnt vmcnt(0)
	v_fma_mix_f32 v22, v67, v240, v22 op_sel_hi:[0,1,0]
.LBB22_23:                              ;   in Loop: Header=BB22_17 Depth=1
	v_dot4_i32_iu8 v234, v234, v40, 0 neg_lo:[1,1,0]
	v_dual_mul_f32 v238, v9, v238 :: v_dual_mul_f32 v233, v8, v233
	v_dot4_i32_iu8 v231, v231, v41, 0 neg_lo:[1,1,0]
	v_dot4_i32_iu8 v237, v237, v42, 0 neg_lo:[1,1,0]
	s_delay_alu instid0(VALU_DEP_4) | instskip(NEXT) | instid1(VALU_DEP_4)
	v_cvt_f32_i32_e32 v234, v234
	v_dual_mul_f32 v238, 0x3e000000, v238 :: v_dual_mul_f32 v227, v10, v227
	s_delay_alu instid0(VALU_DEP_4) | instskip(NEXT) | instid1(VALU_DEP_4)
	v_cvt_f32_i32_e32 v231, v231
	v_cvt_f32_i32_e32 v237, v237
	v_dot4_i32_iu8 v236, v236, v43, 0 neg_lo:[1,1,0]
	s_delay_alu instid0(VALU_DEP_4)
	v_fma_f32 v234, v233, v234, v238
	v_dot4_i32_iu8 v228, v228, v44, 0 neg_lo:[1,1,0]
	v_fma_f32 v231, v233, v231, v238
	v_fma_f32 v237, v233, v237, v238
	v_cvt_f32_i32_e32 v236, v236
	v_add_f32_e32 v234, 0, v234
	v_mul_f32_e32 v232, v11, v232
	v_dual_mul_f32 v220, v12, v220 :: v_dual_mul_f32 v225, v13, v225
	v_dot4_i32_iu8 v224, v224, v45, 0 neg_lo:[1,1,0]
	s_delay_alu instid0(VALU_DEP_4) | instskip(SKIP_1) | instid1(VALU_DEP_4)
	v_add_f32_e32 v231, v234, v231
	v_cvt_f32_i32_e32 v228, v228
	v_dual_fmac_f32 v238, v233, v236 :: v_dual_mul_f32 v225, 0x3e000000, v225
	v_dot4_i32_iu8 v221, v221, v48, 0 neg_lo:[1,1,0]
	s_delay_alu instid0(VALU_DEP_4) | instskip(SKIP_3) | instid1(VALU_DEP_4)
	v_dual_add_f32 v231, v231, v237 :: v_dual_mul_f32 v232, 0x3e000000, v232
	v_dot4_i32_iu8 v229, v229, v46, 0 neg_lo:[1,1,0]
	v_cvt_f32_i32_e32 v224, v224
	v_dot4_i32_iu8 v219, v219, v49, 0 neg_lo:[1,1,0]
	v_add_f32_e32 v231, v231, v238
	v_fma_f32 v228, v227, v228, v232
	v_cvt_f32_i32_e32 v221, v221
	v_dot4_i32_iu8 v226, v226, v47, 0 neg_lo:[1,1,0]
	v_cvt_f32_i32_e32 v229, v229
	v_fma_f32 v224, v227, v224, v232
	v_dot4_i32_iu8 v223, v223, v50, 0 neg_lo:[1,1,0]
	v_cvt_f32_i32_e32 v219, v219
	v_fma_f32 v221, v220, v221, v225
	v_add_f32_e32 v228, v231, v228
	v_cvt_f32_i32_e32 v226, v226
	v_fma_f32 v229, v227, v229, v232
	v_dot4_i32_iu8 v222, v222, v51, 0 neg_lo:[1,1,0]
	v_cvt_f32_i32_e32 v223, v223
	v_fma_f32 v219, v220, v219, v225
	v_add_f32_e32 v224, v228, v224
	v_fmac_f32_e32 v232, v227, v226
	v_cvt_f32_i32_e32 v222, v222
	v_fma_f32 v223, v220, v223, v225
	v_dot4_i32_iu8 v59, v59, v52, 0 neg_lo:[1,1,0]
	v_add_f32_e32 v224, v224, v229
	v_dot4_i32_iu8 v23, v23, v53, 0 neg_lo:[1,1,0]
	v_fmac_f32_e32 v225, v220, v222
	v_dot4_i32_iu8 v220, v235, v54, 0 neg_lo:[1,1,0]
	v_cvt_f32_i32_e32 v59, v59
	v_add_f32_e32 v224, v224, v232
	v_cvt_f32_i32_e32 v23, v23
	s_delay_alu instid0(VALU_DEP_4) | instskip(NEXT) | instid1(VALU_DEP_3)
	v_cvt_f32_i32_e32 v220, v220
	v_add_f32_e32 v221, v224, v221
	s_delay_alu instid0(VALU_DEP_1) | instskip(NEXT) | instid1(VALU_DEP_1)
	v_add_f32_e32 v219, v221, v219
	v_add_f32_e32 v219, v219, v223
	s_delay_alu instid0(VALU_DEP_1) | instskip(SKIP_1) | instid1(VALU_DEP_1)
	v_dual_add_f32 v219, v219, v225 :: v_dual_mul_f32 v58, v14, v58
	v_mul_f32_e32 v224, v15, v230
	v_mul_f32_e32 v221, 0x3e000000, v224
	s_delay_alu instid0(VALU_DEP_1) | instskip(NEXT) | instid1(VALU_DEP_1)
	v_fma_f32 v59, v58, v59, v221
	v_add_f32_e32 v59, v219, v59
	v_fma_f32 v23, v58, v23, v221
	v_dot4_i32_iu8 v219, v239, v55, 0 neg_lo:[1,1,0]
	v_fma_f32 v220, v58, v220, v221
	s_delay_alu instid0(VALU_DEP_3) | instskip(NEXT) | instid1(VALU_DEP_3)
	v_add_f32_e32 v23, v59, v23
	v_cvt_f32_i32_e32 v59, v219
	s_delay_alu instid0(VALU_DEP_2) | instskip(NEXT) | instid1(VALU_DEP_2)
	v_add_f32_e32 v23, v23, v220
	v_fmac_f32_e32 v221, v58, v59
	s_delay_alu instid0(VALU_DEP_1) | instskip(SKIP_3) | instid1(VALU_DEP_1)
	v_add_f32_e32 v23, v23, v221
	ds_bpermute_b32 v58, v71, v23
	s_waitcnt lgkmcnt(0)
	v_add_f32_e32 v23, v23, v58
                                        ; implicit-def: $vgpr58
	v_cmp_ngt_f32_e64 s4, 0x3f200000, |v23|
	s_delay_alu instid0(VALU_DEP_1) | instskip(NEXT) | instid1(SALU_CYCLE_1)
	s_and_saveexec_b32 s19, s4
	s_xor_b32 s4, exec_lo, s19
	s_cbranch_execz .LBB22_25
; %bb.24:                               ;   in Loop: Header=BB22_17 Depth=1
	v_add_f32_e64 v58, |v23|, |v23|
	s_delay_alu instid0(VALU_DEP_1) | instskip(SKIP_1) | instid1(VALU_DEP_2)
	v_mul_f32_e32 v59, 0x3fb8aa3b, v58
	v_cmp_ngt_f32_e32 vcc_lo, 0xc2ce8ed0, v58
	v_rndne_f32_e32 v219, v59
	v_fma_f32 v220, 0x3fb8aa3b, v58, -v59
	s_delay_alu instid0(VALU_DEP_1) | instskip(SKIP_1) | instid1(VALU_DEP_2)
	v_dual_sub_f32 v59, v59, v219 :: v_dual_fmac_f32 v220, 0x32a5705f, v58
	v_cvt_i32_f32_e32 v219, v219
	v_add_f32_e32 v59, v59, v220
	s_delay_alu instid0(VALU_DEP_1) | instskip(SKIP_2) | instid1(VALU_DEP_1)
	v_exp_f32_e32 v59, v59
	s_waitcnt_depctr 0xfff
	v_ldexp_f32 v59, v59, v219
	v_cndmask_b32_e32 v59, 0, v59, vcc_lo
	v_cmp_nlt_f32_e32 vcc_lo, 0x42b17218, v58
	s_delay_alu instid0(VALU_DEP_2) | instskip(NEXT) | instid1(VALU_DEP_1)
	v_cndmask_b32_e32 v58, 0x7f800000, v59, vcc_lo
	v_add_f32_e32 v58, 1.0, v58
	s_delay_alu instid0(VALU_DEP_1)
	v_rcp_f32_e32 v58, v58
	s_waitcnt_depctr 0xfff
	v_fma_f32 v58, v58, -2.0, 1.0
.LBB22_25:                              ;   in Loop: Header=BB22_17 Depth=1
	s_and_not1_saveexec_b32 s4, s4
; %bb.26:                               ;   in Loop: Header=BB22_17 Depth=1
	v_mul_f32_e32 v58, v23, v23
	s_delay_alu instid0(VALU_DEP_1) | instskip(NEXT) | instid1(VALU_DEP_1)
	v_fmaak_f32 v59, s18, v58, 0x3ca908c9
	v_fmaak_f32 v59, v58, v59, 0xbd5c1c4e
	s_delay_alu instid0(VALU_DEP_1) | instskip(NEXT) | instid1(VALU_DEP_1)
	v_fmaak_f32 v59, v58, v59, 0x3e088382
	v_fmaak_f32 v59, v58, v59, 0xbeaaaa99
	s_delay_alu instid0(VALU_DEP_1) | instskip(NEXT) | instid1(VALU_DEP_1)
	v_mul_f32_e64 v59, |v23|, v59
	v_fma_f32 v58, v58, v59, |v23|
; %bb.27:                               ;   in Loop: Header=BB22_17 Depth=1
	s_or_b32 exec_lo, exec_lo, s4
	s_delay_alu instid0(VALU_DEP_1) | instskip(SKIP_1) | instid1(VALU_DEP_1)
	v_bfi_b32 v23, 0x7fffffff, v58, v23
	s_and_not1_b32 vcc_lo, exec_lo, s27
	v_mul_f32_e32 v23, s37, v23
	s_cbranch_vccnz .LBB22_29
; %bb.28:                               ;   in Loop: Header=BB22_17 Depth=1
	v_add_co_u32 v58, vcc_lo, v69, s13
	v_add_co_ci_u32_e32 v59, vcc_lo, s5, v70, vcc_lo
	global_load_u16 v58, v[58:59], off
	s_waitcnt vmcnt(0)
	v_fma_mix_f32 v23, v67, v58, v23 op_sel_hi:[0,1,0]
.LBB22_29:                              ;   in Loop: Header=BB22_17 Depth=1
	v_add_co_u32 v58, vcc_lo, v77, s38
	v_add_co_ci_u32_e32 v59, vcc_lo, 0, v78, vcc_lo
	v_add_co_u32 v219, vcc_lo, v81, s38
	v_add_co_ci_u32_e32 v220, vcc_lo, 0, v82, vcc_lo
	global_load_b32 v221, v[58:59], off offset:4
	global_load_b32 v222, v[219:220], off
	s_clause 0x1
	global_load_b32 v223, v[58:59], off offset:12
	global_load_b32 v224, v[58:59], off offset:24
	global_load_b32 v225, v[219:220], off offset:20
	s_clause 0x1
	global_load_b32 v227, v[58:59], off offset:32
	global_load_b32 v228, v[58:59], off offset:44
	global_load_b32 v231, v[219:220], off offset:40
	;; [unrolled: 4-line block ×3, first 2 shown]
	global_load_b32 v241, v[58:59], off offset:72
	s_waitcnt vmcnt(11)
	v_lshrrev_b32_e32 v238, 4, v221
	s_waitcnt vmcnt(10)
	v_lshrrev_b32_e32 v237, 16, v222
	;; [unrolled: 2-line block ×3, first 2 shown]
	v_cvt_f32_f16_e64 v235, v222
	s_waitcnt vmcnt(7)
	v_cvt_f32_f16_e64 v229, v225
	v_and_b32_e32 v233, 0xf0f0f0f, v223
	v_lshrrev_b32_e32 v225, 16, v225
	v_cvt_f32_f16_e64 v240, v237
	v_and_b32_e32 v236, 0xf0f0f0f, v221
	v_dual_mul_f32 v237, v0, v235 :: v_dual_and_b32 v230, 0xf0f0f0f, v224
	v_lshrrev_b32_e32 v224, 4, v224
	s_waitcnt vmcnt(2)
	v_and_b32_e32 v220, 0xf0f0f0f, v234
	s_waitcnt vmcnt(1)
	v_cvt_f32_f16_e64 v59, v219
	v_lshrrev_b32_e32 v245, 4, v234
	v_and_b32_e32 v239, 0xf0f0f0f, v238
	v_and_b32_e32 v238, 0xf0f0f0f, v242
	v_cvt_f32_f16_e64 v234, v225
	v_dual_mul_f32 v225, v1, v240 :: v_dual_mul_f32 v248, v2, v229
	v_dot4_i32_iu8 v242, v233, v25, 0 neg_lo:[1,1,0]
	s_delay_alu instid0(VALU_DEP_3)
	v_dual_mul_f32 v249, v3, v234 :: v_dual_and_b32 v226, 0xf0f0f0f, v227
	v_lshrrev_b32_e32 v227, 4, v227
	v_cvt_f32_f16_e64 v222, v231
	v_lshrrev_b32_e32 v243, 16, v231
	v_and_b32_e32 v231, 0xf0f0f0f, v224
	v_dot4_i32_iu8 v224, v236, v24, 0 neg_lo:[1,1,0]
	v_mul_f32_e32 v246, 0x3e000000, v225
	v_cvt_f32_i32_e32 v242, v242
	v_dot4_i32_iu8 v247, v238, v27, 0 neg_lo:[1,1,0]
	v_lshrrev_b32_e32 v244, 4, v228
	v_lshrrev_b32_e32 v219, 16, v219
	v_mul_f32_e32 v249, 0x3e000000, v249
	v_fma_f32 v242, v237, v242, v246
	v_and_b32_e32 v223, 0xf0f0f0f, v228
	v_and_b32_e32 v228, 0xf0f0f0f, v227
	v_cvt_f32_f16_e64 v227, v243
	v_cvt_f32_i32_e32 v243, v224
	v_cvt_f32_i32_e32 v247, v247
	v_and_b32_e32 v221, 0xf0f0f0f, v232
	v_lshrrev_b32_e32 v232, 4, v232
	v_and_b32_e32 v225, 0xf0f0f0f, v244
	v_fma_f32 v243, v237, v243, v246
	v_dot4_i32_iu8 v244, v230, v28, 0 neg_lo:[1,1,0]
	s_delay_alu instid0(VALU_DEP_4) | instskip(SKIP_1) | instid1(VALU_DEP_4)
	v_and_b32_e32 v224, 0xf0f0f0f, v232
	v_dot4_i32_iu8 v232, v239, v26, 0 neg_lo:[1,1,0]
	v_add_f32_e32 v243, 0, v243
	s_delay_alu instid0(VALU_DEP_4) | instskip(NEXT) | instid1(VALU_DEP_3)
	v_cvt_f32_i32_e32 v244, v244
	v_cvt_f32_i32_e32 v232, v232
	s_delay_alu instid0(VALU_DEP_3) | instskip(SKIP_1) | instid1(VALU_DEP_3)
	v_add_f32_e32 v242, v243, v242
	v_dot4_i32_iu8 v243, v226, v29, 0 neg_lo:[1,1,0]
	v_fma_f32 v232, v237, v232, v246
	s_waitcnt vmcnt(0)
	v_and_b32_e32 v58, 0xf0f0f0f, v241
	v_fmac_f32_e32 v246, v237, v247
	v_mul_f32_e32 v247, v5, v227
	v_dot4_i32_iu8 v250, v221, v33, 0 neg_lo:[1,1,0]
	v_add_f32_e32 v237, v242, v232
	v_cvt_f32_f16_e64 v232, v219
	v_cvt_f32_i32_e32 v219, v243
	v_dot4_i32_iu8 v242, v231, v30, 0 neg_lo:[1,1,0]
	v_fma_f32 v243, v248, v244, v249
	v_add_f32_e32 v237, v237, v246
	v_dot4_i32_iu8 v246, v228, v31, 0 neg_lo:[1,1,0]
	v_fma_f32 v219, v248, v219, v249
	v_cvt_f32_i32_e32 v242, v242
	v_dot4_i32_iu8 v244, v223, v32, 0 neg_lo:[1,1,0]
	v_add_f32_e32 v237, v237, v243
	v_cvt_f32_i32_e32 v246, v246
	v_mul_f32_e32 v243, v4, v222
	v_fma_f32 v242, v248, v242, v249
	v_cvt_f32_i32_e32 v244, v244
	v_add_f32_e32 v219, v237, v219
	v_mul_f32_e32 v247, 0x3e000000, v247
	v_fmac_f32_e32 v249, v248, v246
	v_and_b32_e32 v237, 0xf0f0f0f, v245
	v_dot4_i32_iu8 v245, v225, v34, 0 neg_lo:[1,1,0]
	v_add_f32_e32 v219, v219, v242
	v_cvt_f32_i32_e32 v242, v250
	v_fma_f32 v244, v243, v244, v247
	v_dot4_i32_iu8 v248, v224, v35, 0 neg_lo:[1,1,0]
	v_cvt_f32_i32_e32 v245, v245
	v_add_f32_e32 v219, v219, v249
	v_fma_f32 v242, v243, v242, v247
	v_dot4_i32_iu8 v246, v220, v36, 0 neg_lo:[1,1,0]
	v_mul_f32_e32 v249, v7, v232
	v_cvt_f32_i32_e32 v248, v248
	v_add_f32_e32 v219, v219, v244
	v_fma_f32 v245, v243, v245, v247
	v_mul_f32_e32 v244, v6, v59
	v_cvt_f32_i32_e32 v246, v246
	v_mul_f32_e32 v249, 0x3e000000, v249
	v_add_f32_e32 v219, v219, v242
	v_dot4_i32_iu8 v242, v58, v37, 0 neg_lo:[1,1,0]
	v_fmac_f32_e32 v247, v243, v248
	v_lshrrev_b32_e32 v241, 4, v241
	v_dot4_i32_iu8 v243, v237, v38, 0 neg_lo:[1,1,0]
	v_add_f32_e32 v219, v219, v245
	v_cvt_f32_i32_e32 v242, v242
	v_fma_f32 v245, v244, v246, v249
	v_and_b32_e32 v241, 0xf0f0f0f, v241
	v_cvt_f32_i32_e32 v243, v243
	v_add_f32_e32 v219, v219, v247
	v_fma_f32 v242, v244, v242, v249
	s_delay_alu instid0(VALU_DEP_3) | instskip(NEXT) | instid1(VALU_DEP_3)
	v_fma_f32 v243, v244, v243, v249
	v_add_f32_e32 v219, v219, v245
	v_dot4_i32_iu8 v245, v241, v39, 0 neg_lo:[1,1,0]
	s_delay_alu instid0(VALU_DEP_2) | instskip(NEXT) | instid1(VALU_DEP_2)
	v_add_f32_e32 v219, v219, v242
	v_cvt_f32_i32_e32 v242, v245
	s_delay_alu instid0(VALU_DEP_2) | instskip(NEXT) | instid1(VALU_DEP_2)
	v_add_f32_e32 v219, v219, v243
	v_fmac_f32_e32 v249, v244, v242
	s_delay_alu instid0(VALU_DEP_1) | instskip(SKIP_3) | instid1(VALU_DEP_1)
	v_add_f32_e32 v219, v219, v249
	ds_bpermute_b32 v242, v71, v219
	s_waitcnt lgkmcnt(0)
	v_add_f32_e32 v219, v219, v242
                                        ; implicit-def: $vgpr242
	v_cmp_ngt_f32_e64 s4, 0x3f200000, |v219|
	s_delay_alu instid0(VALU_DEP_1) | instskip(NEXT) | instid1(SALU_CYCLE_1)
	s_and_saveexec_b32 s19, s4
	s_xor_b32 s4, exec_lo, s19
	s_cbranch_execz .LBB22_31
; %bb.30:                               ;   in Loop: Header=BB22_17 Depth=1
	v_add_f32_e64 v242, |v219|, |v219|
	s_delay_alu instid0(VALU_DEP_1) | instskip(SKIP_1) | instid1(VALU_DEP_2)
	v_mul_f32_e32 v243, 0x3fb8aa3b, v242
	v_cmp_ngt_f32_e32 vcc_lo, 0xc2ce8ed0, v242
	v_rndne_f32_e32 v244, v243
	v_fma_f32 v245, 0x3fb8aa3b, v242, -v243
	s_delay_alu instid0(VALU_DEP_2) | instskip(NEXT) | instid1(VALU_DEP_2)
	v_sub_f32_e32 v243, v243, v244
	v_fmac_f32_e32 v245, 0x32a5705f, v242
	v_cvt_i32_f32_e32 v244, v244
	s_delay_alu instid0(VALU_DEP_2) | instskip(NEXT) | instid1(VALU_DEP_1)
	v_add_f32_e32 v243, v243, v245
	v_exp_f32_e32 v243, v243
	s_waitcnt_depctr 0xfff
	v_ldexp_f32 v243, v243, v244
	s_delay_alu instid0(VALU_DEP_1) | instskip(SKIP_1) | instid1(VALU_DEP_2)
	v_cndmask_b32_e32 v243, 0, v243, vcc_lo
	v_cmp_nlt_f32_e32 vcc_lo, 0x42b17218, v242
	v_cndmask_b32_e32 v242, 0x7f800000, v243, vcc_lo
	s_delay_alu instid0(VALU_DEP_1) | instskip(NEXT) | instid1(VALU_DEP_1)
	v_add_f32_e32 v242, 1.0, v242
	v_rcp_f32_e32 v242, v242
	s_waitcnt_depctr 0xfff
	v_fma_f32 v242, v242, -2.0, 1.0
.LBB22_31:                              ;   in Loop: Header=BB22_17 Depth=1
	s_and_not1_saveexec_b32 s4, s4
; %bb.32:                               ;   in Loop: Header=BB22_17 Depth=1
	v_mul_f32_e32 v242, v219, v219
	s_delay_alu instid0(VALU_DEP_1) | instskip(NEXT) | instid1(VALU_DEP_1)
	v_fmaak_f32 v243, s18, v242, 0x3ca908c9
	v_fmaak_f32 v243, v242, v243, 0xbd5c1c4e
	s_delay_alu instid0(VALU_DEP_1) | instskip(NEXT) | instid1(VALU_DEP_1)
	v_fmaak_f32 v243, v242, v243, 0x3e088382
	v_fmaak_f32 v243, v242, v243, 0xbeaaaa99
	s_delay_alu instid0(VALU_DEP_1) | instskip(NEXT) | instid1(VALU_DEP_1)
	v_mul_f32_e64 v243, |v219|, v243
	v_fma_f32 v242, v242, v243, |v219|
; %bb.33:                               ;   in Loop: Header=BB22_17 Depth=1
	s_or_b32 exec_lo, exec_lo, s4
	s_delay_alu instid0(VALU_DEP_1) | instskip(SKIP_1) | instid1(VALU_DEP_1)
	v_bfi_b32 v219, 0x7fffffff, v242, v219
	s_and_not1_b32 vcc_lo, exec_lo, s7
	v_mul_f32_e32 v219, s37, v219
	s_cbranch_vccnz .LBB22_35
; %bb.34:                               ;   in Loop: Header=BB22_17 Depth=1
	v_add_co_u32 v242, vcc_lo, v79, s13
	v_add_co_ci_u32_e32 v243, vcc_lo, s5, v80, vcc_lo
	global_load_u16 v242, v[242:243], off
	s_waitcnt vmcnt(0)
	v_fma_mix_f32 v219, v67, v242, v219 op_sel_hi:[0,1,0]
.LBB22_35:                              ;   in Loop: Header=BB22_17 Depth=1
	v_dot4_i32_iu8 v236, v236, v40, 0 neg_lo:[1,1,0]
	v_dual_mul_f32 v240, v9, v240 :: v_dual_mul_f32 v235, v8, v235
	v_dot4_i32_iu8 v233, v233, v41, 0 neg_lo:[1,1,0]
	v_dot4_i32_iu8 v239, v239, v42, 0 neg_lo:[1,1,0]
	s_delay_alu instid0(VALU_DEP_4) | instskip(NEXT) | instid1(VALU_DEP_4)
	v_cvt_f32_i32_e32 v236, v236
	v_dual_mul_f32 v240, 0x3e000000, v240 :: v_dual_mul_f32 v229, v10, v229
	s_delay_alu instid0(VALU_DEP_4) | instskip(NEXT) | instid1(VALU_DEP_4)
	v_cvt_f32_i32_e32 v233, v233
	v_cvt_f32_i32_e32 v239, v239
	v_dot4_i32_iu8 v238, v238, v43, 0 neg_lo:[1,1,0]
	s_delay_alu instid0(VALU_DEP_4)
	v_fma_f32 v236, v235, v236, v240
	v_dot4_i32_iu8 v230, v230, v44, 0 neg_lo:[1,1,0]
	v_fma_f32 v233, v235, v233, v240
	v_fma_f32 v239, v235, v239, v240
	v_cvt_f32_i32_e32 v238, v238
	v_add_f32_e32 v236, 0, v236
	v_mul_f32_e32 v234, v11, v234
	v_dot4_i32_iu8 v226, v226, v45, 0 neg_lo:[1,1,0]
	v_cvt_f32_i32_e32 v230, v230
	v_dual_fmac_f32 v240, v235, v238 :: v_dual_mul_f32 v227, v13, v227
	v_add_f32_e32 v233, v236, v233
	v_dot4_i32_iu8 v231, v231, v46, 0 neg_lo:[1,1,0]
	v_cvt_f32_i32_e32 v226, v226
	v_dot4_i32_iu8 v228, v228, v47, 0 neg_lo:[1,1,0]
	v_dot4_i32_iu8 v223, v223, v48, 0 neg_lo:[1,1,0]
	v_dual_add_f32 v233, v233, v239 :: v_dual_mul_f32 v234, 0x3e000000, v234
	v_cvt_f32_i32_e32 v231, v231
	s_delay_alu instid0(VALU_DEP_4) | instskip(SKIP_1) | instid1(VALU_DEP_4)
	v_cvt_f32_i32_e32 v228, v228
	v_dot4_i32_iu8 v221, v221, v49, 0 neg_lo:[1,1,0]
	v_add_f32_e32 v233, v233, v240
	v_fma_f32 v230, v229, v230, v234
	v_fma_f32 v226, v229, v226, v234
	;; [unrolled: 1-line block ×3, first 2 shown]
	v_dual_mul_f32 v227, 0x3e000000, v227 :: v_dual_fmac_f32 v234, v229, v228
	s_delay_alu instid0(VALU_DEP_4)
	v_dual_mul_f32 v59, v14, v59 :: v_dual_add_f32 v230, v233, v230
	v_cvt_f32_i32_e32 v223, v223
	v_dot4_i32_iu8 v225, v225, v50, 0 neg_lo:[1,1,0]
	v_cvt_f32_i32_e32 v221, v221
	v_dot4_i32_iu8 v224, v224, v51, 0 neg_lo:[1,1,0]
	v_add_f32_e32 v226, v230, v226
	v_dot4_i32_iu8 v220, v220, v52, 0 neg_lo:[1,1,0]
	v_cvt_f32_i32_e32 v225, v225
	v_dot4_i32_iu8 v58, v58, v53, 0 neg_lo:[1,1,0]
	v_cvt_f32_i32_e32 v224, v224
	v_add_f32_e32 v226, v226, v231
	v_cvt_f32_i32_e32 v220, v220
	s_delay_alu instid0(VALU_DEP_4) | instskip(NEXT) | instid1(VALU_DEP_3)
	v_cvt_f32_i32_e32 v58, v58
	v_add_f32_e32 v226, v226, v234
	v_mul_f32_e32 v222, v12, v222
	s_delay_alu instid0(VALU_DEP_1) | instskip(NEXT) | instid1(VALU_DEP_1)
	v_fma_f32 v223, v222, v223, v227
	v_add_f32_e32 v223, v226, v223
	v_fma_f32 v221, v222, v221, v227
	v_fma_f32 v225, v222, v225, v227
	v_mul_f32_e32 v226, v15, v232
	v_fmac_f32_e32 v227, v222, v224
	v_dot4_i32_iu8 v222, v237, v54, 0 neg_lo:[1,1,0]
	v_add_f32_e32 v221, v223, v221
	s_delay_alu instid0(VALU_DEP_2) | instskip(NEXT) | instid1(VALU_DEP_2)
	v_cvt_f32_i32_e32 v222, v222
	v_add_f32_e32 v221, v221, v225
	s_delay_alu instid0(VALU_DEP_1) | instskip(SKIP_1) | instid1(VALU_DEP_1)
	v_add_f32_e32 v221, v221, v227
	v_mul_f32_e32 v223, 0x3e000000, v226
	v_fma_f32 v220, v59, v220, v223
	s_delay_alu instid0(VALU_DEP_1) | instskip(SKIP_3) | instid1(VALU_DEP_3)
	v_add_f32_e32 v220, v221, v220
	v_fma_f32 v58, v59, v58, v223
	v_dot4_i32_iu8 v221, v241, v55, 0 neg_lo:[1,1,0]
	v_fma_f32 v222, v59, v222, v223
	v_add_f32_e32 v58, v220, v58
	s_delay_alu instid0(VALU_DEP_3) | instskip(NEXT) | instid1(VALU_DEP_1)
	v_cvt_f32_i32_e32 v220, v221
	v_dual_add_f32 v58, v58, v222 :: v_dual_fmac_f32 v223, v59, v220
	s_delay_alu instid0(VALU_DEP_1) | instskip(SKIP_3) | instid1(VALU_DEP_1)
	v_add_f32_e32 v58, v58, v223
	ds_bpermute_b32 v59, v71, v58
	s_waitcnt lgkmcnt(0)
	v_add_f32_e32 v58, v58, v59
                                        ; implicit-def: $vgpr59
	v_cmp_ngt_f32_e64 s4, 0x3f200000, |v58|
	s_delay_alu instid0(VALU_DEP_1) | instskip(NEXT) | instid1(SALU_CYCLE_1)
	s_and_saveexec_b32 s19, s4
	s_xor_b32 s4, exec_lo, s19
	s_cbranch_execz .LBB22_37
; %bb.36:                               ;   in Loop: Header=BB22_17 Depth=1
	v_add_f32_e64 v59, |v58|, |v58|
	s_delay_alu instid0(VALU_DEP_1) | instskip(SKIP_1) | instid1(VALU_DEP_2)
	v_mul_f32_e32 v220, 0x3fb8aa3b, v59
	v_cmp_ngt_f32_e32 vcc_lo, 0xc2ce8ed0, v59
	v_rndne_f32_e32 v221, v220
	v_fma_f32 v222, 0x3fb8aa3b, v59, -v220
	s_delay_alu instid0(VALU_DEP_2) | instskip(NEXT) | instid1(VALU_DEP_2)
	v_sub_f32_e32 v220, v220, v221
	v_fmac_f32_e32 v222, 0x32a5705f, v59
	v_cvt_i32_f32_e32 v221, v221
	s_delay_alu instid0(VALU_DEP_2) | instskip(NEXT) | instid1(VALU_DEP_1)
	v_add_f32_e32 v220, v220, v222
	v_exp_f32_e32 v220, v220
	s_waitcnt_depctr 0xfff
	v_ldexp_f32 v220, v220, v221
	s_delay_alu instid0(VALU_DEP_1) | instskip(SKIP_1) | instid1(VALU_DEP_2)
	v_cndmask_b32_e32 v220, 0, v220, vcc_lo
	v_cmp_nlt_f32_e32 vcc_lo, 0x42b17218, v59
	v_cndmask_b32_e32 v59, 0x7f800000, v220, vcc_lo
	s_delay_alu instid0(VALU_DEP_1) | instskip(NEXT) | instid1(VALU_DEP_1)
	v_add_f32_e32 v59, 1.0, v59
	v_rcp_f32_e32 v59, v59
	s_waitcnt_depctr 0xfff
	v_fma_f32 v59, v59, -2.0, 1.0
.LBB22_37:                              ;   in Loop: Header=BB22_17 Depth=1
	s_and_not1_saveexec_b32 s4, s4
; %bb.38:                               ;   in Loop: Header=BB22_17 Depth=1
	v_mul_f32_e32 v59, v58, v58
	s_delay_alu instid0(VALU_DEP_1) | instskip(NEXT) | instid1(VALU_DEP_1)
	v_fmaak_f32 v220, s18, v59, 0x3ca908c9
	v_fmaak_f32 v220, v59, v220, 0xbd5c1c4e
	s_delay_alu instid0(VALU_DEP_1) | instskip(NEXT) | instid1(VALU_DEP_1)
	v_fmaak_f32 v220, v59, v220, 0x3e088382
	v_fmaak_f32 v220, v59, v220, 0xbeaaaa99
	s_delay_alu instid0(VALU_DEP_1) | instskip(NEXT) | instid1(VALU_DEP_1)
	v_mul_f32_e64 v220, |v58|, v220
	v_fma_f32 v59, v59, v220, |v58|
; %bb.39:                               ;   in Loop: Header=BB22_17 Depth=1
	s_or_b32 exec_lo, exec_lo, s4
	s_delay_alu instid0(VALU_DEP_1) | instskip(SKIP_1) | instid1(VALU_DEP_1)
	v_bfi_b32 v58, 0x7fffffff, v59, v58
	s_and_not1_b32 vcc_lo, exec_lo, s27
	v_mul_f32_e32 v220, s37, v58
	s_cbranch_vccnz .LBB22_41
; %bb.40:                               ;   in Loop: Header=BB22_17 Depth=1
	v_add_co_u32 v58, vcc_lo, v85, s13
	v_add_co_ci_u32_e32 v59, vcc_lo, s5, v86, vcc_lo
	global_load_u16 v58, v[58:59], off
	s_waitcnt vmcnt(0)
	v_fma_mix_f32 v220, v67, v58, v220 op_sel_hi:[0,1,0]
.LBB22_41:                              ;   in Loop: Header=BB22_17 Depth=1
	v_dual_add_f32 v58, 0x40051340, v22 :: v_dual_add_f32 v59, 0x40051340, v219
	s_delay_alu instid0(VALU_DEP_2) | instskip(SKIP_2) | instid1(VALU_DEP_3)
	v_add_f32_e32 v221, 0x40051340, v220
	v_cndmask_b32_e64 v22, v218, v22, s1
	s_add_i32 s8, s8, s10
	v_max3_f32 v58, v21, v58, v59
	v_add_f32_e32 v59, 0x40051340, v23
	s_delay_alu instid0(VALU_DEP_3) | instskip(SKIP_2) | instid1(VALU_DEP_3)
	v_cndmask_b32_e64 v22, v219, v22, s1
	v_cndmask_b32_e64 v23, v220, v23, s1
	s_cmp_ge_i32 s8, s36
	v_max3_f32 v59, v20, v59, v221
	ds_bpermute_b32 v221, v72, v58
	s_waitcnt lgkmcnt(0)
	v_max_f32_e32 v221, v221, v221
	s_delay_alu instid0(VALU_DEP_1) | instskip(SKIP_3) | instid1(VALU_DEP_1)
	v_max_f32_e32 v58, v58, v221
	ds_bpermute_b32 v221, v72, v59
	s_waitcnt lgkmcnt(0)
	v_max_f32_e32 v221, v221, v221
	v_max_f32_e32 v59, v59, v221
	ds_bpermute_b32 v221, v73, v58
	s_waitcnt lgkmcnt(0)
	v_max_f32_e32 v221, v221, v221
	s_delay_alu instid0(VALU_DEP_1) | instskip(SKIP_3) | instid1(VALU_DEP_1)
	v_max_f32_e32 v58, v58, v221
	ds_bpermute_b32 v221, v73, v59
	s_waitcnt lgkmcnt(0)
	v_max_f32_e32 v221, v221, v221
	v_max_f32_e32 v59, v59, v221
	ds_bpermute_b32 v221, v74, v58
	s_waitcnt lgkmcnt(0)
	v_max_f32_e32 v221, v221, v221
	s_delay_alu instid0(VALU_DEP_1) | instskip(SKIP_3) | instid1(VALU_DEP_1)
	v_max_f32_e32 v58, v58, v221
	ds_bpermute_b32 v221, v74, v59
	s_waitcnt lgkmcnt(0)
	v_max_f32_e32 v221, v221, v221
	v_max_f32_e32 v59, v59, v221
	ds_bpermute_b32 v221, v75, v58
	ds_bpermute_b32 v222, v75, v59
	s_waitcnt lgkmcnt(0)
	v_dual_max_f32 v221, v221, v221 :: v_dual_max_f32 v222, v222, v222
	s_delay_alu instid0(VALU_DEP_1) | instskip(SKIP_1) | instid1(VALU_DEP_3)
	v_max_f32_e32 v58, v58, v221
	v_add_co_u32 v221, vcc_lo, v89, s9
	v_max_f32_e32 v59, v59, v222
	v_add_co_ci_u32_e32 v222, vcc_lo, 0, v90, vcc_lo
	s_delay_alu instid0(VALU_DEP_4) | instskip(NEXT) | instid1(VALU_DEP_3)
	v_sub_f32_e32 v21, v21, v58
	v_dual_sub_f32 v22, v22, v58 :: v_dual_sub_f32 v23, v23, v59
	global_load_b32 v223, v[221:222], off
	v_add_co_u32 v221, vcc_lo, v87, s9
	v_add_co_ci_u32_e32 v222, vcc_lo, 0, v88, vcc_lo
	v_mul_f32_e32 v218, 0x3fb8aa3b, v21
	v_cmp_ngt_f32_e64 s4, 0xc2ce8ed0, v22
	v_cmp_ngt_f32_e32 vcc_lo, 0xc2ce8ed0, v23
	global_load_b32 v224, v[221:222], off
	v_fma_f32 v219, 0x3fb8aa3b, v21, -v218
	v_rndne_f32_e32 v220, v218
	s_delay_alu instid0(VALU_DEP_1) | instskip(SKIP_1) | instid1(VALU_DEP_2)
	v_dual_fmac_f32 v219, 0x32a5705f, v21 :: v_dual_sub_f32 v218, v218, v220
	v_cvt_i32_f32_e32 v220, v220
	v_dual_add_f32 v218, v218, v219 :: v_dual_mul_f32 v219, 0x3fb8aa3b, v22
	s_delay_alu instid0(VALU_DEP_1) | instskip(NEXT) | instid1(VALU_DEP_1)
	v_exp_f32_e32 v218, v218
	v_fma_f32 v221, 0x3fb8aa3b, v22, -v219
	v_rndne_f32_e32 v222, v219
	s_delay_alu instid0(VALU_DEP_2) | instskip(NEXT) | instid1(VALU_DEP_2)
	v_fmac_f32_e32 v221, 0x32a5705f, v22
	v_sub_f32_e32 v219, v219, v222
	s_waitcnt_depctr 0xfff
	v_ldexp_f32 v220, v218, v220
	v_add_f32_e32 v219, v219, v221
	v_sub_f32_e32 v221, v20, v59
	s_delay_alu instid0(VALU_DEP_2) | instskip(NEXT) | instid1(VALU_DEP_1)
	v_exp_f32_e32 v218, v219
	v_mul_f32_e32 v20, 0x3fb8aa3b, v221
	v_cvt_i32_f32_e32 v219, v222
	s_delay_alu instid0(VALU_DEP_2) | instskip(SKIP_4) | instid1(VALU_DEP_2)
	v_fma_f32 v225, 0x3fb8aa3b, v221, -v20
	v_rndne_f32_e32 v226, v20
	s_waitcnt_depctr 0xfff
	v_ldexp_f32 v218, v218, v219
	v_dual_fmac_f32 v225, 0x32a5705f, v221 :: v_dual_sub_f32 v20, v20, v226
	v_cndmask_b32_e64 v218, 0, v218, s4
	v_cmp_nlt_f32_e64 s4, 0x42b17218, v22
	s_delay_alu instid0(VALU_DEP_3) | instskip(NEXT) | instid1(VALU_DEP_2)
	v_dual_add_f32 v20, v20, v225 :: v_dual_mul_f32 v225, 0x3fb8aa3b, v23
	v_cndmask_b32_e64 v218, 0x7f800000, v218, s4
	s_delay_alu instid0(VALU_DEP_2) | instskip(NEXT) | instid1(VALU_DEP_2)
	v_exp_f32_e32 v20, v20
	v_fma_f32 v227, 0x3fb8aa3b, v23, -v225
	v_rndne_f32_e32 v228, v225
	s_delay_alu instid0(VALU_DEP_2) | instskip(NEXT) | instid1(VALU_DEP_2)
	v_fmac_f32_e32 v227, 0x32a5705f, v23
	v_sub_f32_e32 v225, v225, v228
	v_cvt_i32_f32_e32 v222, v228
	s_delay_alu instid0(VALU_DEP_2) | instskip(NEXT) | instid1(VALU_DEP_1)
	v_add_f32_e32 v225, v225, v227
	v_exp_f32_e32 v219, v225
	s_waitcnt_depctr 0xfff
	v_ldexp_f32 v219, v219, v222
	v_cvt_i32_f32_e32 v222, v226
	s_delay_alu instid0(VALU_DEP_1) | instskip(NEXT) | instid1(VALU_DEP_3)
	v_ldexp_f32 v222, v20, v222
	v_cndmask_b32_e32 v20, 0, v219, vcc_lo
	v_cmp_nlt_f32_e32 vcc_lo, 0x42b17218, v23
	s_waitcnt vmcnt(1)
	v_ashrrev_i32_e32 v23, v217, v223
	s_delay_alu instid0(VALU_DEP_1) | instskip(SKIP_1) | instid1(VALU_DEP_2)
	v_lshrrev_b32_e32 v219, 8, v23
	v_and_b32_e32 v223, 15, v23
	v_and_b32_e32 v219, 15, v219
	s_delay_alu instid0(VALU_DEP_2) | instskip(NEXT) | instid1(VALU_DEP_2)
	v_cvt_f16_u16_e64 v223, v223
	v_cvt_f16_u16_e64 v219, v219
	s_delay_alu instid0(VALU_DEP_1) | instskip(SKIP_3) | instid1(VALU_DEP_3)
	v_pack_b32_f16 v223, v223, v219
	v_lshrrev_b32_e32 v219, 16, v23
	v_bfe_u32 v23, v23, 24, 4
	s_waitcnt vmcnt(0)
	v_pk_fma_f16 v223, v224, v223, v224 op_sel:[0,0,1] op_sel_hi:[0,1,1]
	s_delay_alu instid0(VALU_DEP_3) | instskip(NEXT) | instid1(VALU_DEP_3)
	v_and_b32_e32 v219, 15, v219
	v_cvt_f16_u16_e32 v23, v23
	s_delay_alu instid0(VALU_DEP_2) | instskip(NEXT) | instid1(VALU_DEP_1)
	v_cvt_f16_u16_e64 v219, v219
	v_pack_b32_f16 v23, v219, v23
	v_cndmask_b32_e32 v219, 0x7f800000, v20, vcc_lo
	v_cvt_f16_f32_e64 v20, v218
	v_cmp_ngt_f32_e32 vcc_lo, 0xc2ce8ed0, v21
	s_delay_alu instid0(VALU_DEP_4) | instskip(NEXT) | instid1(VALU_DEP_4)
	v_pk_fma_f16 v224, v224, v23, v224 op_sel:[0,0,1] op_sel_hi:[0,1,1]
	v_cvt_f16_f32_e64 v22, v219
	ds_store_b16 v64, v20
	ds_store_b16 v64, v22 offset:256
	v_cndmask_b32_e32 v20, 0, v220, vcc_lo
	v_cmp_nlt_f32_e32 vcc_lo, 0x42b17218, v21
	s_delay_alu instid0(VALU_DEP_2)
	v_cndmask_b32_e32 v220, 0x7f800000, v20, vcc_lo
	ds_load_b128 v[20:23], v76
	ds_load_b128 v[226:229], v76 offset:16
	v_cmp_ngt_f32_e32 vcc_lo, 0xc2ce8ed0, v221
	v_cvt_f16_f32_e64 v225, v220
	v_fma_f32 v56, v56, v220, v218
	s_waitcnt lgkmcnt(1)
	v_pk_mul_f16 v230, v223, v20 op_sel_hi:[1,0]
	s_delay_alu instid0(VALU_DEP_1) | instskip(SKIP_3) | instid1(VALU_DEP_1)
	v_pk_fma_f16 v238, v225, v16, v230 op_sel_hi:[0,1,1]
	ds_load_b128 v[230:233], v76 offset:256
	ds_load_b128 v[234:237], v76 offset:272
	v_pk_mul_f16 v16, v224, v20 op_sel_hi:[1,0]
	v_pk_fma_f16 v225, v225, v17, v16 op_sel_hi:[0,1,1]
	v_cndmask_b32_e32 v16, 0, v222, vcc_lo
	v_cmp_nlt_f32_e32 vcc_lo, 0x42b17218, v221
	s_delay_alu instid0(VALU_DEP_2) | instskip(NEXT) | instid1(VALU_DEP_1)
	v_cndmask_b32_e32 v221, 0x7f800000, v16, vcc_lo
	v_cvt_f16_f32_e64 v222, v221
	s_waitcnt lgkmcnt(1)
	v_pk_mul_f16 v16, v223, v230 op_sel_hi:[1,0]
	v_pk_mul_f16 v17, v224, v230 op_sel_hi:[1,0]
	s_delay_alu instid0(VALU_DEP_2) | instskip(SKIP_1) | instid1(VALU_DEP_3)
	v_pk_fma_f16 v18, v222, v18, v16 op_sel_hi:[0,1,1]
	v_add_co_u32 v16, vcc_lo, v213, s9
	v_pk_fma_f16 v19, v222, v19, v17 op_sel_hi:[0,1,1]
	v_add_co_ci_u32_e32 v17, vcc_lo, 0, v214, vcc_lo
	global_load_b32 v222, v[16:17], off
	v_add_co_u32 v16, vcc_lo, v209, s9
	v_add_co_ci_u32_e32 v17, vcc_lo, 0, v210, vcc_lo
	global_load_b32 v223, v[16:17], off
	v_add_co_u32 v16, vcc_lo, v205, s9
	;; [unrolled: 3-line block ×13, first 2 shown]
	v_add_co_ci_u32_e32 v17, vcc_lo, 0, v192, vcc_lo
	global_load_b32 v16, v[16:17], off
	s_waitcnt vmcnt(13)
	v_ashrrev_i32_e32 v17, v217, v222
	s_delay_alu instid0(VALU_DEP_1) | instskip(SKIP_3) | instid1(VALU_DEP_3)
	v_lshrrev_b32_e32 v222, 8, v17
	v_and_b32_e32 v249, 15, v17
	s_waitcnt vmcnt(12)
	v_ashrrev_i32_e32 v223, v217, v223
	v_and_b32_e32 v222, 15, v222
	s_delay_alu instid0(VALU_DEP_3) | instskip(NEXT) | instid1(VALU_DEP_3)
	v_cvt_f16_u16_e64 v249, v249
	v_and_b32_e32 v250, 15, v223
	s_delay_alu instid0(VALU_DEP_3) | instskip(SKIP_2) | instid1(VALU_DEP_3)
	v_cvt_f16_u16_e64 v222, v222
	s_waitcnt vmcnt(11)
	v_ashrrev_i32_e32 v224, v217, v224
	v_cvt_f16_u16_e64 v250, v250
	s_delay_alu instid0(VALU_DEP_3)
	v_pack_b32_f16 v222, v249, v222
	v_lshrrev_b32_e32 v249, 16, v17
	v_bfe_u32 v17, v17, 24, 4
	v_and_b32_e32 v251, 15, v224
	s_waitcnt vmcnt(10)
	v_ashrrev_i32_e32 v239, v217, v239
	v_and_b32_e32 v249, 15, v249
	v_cvt_f16_u16_e32 v17, v17
	v_cvt_f16_u16_e64 v251, v251
	s_delay_alu instid0(VALU_DEP_4) | instskip(NEXT) | instid1(VALU_DEP_4)
	v_and_b32_e32 v252, 15, v239
	v_cvt_f16_u16_e64 v249, v249
	s_waitcnt vmcnt(9)
	v_ashrrev_i32_e32 v240, v217, v240
	s_delay_alu instid0(VALU_DEP_3) | instskip(NEXT) | instid1(VALU_DEP_3)
	v_cvt_f16_u16_e64 v252, v252
	v_pack_b32_f16 v17, v249, v17
	v_lshrrev_b32_e32 v249, 8, v223
	s_delay_alu instid0(VALU_DEP_4) | instskip(SKIP_2) | instid1(VALU_DEP_3)
	v_and_b32_e32 v253, 15, v240
	s_waitcnt vmcnt(8)
	v_ashrrev_i32_e32 v241, v217, v241
	v_and_b32_e32 v249, 15, v249
	s_delay_alu instid0(VALU_DEP_3) | instskip(NEXT) | instid1(VALU_DEP_3)
	v_cvt_f16_u16_e64 v253, v253
	v_and_b32_e32 v254, 15, v241
	s_delay_alu instid0(VALU_DEP_3)
	v_cvt_f16_u16_e64 v249, v249
	s_waitcnt vmcnt(7)
	v_pk_fma_f16 v222, v242, v222, v242 op_sel:[0,0,1] op_sel_hi:[0,1,1]
	v_pk_fma_f16 v17, v242, v17, v242 op_sel:[0,0,1] op_sel_hi:[0,1,1]
	v_cvt_f16_u16_e64 v254, v254
	v_pack_b32_f16 v249, v250, v249
	v_lshrrev_b32_e32 v250, 16, v223
	v_bfe_u32 v223, v223, 24, 4
	v_pk_fma_f16 v238, v222, v20, v238 op_sel:[0,1,0]
	s_waitcnt vmcnt(6)
	v_ashrrev_i32_e32 v243, v217, v243
	v_pk_fma_f16 v20, v17, v20, v225 op_sel:[0,1,0]
	v_and_b32_e32 v250, 15, v250
	v_cvt_f16_u16_e64 v223, v223
	v_pk_fma_f16 v17, v17, v230, v19 op_sel:[0,1,0]
	v_and_b32_e32 v255, 15, v243
	v_pk_fma_f16 v18, v222, v230, v18 op_sel:[0,1,0]
	v_cvt_f16_u16_e64 v250, v250
	s_waitcnt vmcnt(5)
	v_pk_fma_f16 v242, v244, v249, v244 op_sel:[0,0,1] op_sel_hi:[0,1,1]
	v_cvt_f16_u16_e64 v255, v255
	s_delay_alu instid0(VALU_DEP_3) | instskip(SKIP_1) | instid1(VALU_DEP_4)
	v_pack_b32_f16 v223, v250, v223
	v_lshrrev_b32_e32 v250, 8, v224
	v_pk_fma_f16 v225, v242, v21, v238 op_sel_hi:[1,0,1]
	v_pk_fma_f16 v18, v242, v231, v18 op_sel_hi:[1,0,1]
	s_delay_alu instid0(VALU_DEP_4) | instskip(NEXT) | instid1(VALU_DEP_4)
	v_pk_fma_f16 v223, v244, v223, v244 op_sel:[0,0,1] op_sel_hi:[0,1,1]
	v_and_b32_e32 v250, 15, v250
	s_delay_alu instid0(VALU_DEP_2) | instskip(NEXT) | instid1(VALU_DEP_2)
	v_pk_fma_f16 v20, v223, v21, v20 op_sel_hi:[1,0,1]
	v_cvt_f16_u16_e64 v250, v250
	v_pk_fma_f16 v17, v223, v231, v17 op_sel_hi:[1,0,1]
	s_delay_alu instid0(VALU_DEP_2) | instskip(SKIP_3) | instid1(VALU_DEP_3)
	v_pack_b32_f16 v250, v251, v250
	v_lshrrev_b32_e32 v251, 16, v224
	v_bfe_u32 v224, v224, 24, 4
	s_waitcnt vmcnt(4)
	v_pk_fma_f16 v244, v245, v250, v245 op_sel:[0,0,1] op_sel_hi:[0,1,1]
	s_delay_alu instid0(VALU_DEP_3) | instskip(NEXT) | instid1(VALU_DEP_3)
	v_and_b32_e32 v251, 15, v251
	v_cvt_f16_u16_e64 v224, v224
	s_delay_alu instid0(VALU_DEP_3) | instskip(NEXT) | instid1(VALU_DEP_3)
	v_pk_fma_f16 v225, v244, v21, v225 op_sel:[0,1,0]
	v_cvt_f16_u16_e64 v251, v251
	v_pk_fma_f16 v18, v244, v231, v18 op_sel:[0,1,0]
	s_delay_alu instid0(VALU_DEP_2) | instskip(SKIP_1) | instid1(VALU_DEP_2)
	v_pack_b32_f16 v224, v251, v224
	v_lshrrev_b32_e32 v251, 8, v239
	v_pk_fma_f16 v224, v245, v224, v245 op_sel:[0,0,1] op_sel_hi:[0,1,1]
	s_delay_alu instid0(VALU_DEP_2) | instskip(NEXT) | instid1(VALU_DEP_2)
	v_and_b32_e32 v251, 15, v251
	v_pk_fma_f16 v20, v224, v21, v20 op_sel:[0,1,0]
	s_delay_alu instid0(VALU_DEP_2) | instskip(SKIP_1) | instid1(VALU_DEP_2)
	v_cvt_f16_u16_e64 v251, v251
	v_pk_fma_f16 v17, v224, v231, v17 op_sel:[0,1,0]
	v_pack_b32_f16 v251, v252, v251
	v_lshrrev_b32_e32 v252, 16, v239
	v_bfe_u32 v239, v239, 24, 4
	s_waitcnt vmcnt(3)
	s_delay_alu instid0(VALU_DEP_3) | instskip(NEXT) | instid1(VALU_DEP_3)
	v_pk_fma_f16 v245, v246, v251, v246 op_sel:[0,0,1] op_sel_hi:[0,1,1]
	v_and_b32_e32 v252, 15, v252
	s_delay_alu instid0(VALU_DEP_3) | instskip(NEXT) | instid1(VALU_DEP_3)
	v_cvt_f16_u16_e64 v239, v239
	v_pk_fma_f16 v21, v245, v22, v225 op_sel_hi:[1,0,1]
	s_delay_alu instid0(VALU_DEP_3) | instskip(SKIP_1) | instid1(VALU_DEP_2)
	v_cvt_f16_u16_e64 v252, v252
	v_pk_fma_f16 v18, v245, v232, v18 op_sel_hi:[1,0,1]
	v_pack_b32_f16 v239, v252, v239
	v_lshrrev_b32_e32 v252, 8, v240
	s_delay_alu instid0(VALU_DEP_2) | instskip(NEXT) | instid1(VALU_DEP_2)
	v_pk_fma_f16 v239, v246, v239, v246 op_sel:[0,0,1] op_sel_hi:[0,1,1]
	v_and_b32_e32 v252, 15, v252
	s_delay_alu instid0(VALU_DEP_2) | instskip(NEXT) | instid1(VALU_DEP_2)
	v_pk_fma_f16 v20, v239, v22, v20 op_sel_hi:[1,0,1]
	v_cvt_f16_u16_e64 v252, v252
	v_pk_fma_f16 v17, v239, v232, v17 op_sel_hi:[1,0,1]
	s_delay_alu instid0(VALU_DEP_2) | instskip(SKIP_3) | instid1(VALU_DEP_3)
	v_pack_b32_f16 v252, v253, v252
	v_lshrrev_b32_e32 v253, 16, v240
	v_bfe_u32 v240, v240, 24, 4
	s_waitcnt vmcnt(2)
	v_pk_fma_f16 v246, v247, v252, v247 op_sel:[0,0,1] op_sel_hi:[0,1,1]
	s_delay_alu instid0(VALU_DEP_3) | instskip(NEXT) | instid1(VALU_DEP_3)
	v_and_b32_e32 v253, 15, v253
	v_cvt_f16_u16_e64 v240, v240
	s_delay_alu instid0(VALU_DEP_3) | instskip(NEXT) | instid1(VALU_DEP_3)
	v_pk_fma_f16 v21, v246, v22, v21 op_sel:[0,1,0]
	v_cvt_f16_u16_e64 v253, v253
	v_pk_fma_f16 v18, v246, v232, v18 op_sel:[0,1,0]
	s_delay_alu instid0(VALU_DEP_2) | instskip(SKIP_1) | instid1(VALU_DEP_2)
	v_pack_b32_f16 v240, v253, v240
	v_lshrrev_b32_e32 v253, 8, v241
	v_pk_fma_f16 v240, v247, v240, v247 op_sel:[0,0,1] op_sel_hi:[0,1,1]
	s_delay_alu instid0(VALU_DEP_2) | instskip(NEXT) | instid1(VALU_DEP_2)
	v_and_b32_e32 v253, 15, v253
	v_pk_fma_f16 v20, v240, v22, v20 op_sel:[0,1,0]
	s_delay_alu instid0(VALU_DEP_2) | instskip(SKIP_1) | instid1(VALU_DEP_2)
	v_cvt_f16_u16_e64 v253, v253
	v_pk_fma_f16 v17, v240, v232, v17 op_sel:[0,1,0]
	v_pack_b32_f16 v253, v254, v253
	v_lshrrev_b32_e32 v254, 16, v241
	v_bfe_u32 v241, v241, 24, 4
	s_waitcnt vmcnt(1)
	s_delay_alu instid0(VALU_DEP_3) | instskip(NEXT) | instid1(VALU_DEP_3)
	v_pk_fma_f16 v247, v248, v253, v248 op_sel:[0,0,1] op_sel_hi:[0,1,1]
	v_and_b32_e32 v254, 15, v254
	s_delay_alu instid0(VALU_DEP_3) | instskip(NEXT) | instid1(VALU_DEP_3)
	v_cvt_f16_u16_e64 v241, v241
	v_pk_fma_f16 v21, v247, v23, v21 op_sel_hi:[1,0,1]
	s_delay_alu instid0(VALU_DEP_3) | instskip(SKIP_1) | instid1(VALU_DEP_2)
	v_cvt_f16_u16_e64 v254, v254
	v_pk_fma_f16 v18, v247, v233, v18 op_sel_hi:[1,0,1]
	v_pack_b32_f16 v241, v254, v241
	v_lshrrev_b32_e32 v254, 8, v243
	s_delay_alu instid0(VALU_DEP_2) | instskip(NEXT) | instid1(VALU_DEP_2)
	v_pk_fma_f16 v241, v248, v241, v248 op_sel:[0,0,1] op_sel_hi:[0,1,1]
	v_and_b32_e32 v254, 15, v254
	s_delay_alu instid0(VALU_DEP_2) | instskip(NEXT) | instid1(VALU_DEP_2)
	v_pk_fma_f16 v20, v241, v23, v20 op_sel_hi:[1,0,1]
	v_cvt_f16_u16_e64 v254, v254
	v_pk_fma_f16 v17, v241, v233, v17 op_sel_hi:[1,0,1]
	s_delay_alu instid0(VALU_DEP_2) | instskip(SKIP_3) | instid1(VALU_DEP_3)
	v_pack_b32_f16 v254, v255, v254
	v_lshrrev_b32_e32 v255, 16, v243
	v_bfe_u32 v243, v243, 24, 4
	s_waitcnt vmcnt(0)
	v_pk_fma_f16 v248, v16, v254, v16 op_sel:[0,0,1] op_sel_hi:[0,1,1]
	s_delay_alu instid0(VALU_DEP_3) | instskip(NEXT) | instid1(VALU_DEP_3)
	v_and_b32_e32 v255, 15, v255
	v_cvt_f16_u16_e64 v243, v243
	s_delay_alu instid0(VALU_DEP_3) | instskip(NEXT) | instid1(VALU_DEP_3)
	v_pk_fma_f16 v21, v248, v23, v21 op_sel:[0,1,0]
	v_cvt_f16_u16_e64 v255, v255
	v_pk_fma_f16 v18, v248, v233, v18 op_sel:[0,1,0]
	s_delay_alu instid0(VALU_DEP_2) | instskip(NEXT) | instid1(VALU_DEP_1)
	v_pack_b32_f16 v243, v255, v243
	v_pk_fma_f16 v16, v16, v243, v16 op_sel:[0,0,1] op_sel_hi:[0,1,1]
	s_delay_alu instid0(VALU_DEP_1)
	v_pk_fma_f16 v20, v16, v23, v20 op_sel:[0,1,0]
	v_pk_fma_f16 v19, v16, v233, v17 op_sel:[0,1,0]
	v_add_co_u32 v16, vcc_lo, v185, s9
	v_add_co_ci_u32_e32 v17, vcc_lo, 0, v186, vcc_lo
	global_load_b32 v22, v[16:17], off
	v_add_co_u32 v16, vcc_lo, v181, s9
	v_add_co_ci_u32_e32 v17, vcc_lo, 0, v182, vcc_lo
	global_load_b32 v23, v[16:17], off
	;; [unrolled: 3-line block ×16, first 2 shown]
	s_waitcnt vmcnt(15)
	v_ashrrev_i32_e32 v17, v217, v22
	s_delay_alu instid0(VALU_DEP_1) | instskip(SKIP_3) | instid1(VALU_DEP_3)
	v_lshrrev_b32_e32 v22, 8, v17
	v_and_b32_e32 v243, 15, v17
	s_waitcnt vmcnt(14)
	v_ashrrev_i32_e32 v23, v217, v23
	v_and_b32_e32 v22, 15, v22
	s_delay_alu instid0(VALU_DEP_3) | instskip(NEXT) | instid1(VALU_DEP_3)
	v_cvt_f16_u16_e64 v243, v243
	v_and_b32_e32 v244, 15, v23
	v_fma_f32 v57, v57, v221, v219
	s_delay_alu instid0(VALU_DEP_4) | instskip(NEXT) | instid1(VALU_DEP_3)
	v_cvt_f16_u16_e32 v22, v22
	v_cvt_f16_u16_e64 v244, v244
	s_delay_alu instid0(VALU_DEP_2) | instskip(SKIP_2) | instid1(VALU_DEP_2)
	v_pack_b32_f16 v22, v243, v22
	v_lshrrev_b32_e32 v243, 16, v17
	v_bfe_u32 v17, v17, 24, 4
	v_and_b32_e32 v243, 15, v243
	s_delay_alu instid0(VALU_DEP_2) | instskip(NEXT) | instid1(VALU_DEP_2)
	v_cvt_f16_u16_e32 v17, v17
	v_cvt_f16_u16_e64 v243, v243
	s_delay_alu instid0(VALU_DEP_1) | instskip(SKIP_2) | instid1(VALU_DEP_2)
	v_pack_b32_f16 v17, v243, v17
	v_lshrrev_b32_e32 v243, 8, v23
	s_waitcnt vmcnt(13)
	v_pk_fma_f16 v17, v222, v17, v222 op_sel:[0,0,1] op_sel_hi:[0,1,1]
	s_delay_alu instid0(VALU_DEP_2) | instskip(NEXT) | instid1(VALU_DEP_2)
	v_and_b32_e32 v243, 15, v243
	v_pk_fma_f16 v20, v17, v226, v20 op_sel_hi:[1,0,1]
	s_delay_alu instid0(VALU_DEP_2)
	v_cvt_f16_u16_e64 v243, v243
	s_waitcnt vmcnt(9)
	v_ashrrev_i32_e32 v230, v217, v230
	s_waitcnt lgkmcnt(0)
	v_pk_fma_f16 v17, v17, v234, v19 op_sel_hi:[1,0,1]
	v_pack_b32_f16 v243, v244, v243
	v_lshrrev_b32_e32 v244, 16, v23
	v_bfe_u32 v23, v23, 24, 4
	v_and_b32_e32 v245, 15, v230
	s_delay_alu instid0(VALU_DEP_3) | instskip(NEXT) | instid1(VALU_DEP_3)
	v_and_b32_e32 v244, 15, v244
	v_cvt_f16_u16_e32 v23, v23
	s_delay_alu instid0(VALU_DEP_3) | instskip(NEXT) | instid1(VALU_DEP_3)
	v_cvt_f16_u16_e64 v245, v245
	v_cvt_f16_u16_e64 v244, v244
	s_delay_alu instid0(VALU_DEP_1) | instskip(SKIP_3) | instid1(VALU_DEP_4)
	v_pack_b32_f16 v23, v244, v23
	v_pk_fma_f16 v244, v222, v22, v222 op_sel:[0,0,1] op_sel_hi:[0,1,1]
	v_ashrrev_i32_e32 v22, v217, v224
	v_pk_fma_f16 v222, v223, v243, v223 op_sel:[0,0,1] op_sel_hi:[0,1,1]
	v_pk_fma_f16 v223, v223, v23, v223 op_sel:[0,0,1] op_sel_hi:[0,1,1]
	s_delay_alu instid0(VALU_DEP_4) | instskip(NEXT) | instid1(VALU_DEP_4)
	v_pk_fma_f16 v21, v244, v226, v21 op_sel_hi:[1,0,1]
	v_lshrrev_b32_e32 v23, 8, v22
	v_and_b32_e32 v224, 15, v22
	v_pk_fma_f16 v18, v244, v234, v18 op_sel_hi:[1,0,1]
	v_pk_fma_f16 v20, v223, v226, v20 op_sel:[0,1,0]
	v_pk_fma_f16 v21, v222, v226, v21 op_sel:[0,1,0]
	v_and_b32_e32 v23, 15, v23
	v_cvt_f16_u16_e64 v224, v224
	v_pk_fma_f16 v17, v223, v234, v17 op_sel:[0,1,0]
	v_pk_fma_f16 v18, v222, v234, v18 op_sel:[0,1,0]
	s_delay_alu instid0(VALU_DEP_4) | instskip(NEXT) | instid1(VALU_DEP_1)
	v_cvt_f16_u16_e32 v23, v23
	v_pack_b32_f16 v23, v224, v23
	v_lshrrev_b32_e32 v224, 16, v22
	v_bfe_u32 v22, v22, 24, 4
	s_delay_alu instid0(VALU_DEP_2) | instskip(NEXT) | instid1(VALU_DEP_2)
	v_and_b32_e32 v224, 15, v224
	v_cvt_f16_u16_e32 v22, v22
	s_delay_alu instid0(VALU_DEP_2) | instskip(NEXT) | instid1(VALU_DEP_1)
	v_cvt_f16_u16_e64 v224, v224
	v_pack_b32_f16 v22, v224, v22
	v_ashrrev_i32_e32 v224, v217, v225
	s_delay_alu instid0(VALU_DEP_1) | instskip(SKIP_1) | instid1(VALU_DEP_2)
	v_lshrrev_b32_e32 v225, 8, v224
	v_and_b32_e32 v243, 15, v224
	v_and_b32_e32 v225, 15, v225
	s_delay_alu instid0(VALU_DEP_2) | instskip(NEXT) | instid1(VALU_DEP_2)
	v_cvt_f16_u16_e64 v243, v243
	v_cvt_f16_u16_e64 v225, v225
	s_delay_alu instid0(VALU_DEP_1) | instskip(SKIP_3) | instid1(VALU_DEP_3)
	v_pack_b32_f16 v225, v243, v225
	v_lshrrev_b32_e32 v243, 16, v224
	v_bfe_u32 v224, v224, 24, 4
	s_waitcnt vmcnt(7)
	v_pk_fma_f16 v225, v232, v225, v232 op_sel:[0,0,1] op_sel_hi:[0,1,1]
	s_delay_alu instid0(VALU_DEP_3) | instskip(NEXT) | instid1(VALU_DEP_3)
	v_and_b32_e32 v243, 15, v243
	v_cvt_f16_u16_e64 v224, v224
	s_delay_alu instid0(VALU_DEP_2) | instskip(NEXT) | instid1(VALU_DEP_1)
	v_cvt_f16_u16_e64 v243, v243
	v_pack_b32_f16 v224, v243, v224
	v_lshrrev_b32_e32 v243, 8, v230
	s_delay_alu instid0(VALU_DEP_2) | instskip(NEXT) | instid1(VALU_DEP_2)
	v_pk_fma_f16 v224, v232, v224, v232 op_sel:[0,0,1] op_sel_hi:[0,1,1]
	v_and_b32_e32 v243, 15, v243
	s_delay_alu instid0(VALU_DEP_1) | instskip(NEXT) | instid1(VALU_DEP_1)
	v_cvt_f16_u16_e64 v243, v243
	v_pack_b32_f16 v243, v245, v243
	v_lshrrev_b32_e32 v245, 16, v230
	v_bfe_u32 v230, v230, 24, 4
	s_waitcnt vmcnt(6)
	s_delay_alu instid0(VALU_DEP_3) | instskip(NEXT) | instid1(VALU_DEP_3)
	v_pk_fma_f16 v232, v233, v243, v233 op_sel:[0,0,1] op_sel_hi:[0,1,1]
	v_and_b32_e32 v245, 15, v245
	s_delay_alu instid0(VALU_DEP_3) | instskip(NEXT) | instid1(VALU_DEP_2)
	v_cvt_f16_u16_e64 v230, v230
	v_cvt_f16_u16_e64 v245, v245
	s_delay_alu instid0(VALU_DEP_1)
	v_pack_b32_f16 v230, v245, v230
	v_pk_fma_f16 v245, v231, v23, v231 op_sel:[0,0,1] op_sel_hi:[0,1,1]
	v_pk_fma_f16 v231, v231, v22, v231 op_sel:[0,0,1] op_sel_hi:[0,1,1]
	s_waitcnt vmcnt(5)
	v_ashrrev_i32_e32 v22, v217, v238
	v_pk_fma_f16 v230, v233, v230, v233 op_sel:[0,0,1] op_sel_hi:[0,1,1]
	v_pk_fma_f16 v21, v245, v227, v21 op_sel_hi:[1,0,1]
	v_pk_fma_f16 v20, v231, v227, v20 op_sel_hi:[1,0,1]
	s_delay_alu instid0(VALU_DEP_4)
	v_lshrrev_b32_e32 v23, 8, v22
	v_and_b32_e32 v233, 15, v22
	v_pk_fma_f16 v17, v231, v235, v17 op_sel_hi:[1,0,1]
	v_pk_fma_f16 v21, v225, v227, v21 op_sel:[0,1,0]
	v_pk_fma_f16 v20, v224, v227, v20 op_sel:[0,1,0]
	v_and_b32_e32 v23, 15, v23
	v_cvt_f16_u16_e64 v233, v233
	v_pk_fma_f16 v17, v224, v235, v17 op_sel:[0,1,0]
	v_pk_fma_f16 v18, v245, v235, v18 op_sel_hi:[1,0,1]
	v_pk_fma_f16 v21, v232, v228, v21 op_sel_hi:[1,0,1]
	v_cvt_f16_u16_e32 v23, v23
	v_pk_fma_f16 v20, v230, v228, v20 op_sel_hi:[1,0,1]
	v_pk_fma_f16 v17, v230, v236, v17 op_sel_hi:[1,0,1]
	v_pk_fma_f16 v18, v225, v235, v18 op_sel:[0,1,0]
	s_delay_alu instid0(VALU_DEP_4) | instskip(SKIP_2) | instid1(VALU_DEP_4)
	v_pack_b32_f16 v23, v233, v23
	v_lshrrev_b32_e32 v233, 16, v22
	v_bfe_u32 v22, v22, 24, 4
	v_pk_fma_f16 v18, v232, v236, v18 op_sel_hi:[1,0,1]
	s_delay_alu instid0(VALU_DEP_3) | instskip(NEXT) | instid1(VALU_DEP_3)
	v_and_b32_e32 v233, 15, v233
	v_cvt_f16_u16_e32 v22, v22
	s_delay_alu instid0(VALU_DEP_2) | instskip(NEXT) | instid1(VALU_DEP_1)
	v_cvt_f16_u16_e64 v233, v233
	v_pack_b32_f16 v22, v233, v22
	s_waitcnt vmcnt(4)
	v_ashrrev_i32_e32 v233, v217, v239
	s_delay_alu instid0(VALU_DEP_1) | instskip(SKIP_1) | instid1(VALU_DEP_2)
	v_lshrrev_b32_e32 v238, 8, v233
	v_and_b32_e32 v239, 15, v233
	v_and_b32_e32 v238, 15, v238
	s_delay_alu instid0(VALU_DEP_2) | instskip(NEXT) | instid1(VALU_DEP_2)
	v_cvt_f16_u16_e64 v239, v239
	v_cvt_f16_u16_e64 v238, v238
	s_delay_alu instid0(VALU_DEP_1) | instskip(SKIP_3) | instid1(VALU_DEP_3)
	v_pack_b32_f16 v238, v239, v238
	v_lshrrev_b32_e32 v239, 16, v233
	v_bfe_u32 v233, v233, 24, 4
	s_waitcnt vmcnt(1)
	v_pk_fma_f16 v238, v242, v238, v242 op_sel:[0,0,1] op_sel_hi:[0,1,1]
	s_delay_alu instid0(VALU_DEP_3) | instskip(NEXT) | instid1(VALU_DEP_3)
	v_and_b32_e32 v239, 15, v239
	v_cvt_f16_u16_e64 v233, v233
	s_delay_alu instid0(VALU_DEP_2) | instskip(NEXT) | instid1(VALU_DEP_1)
	v_cvt_f16_u16_e64 v239, v239
	v_pack_b32_f16 v233, v239, v233
	v_ashrrev_i32_e32 v239, v217, v240
	s_delay_alu instid0(VALU_DEP_2) | instskip(NEXT) | instid1(VALU_DEP_2)
	v_pk_fma_f16 v233, v242, v233, v242 op_sel:[0,0,1] op_sel_hi:[0,1,1]
	v_lshrrev_b32_e32 v240, 8, v239
	v_and_b32_e32 v243, 15, v239
	s_delay_alu instid0(VALU_DEP_2) | instskip(NEXT) | instid1(VALU_DEP_2)
	v_and_b32_e32 v240, 15, v240
	v_cvt_f16_u16_e64 v243, v243
	s_delay_alu instid0(VALU_DEP_2) | instskip(NEXT) | instid1(VALU_DEP_1)
	v_cvt_f16_u16_e64 v240, v240
	v_pack_b32_f16 v240, v243, v240
	v_lshrrev_b32_e32 v243, 16, v239
	v_bfe_u32 v239, v239, 24, 4
	s_waitcnt vmcnt(0)
	s_delay_alu instid0(VALU_DEP_3) | instskip(NEXT) | instid1(VALU_DEP_3)
	v_pk_fma_f16 v240, v16, v240, v16 op_sel:[0,0,1] op_sel_hi:[0,1,1]
	v_and_b32_e32 v243, 15, v243
	s_delay_alu instid0(VALU_DEP_3) | instskip(NEXT) | instid1(VALU_DEP_2)
	v_cvt_f16_u16_e64 v239, v239
	v_cvt_f16_u16_e64 v243, v243
	s_delay_alu instid0(VALU_DEP_1) | instskip(SKIP_2) | instid1(VALU_DEP_3)
	v_pack_b32_f16 v239, v243, v239
	v_pk_fma_f16 v243, v241, v23, v241 op_sel:[0,0,1] op_sel_hi:[0,1,1]
	v_pk_fma_f16 v241, v241, v22, v241 op_sel:[0,0,1] op_sel_hi:[0,1,1]
	;; [unrolled: 1-line block ×3, first 2 shown]
	s_delay_alu instid0(VALU_DEP_3) | instskip(NEXT) | instid1(VALU_DEP_3)
	v_pk_fma_f16 v21, v243, v228, v21 op_sel:[0,1,0]
	v_pk_fma_f16 v20, v241, v228, v20 op_sel:[0,1,0]
	;; [unrolled: 1-line block ×4, first 2 shown]
	s_delay_alu instid0(VALU_DEP_4) | instskip(NEXT) | instid1(VALU_DEP_4)
	v_pk_fma_f16 v21, v238, v229, v21 op_sel_hi:[1,0,1]
	v_pk_fma_f16 v20, v233, v229, v20 op_sel_hi:[1,0,1]
	s_delay_alu instid0(VALU_DEP_4) | instskip(NEXT) | instid1(VALU_DEP_4)
	v_pk_fma_f16 v17, v233, v237, v17 op_sel_hi:[1,0,1]
	v_pk_fma_f16 v18, v238, v237, v18 op_sel_hi:[1,0,1]
	s_delay_alu instid0(VALU_DEP_4) | instskip(NEXT) | instid1(VALU_DEP_4)
	v_pk_fma_f16 v22, v240, v229, v21 op_sel:[0,1,0]
	v_pk_fma_f16 v23, v16, v229, v20 op_sel:[0,1,0]
	s_delay_alu instid0(VALU_DEP_4)
	v_pk_fma_f16 v21, v16, v237, v17 op_sel:[0,1,0]
	v_add_co_u32 v16, vcc_lo, v153, s9
	v_add_co_ci_u32_e32 v17, vcc_lo, 0, v154, vcc_lo
	v_pk_fma_f16 v20, v240, v237, v18 op_sel:[0,1,0]
	global_load_b32 v18, v[16:17], off
	v_add_co_u32 v16, vcc_lo, v149, s9
	v_add_co_ci_u32_e32 v17, vcc_lo, 0, v150, vcc_lo
	global_load_b32 v19, v[16:17], off
	v_add_co_u32 v16, vcc_lo, v155, s9
	v_add_co_ci_u32_e32 v17, vcc_lo, 0, v156, vcc_lo
	;; [unrolled: 3-line block ×15, first 2 shown]
	global_load_b32 v16, v[16:17], off
	s_waitcnt vmcnt(15)
	v_ashrrev_i32_e32 v17, v217, v18
	s_delay_alu instid0(VALU_DEP_1) | instskip(SKIP_3) | instid1(VALU_DEP_3)
	v_lshrrev_b32_e32 v18, 8, v17
	v_and_b32_e32 v222, 15, v17
	s_waitcnt vmcnt(14)
	v_ashrrev_i32_e32 v19, v217, v19
	v_and_b32_e32 v18, 15, v18
	s_delay_alu instid0(VALU_DEP_3) | instskip(NEXT) | instid1(VALU_DEP_3)
	v_cvt_f16_u16_e64 v222, v222
	v_and_b32_e32 v224, 15, v19
	s_delay_alu instid0(VALU_DEP_3) | instskip(NEXT) | instid1(VALU_DEP_2)
	v_cvt_f16_u16_e32 v18, v18
	v_cvt_f16_u16_e64 v224, v224
	s_delay_alu instid0(VALU_DEP_2) | instskip(SKIP_2) | instid1(VALU_DEP_2)
	v_pack_b32_f16 v18, v222, v18
	v_lshrrev_b32_e32 v222, 16, v17
	v_bfe_u32 v17, v17, 24, 4
	v_and_b32_e32 v222, 15, v222
	s_delay_alu instid0(VALU_DEP_2) | instskip(NEXT) | instid1(VALU_DEP_2)
	v_cvt_f16_u16_e32 v17, v17
	v_cvt_f16_u16_e64 v222, v222
	s_delay_alu instid0(VALU_DEP_1) | instskip(SKIP_1) | instid1(VALU_DEP_1)
	v_pack_b32_f16 v17, v222, v17
	v_lshrrev_b32_e32 v222, 8, v19
	v_and_b32_e32 v222, 15, v222
	s_delay_alu instid0(VALU_DEP_1) | instskip(NEXT) | instid1(VALU_DEP_1)
	v_cvt_f16_u16_e64 v222, v222
	v_pack_b32_f16 v224, v224, v222
	v_lshrrev_b32_e32 v222, 16, v19
	v_bfe_u32 v19, v19, 24, 4
	s_waitcnt vmcnt(12)
	s_delay_alu instid0(VALU_DEP_3) | instskip(NEXT) | instid1(VALU_DEP_3)
	v_pk_fma_f16 v224, v225, v224, v225 op_sel:[0,0,1] op_sel_hi:[0,1,1]
	v_and_b32_e32 v222, 15, v222
	s_delay_alu instid0(VALU_DEP_3) | instskip(NEXT) | instid1(VALU_DEP_2)
	v_cvt_f16_u16_e32 v19, v19
	v_cvt_f16_u16_e64 v222, v222
	s_delay_alu instid0(VALU_DEP_1)
	v_pack_b32_f16 v19, v222, v19
	v_pk_fma_f16 v222, v223, v18, v223 op_sel:[0,0,1] op_sel_hi:[0,1,1]
	v_pk_fma_f16 v223, v223, v17, v223 op_sel:[0,0,1] op_sel_hi:[0,1,1]
	s_waitcnt vmcnt(11)
	v_ashrrev_i32_e32 v17, v217, v226
	v_pk_fma_f16 v225, v225, v19, v225 op_sel:[0,0,1] op_sel_hi:[0,1,1]
	s_delay_alu instid0(VALU_DEP_2) | instskip(SKIP_1) | instid1(VALU_DEP_2)
	v_lshrrev_b32_e32 v18, 8, v17
	v_and_b32_e32 v19, 15, v17
	v_and_b32_e32 v18, 15, v18
	s_delay_alu instid0(VALU_DEP_2) | instskip(NEXT) | instid1(VALU_DEP_2)
	v_cvt_f16_u16_e32 v19, v19
	v_cvt_f16_u16_e32 v18, v18
	s_delay_alu instid0(VALU_DEP_1) | instskip(SKIP_2) | instid1(VALU_DEP_2)
	v_pack_b32_f16 v18, v19, v18
	v_lshrrev_b32_e32 v19, 16, v17
	v_bfe_u32 v17, v17, 24, 4
	v_and_b32_e32 v19, 15, v19
	s_delay_alu instid0(VALU_DEP_2) | instskip(NEXT) | instid1(VALU_DEP_2)
	v_cvt_f16_u16_e32 v17, v17
	v_cvt_f16_u16_e32 v19, v19
	s_delay_alu instid0(VALU_DEP_1) | instskip(SKIP_2) | instid1(VALU_DEP_1)
	v_pack_b32_f16 v17, v19, v17
	s_waitcnt vmcnt(10)
	v_ashrrev_i32_e32 v19, v217, v227
	v_lshrrev_b32_e32 v226, 8, v19
	v_and_b32_e32 v227, 15, v19
	s_delay_alu instid0(VALU_DEP_2) | instskip(NEXT) | instid1(VALU_DEP_2)
	v_and_b32_e32 v226, 15, v226
	v_cvt_f16_u16_e64 v227, v227
	s_delay_alu instid0(VALU_DEP_2) | instskip(NEXT) | instid1(VALU_DEP_1)
	v_cvt_f16_u16_e64 v226, v226
	v_pack_b32_f16 v237, v227, v226
	v_lshrrev_b32_e32 v226, 16, v19
	v_bfe_u32 v19, v19, 24, 4
	s_delay_alu instid0(VALU_DEP_2) | instskip(NEXT) | instid1(VALU_DEP_2)
	v_and_b32_e32 v226, 15, v226
	v_cvt_f16_u16_e32 v19, v19
	s_delay_alu instid0(VALU_DEP_2) | instskip(NEXT) | instid1(VALU_DEP_1)
	v_cvt_f16_u16_e64 v226, v226
	v_pack_b32_f16 v19, v226, v19
	s_waitcnt vmcnt(9)
	v_ashrrev_i32_e32 v226, v217, v228
	s_delay_alu instid0(VALU_DEP_1) | instskip(SKIP_1) | instid1(VALU_DEP_2)
	v_lshrrev_b32_e32 v227, 8, v226
	v_and_b32_e32 v228, 15, v226
	v_and_b32_e32 v227, 15, v227
	s_delay_alu instid0(VALU_DEP_2) | instskip(NEXT) | instid1(VALU_DEP_2)
	v_cvt_f16_u16_e64 v228, v228
	v_cvt_f16_u16_e64 v227, v227
	s_delay_alu instid0(VALU_DEP_1) | instskip(SKIP_4) | instid1(VALU_DEP_3)
	v_pack_b32_f16 v238, v228, v227
	v_lshrrev_b32_e32 v227, 16, v226
	v_bfe_u32 v226, v226, 24, 4
	s_waitcnt vmcnt(7)
	v_pk_fma_f16 v228, v230, v237, v230 op_sel:[0,0,1] op_sel_hi:[0,1,1]
	v_and_b32_e32 v227, 15, v227
	s_delay_alu instid0(VALU_DEP_3) | instskip(NEXT) | instid1(VALU_DEP_2)
	v_cvt_f16_u16_e64 v226, v226
	v_cvt_f16_u16_e64 v227, v227
	s_delay_alu instid0(VALU_DEP_1)
	v_pack_b32_f16 v239, v227, v226
	v_pk_fma_f16 v227, v229, v17, v229 op_sel:[0,0,1] op_sel_hi:[0,1,1]
	s_waitcnt vmcnt(5)
	v_ashrrev_i32_e32 v17, v217, v232
	v_pk_fma_f16 v226, v229, v18, v229 op_sel:[0,0,1] op_sel_hi:[0,1,1]
	v_pk_fma_f16 v229, v230, v19, v230 op_sel:[0,0,1] op_sel_hi:[0,1,1]
	;; [unrolled: 1-line block ×4, first 2 shown]
	v_lshrrev_b32_e32 v18, 8, v17
	v_and_b32_e32 v19, 15, v17
	s_delay_alu instid0(VALU_DEP_2) | instskip(NEXT) | instid1(VALU_DEP_2)
	v_and_b32_e32 v18, 15, v18
	v_cvt_f16_u16_e32 v19, v19
	s_delay_alu instid0(VALU_DEP_2) | instskip(NEXT) | instid1(VALU_DEP_1)
	v_cvt_f16_u16_e32 v18, v18
	v_pack_b32_f16 v18, v19, v18
	v_lshrrev_b32_e32 v19, 16, v17
	v_bfe_u32 v17, v17, 24, 4
	s_delay_alu instid0(VALU_DEP_2) | instskip(NEXT) | instid1(VALU_DEP_2)
	v_and_b32_e32 v19, 15, v19
	v_cvt_f16_u16_e32 v17, v17
	s_delay_alu instid0(VALU_DEP_2) | instskip(NEXT) | instid1(VALU_DEP_1)
	v_cvt_f16_u16_e32 v19, v19
	v_pack_b32_f16 v17, v19, v17
	s_waitcnt vmcnt(4)
	v_ashrrev_i32_e32 v19, v217, v233
	s_delay_alu instid0(VALU_DEP_1) | instskip(SKIP_1) | instid1(VALU_DEP_2)
	v_lshrrev_b32_e32 v232, 8, v19
	v_and_b32_e32 v233, 15, v19
	v_and_b32_e32 v232, 15, v232
	s_delay_alu instid0(VALU_DEP_2) | instskip(NEXT) | instid1(VALU_DEP_2)
	v_cvt_f16_u16_e64 v233, v233
	v_cvt_f16_u16_e64 v232, v232
	s_delay_alu instid0(VALU_DEP_1) | instskip(SKIP_2) | instid1(VALU_DEP_2)
	v_pack_b32_f16 v237, v233, v232
	v_lshrrev_b32_e32 v232, 16, v19
	v_bfe_u32 v19, v19, 24, 4
	v_and_b32_e32 v232, 15, v232
	s_delay_alu instid0(VALU_DEP_2) | instskip(NEXT) | instid1(VALU_DEP_2)
	v_cvt_f16_u16_e32 v19, v19
	v_cvt_f16_u16_e64 v232, v232
	s_delay_alu instid0(VALU_DEP_1) | instskip(SKIP_2) | instid1(VALU_DEP_1)
	v_pack_b32_f16 v19, v232, v19
	s_waitcnt vmcnt(3)
	v_ashrrev_i32_e32 v232, v217, v234
	v_lshrrev_b32_e32 v233, 8, v232
	v_and_b32_e32 v234, 15, v232
	s_delay_alu instid0(VALU_DEP_2) | instskip(NEXT) | instid1(VALU_DEP_2)
	v_and_b32_e32 v233, 15, v233
	v_cvt_f16_u16_e64 v234, v234
	s_delay_alu instid0(VALU_DEP_2) | instskip(NEXT) | instid1(VALU_DEP_1)
	v_cvt_f16_u16_e64 v233, v233
	v_pack_b32_f16 v238, v234, v233
	v_lshrrev_b32_e32 v233, 16, v232
	v_bfe_u32 v232, v232, 24, 4
	s_waitcnt vmcnt(1)
	v_pk_fma_f16 v234, v236, v237, v236 op_sel:[0,0,1] op_sel_hi:[0,1,1]
	s_delay_alu instid0(VALU_DEP_3) | instskip(NEXT) | instid1(VALU_DEP_3)
	v_and_b32_e32 v233, 15, v233
	v_cvt_f16_u16_e64 v232, v232
	s_delay_alu instid0(VALU_DEP_2) | instskip(NEXT) | instid1(VALU_DEP_1)
	v_cvt_f16_u16_e64 v233, v233
	v_pack_b32_f16 v239, v233, v232
	v_pk_fma_f16 v232, v235, v18, v235 op_sel:[0,0,1] op_sel_hi:[0,1,1]
	v_pk_fma_f16 v233, v235, v17, v235 op_sel:[0,0,1] op_sel_hi:[0,1,1]
	;; [unrolled: 1-line block ×3, first 2 shown]
	s_waitcnt vmcnt(0)
	v_pk_fma_f16 v236, v16, v238, v16 op_sel:[0,0,1] op_sel_hi:[0,1,1]
	v_pk_fma_f16 v237, v16, v239, v16 op_sel:[0,0,1] op_sel_hi:[0,1,1]
	ds_load_b128 v[16:19], v76 offset:32
	ds_load_b128 v[238:241], v76 offset:48
	s_waitcnt lgkmcnt(1)
	v_pk_fma_f16 v22, v222, v16, v22 op_sel_hi:[1,0,1]
	v_pk_fma_f16 v23, v223, v16, v23 op_sel_hi:[1,0,1]
	s_delay_alu instid0(VALU_DEP_2) | instskip(NEXT) | instid1(VALU_DEP_2)
	v_pk_fma_f16 v22, v224, v16, v22 op_sel:[0,1,0]
	v_pk_fma_f16 v16, v225, v16, v23 op_sel:[0,1,0]
	s_delay_alu instid0(VALU_DEP_2) | instskip(NEXT) | instid1(VALU_DEP_2)
	v_pk_fma_f16 v22, v226, v17, v22 op_sel_hi:[1,0,1]
	v_pk_fma_f16 v16, v227, v17, v16 op_sel_hi:[1,0,1]
	s_delay_alu instid0(VALU_DEP_2) | instskip(NEXT) | instid1(VALU_DEP_2)
	v_pk_fma_f16 v22, v228, v17, v22 op_sel:[0,1,0]
	v_pk_fma_f16 v16, v229, v17, v16 op_sel:[0,1,0]
	s_delay_alu instid0(VALU_DEP_2) | instskip(NEXT) | instid1(VALU_DEP_2)
	;; [unrolled: 6-line block ×3, first 2 shown]
	v_pk_fma_f16 v17, v234, v19, v17 op_sel_hi:[1,0,1]
	v_pk_fma_f16 v16, v235, v19, v16 op_sel_hi:[1,0,1]
	s_delay_alu instid0(VALU_DEP_2) | instskip(NEXT) | instid1(VALU_DEP_2)
	v_pk_fma_f16 v22, v236, v19, v17 op_sel:[0,1,0]
	v_pk_fma_f16 v23, v237, v19, v16 op_sel:[0,1,0]
	ds_load_b128 v[16:19], v76 offset:288
	ds_load_b128 v[242:245], v76 offset:304
	s_waitcnt lgkmcnt(1)
	v_pk_fma_f16 v20, v222, v16, v20 op_sel_hi:[1,0,1]
	v_pk_fma_f16 v21, v223, v16, v21 op_sel_hi:[1,0,1]
	s_delay_alu instid0(VALU_DEP_2) | instskip(NEXT) | instid1(VALU_DEP_2)
	v_pk_fma_f16 v20, v224, v16, v20 op_sel:[0,1,0]
	v_pk_fma_f16 v16, v225, v16, v21 op_sel:[0,1,0]
	s_delay_alu instid0(VALU_DEP_2) | instskip(NEXT) | instid1(VALU_DEP_2)
	v_pk_fma_f16 v20, v226, v17, v20 op_sel_hi:[1,0,1]
	v_pk_fma_f16 v16, v227, v17, v16 op_sel_hi:[1,0,1]
	s_delay_alu instid0(VALU_DEP_2) | instskip(NEXT) | instid1(VALU_DEP_2)
	v_pk_fma_f16 v20, v228, v17, v20 op_sel:[0,1,0]
	v_pk_fma_f16 v16, v229, v17, v16 op_sel:[0,1,0]
	s_delay_alu instid0(VALU_DEP_2) | instskip(NEXT) | instid1(VALU_DEP_2)
	;; [unrolled: 6-line block ×3, first 2 shown]
	v_pk_fma_f16 v17, v234, v19, v17 op_sel_hi:[1,0,1]
	v_pk_fma_f16 v16, v235, v19, v16 op_sel_hi:[1,0,1]
	s_delay_alu instid0(VALU_DEP_2) | instskip(NEXT) | instid1(VALU_DEP_2)
	v_pk_fma_f16 v18, v236, v19, v17 op_sel:[0,1,0]
	v_pk_fma_f16 v19, v237, v19, v16 op_sel:[0,1,0]
	v_add_co_u32 v16, vcc_lo, v121, s9
	v_add_co_ci_u32_e32 v17, vcc_lo, 0, v122, vcc_lo
	global_load_b32 v20, v[16:17], off
	v_add_co_u32 v16, vcc_lo, v117, s9
	v_add_co_ci_u32_e32 v17, vcc_lo, 0, v118, vcc_lo
	global_load_b32 v21, v[16:17], off
	v_add_co_u32 v16, vcc_lo, v123, s9
	v_add_co_ci_u32_e32 v17, vcc_lo, 0, v124, vcc_lo
	global_load_b32 v222, v[16:17], off
	v_add_co_u32 v16, vcc_lo, v119, s9
	v_add_co_ci_u32_e32 v17, vcc_lo, 0, v120, vcc_lo
	global_load_b32 v223, v[16:17], off
	v_add_co_u32 v16, vcc_lo, v113, s9
	v_add_co_ci_u32_e32 v17, vcc_lo, 0, v114, vcc_lo
	global_load_b32 v224, v[16:17], off
	v_add_co_u32 v16, vcc_lo, v109, s9
	v_add_co_ci_u32_e32 v17, vcc_lo, 0, v110, vcc_lo
	global_load_b32 v225, v[16:17], off
	v_add_co_u32 v16, vcc_lo, v105, s9
	v_add_co_ci_u32_e32 v17, vcc_lo, 0, v106, vcc_lo
	global_load_b32 v226, v[16:17], off
	v_add_co_u32 v16, vcc_lo, v115, s9
	v_add_co_ci_u32_e32 v17, vcc_lo, 0, v116, vcc_lo
	global_load_b32 v227, v[16:17], off
	v_add_co_u32 v16, vcc_lo, v111, s9
	v_add_co_ci_u32_e32 v17, vcc_lo, 0, v112, vcc_lo
	global_load_b32 v228, v[16:17], off
	v_add_co_u32 v16, vcc_lo, v107, s9
	v_add_co_ci_u32_e32 v17, vcc_lo, 0, v108, vcc_lo
	global_load_b32 v229, v[16:17], off
	v_add_co_u32 v16, vcc_lo, v101, s9
	v_add_co_ci_u32_e32 v17, vcc_lo, 0, v102, vcc_lo
	global_load_b32 v230, v[16:17], off
	v_add_co_u32 v16, vcc_lo, v97, s9
	v_add_co_ci_u32_e32 v17, vcc_lo, 0, v98, vcc_lo
	global_load_b32 v231, v[16:17], off
	v_add_co_u32 v16, vcc_lo, v93, s9
	v_add_co_ci_u32_e32 v17, vcc_lo, 0, v94, vcc_lo
	global_load_b32 v232, v[16:17], off
	v_add_co_u32 v16, vcc_lo, v103, s9
	v_add_co_ci_u32_e32 v17, vcc_lo, 0, v104, vcc_lo
	global_load_b32 v233, v[16:17], off
	v_add_co_u32 v16, vcc_lo, v99, s9
	v_add_co_ci_u32_e32 v17, vcc_lo, 0, v100, vcc_lo
	global_load_b32 v234, v[16:17], off
	v_add_co_u32 v16, vcc_lo, v95, s9
	v_add_co_ci_u32_e32 v17, vcc_lo, 0, v96, vcc_lo
	v_add_co_u32 v77, vcc_lo, v77, s11
	v_add_co_ci_u32_e32 v78, vcc_lo, 0, v78, vcc_lo
	global_load_b32 v16, v[16:17], off
	v_add_co_u32 v69, vcc_lo, v69, s16
	v_add_co_ci_u32_e32 v70, vcc_lo, s17, v70, vcc_lo
	v_add_co_u32 v79, vcc_lo, v79, s16
	v_add_co_ci_u32_e32 v80, vcc_lo, s17, v80, vcc_lo
	;; [unrolled: 2-line block ×49, first 2 shown]
	v_add_co_u32 v175, vcc_lo, v175, s6
	s_waitcnt vmcnt(15)
	v_ashrrev_i32_e32 v17, v217, v20
	v_add_co_ci_u32_e32 v176, vcc_lo, 0, v176, vcc_lo
	v_add_co_u32 v177, vcc_lo, v177, s6
	s_delay_alu instid0(VALU_DEP_3)
	v_lshrrev_b32_e32 v20, 8, v17
	v_and_b32_e32 v235, 15, v17
	v_add_co_ci_u32_e32 v178, vcc_lo, 0, v178, vcc_lo
	s_waitcnt vmcnt(14)
	v_ashrrev_i32_e32 v21, v217, v21
	v_and_b32_e32 v20, 15, v20
	v_cvt_f16_u16_e64 v235, v235
	v_add_co_u32 v179, vcc_lo, v179, s6
	s_delay_alu instid0(VALU_DEP_4) | instskip(NEXT) | instid1(VALU_DEP_4)
	v_and_b32_e32 v236, 15, v21
	v_cvt_f16_u16_e32 v20, v20
	v_add_co_ci_u32_e32 v180, vcc_lo, 0, v180, vcc_lo
	v_add_co_u32 v181, vcc_lo, v181, s6
	s_delay_alu instid0(VALU_DEP_3) | instskip(SKIP_4) | instid1(VALU_DEP_4)
	v_pack_b32_f16 v20, v235, v20
	v_lshrrev_b32_e32 v235, 16, v17
	v_bfe_u32 v17, v17, 24, 4
	v_cvt_f16_u16_e64 v236, v236
	v_add_co_ci_u32_e32 v182, vcc_lo, 0, v182, vcc_lo
	v_and_b32_e32 v235, 15, v235
	s_delay_alu instid0(VALU_DEP_4)
	v_cvt_f16_u16_e32 v17, v17
	s_waitcnt vmcnt(13)
	v_pk_fma_f16 v20, v222, v20, v222 op_sel:[0,0,1] op_sel_hi:[0,1,1]
	v_add_co_u32 v183, vcc_lo, v183, s6
	v_cvt_f16_u16_e64 v235, v235
	v_add_co_ci_u32_e32 v184, vcc_lo, 0, v184, vcc_lo
	v_add_co_u32 v185, vcc_lo, v185, s6
	s_delay_alu instid0(VALU_DEP_3) | instskip(SKIP_3) | instid1(VALU_DEP_3)
	v_pack_b32_f16 v17, v235, v17
	v_lshrrev_b32_e32 v235, 8, v21
	v_add_co_ci_u32_e32 v186, vcc_lo, 0, v186, vcc_lo
	v_add_co_u32 v187, vcc_lo, v187, s6
	v_and_b32_e32 v235, 15, v235
	v_pk_fma_f16 v222, v222, v17, v222 op_sel:[0,0,1] op_sel_hi:[0,1,1]
	s_waitcnt vmcnt(11)
	v_ashrrev_i32_e32 v17, v217, v224
	v_add_co_ci_u32_e32 v188, vcc_lo, 0, v188, vcc_lo
	v_cvt_f16_u16_e64 v235, v235
	s_waitcnt vmcnt(9)
	v_ashrrev_i32_e32 v226, v217, v226
	v_and_b32_e32 v224, 15, v17
	v_add_co_u32 v189, vcc_lo, v189, s6
	v_pack_b32_f16 v235, v236, v235
	v_lshrrev_b32_e32 v236, 16, v21
	v_bfe_u32 v21, v21, 24, 4
	v_cvt_f16_u16_e64 v224, v224
	v_and_b32_e32 v237, 15, v226
	v_pk_fma_f16 v235, v223, v235, v223 op_sel:[0,0,1] op_sel_hi:[0,1,1]
	v_and_b32_e32 v236, 15, v236
	v_cvt_f16_u16_e32 v21, v21
	v_add_co_ci_u32_e32 v190, vcc_lo, 0, v190, vcc_lo
	v_cvt_f16_u16_e64 v237, v237
	s_delay_alu instid0(VALU_DEP_4) | instskip(SKIP_2) | instid1(VALU_DEP_3)
	v_cvt_f16_u16_e64 v236, v236
	v_add_co_u32 v191, vcc_lo, v191, s6
	v_add_co_ci_u32_e32 v192, vcc_lo, 0, v192, vcc_lo
	v_pack_b32_f16 v21, v236, v21
	s_waitcnt lgkmcnt(0)
	v_pk_fma_f16 v18, v20, v242, v18 op_sel_hi:[1,0,1]
	v_pk_fma_f16 v19, v222, v242, v19 op_sel_hi:[1,0,1]
	v_add_co_u32 v193, vcc_lo, v193, s6
	v_pk_fma_f16 v21, v223, v21, v223 op_sel:[0,0,1] op_sel_hi:[0,1,1]
	v_lshrrev_b32_e32 v223, 8, v17
	v_add_co_ci_u32_e32 v194, vcc_lo, 0, v194, vcc_lo
	v_add_co_u32 v195, vcc_lo, v195, s6
	s_delay_alu instid0(VALU_DEP_3) | instskip(SKIP_3) | instid1(VALU_DEP_4)
	v_and_b32_e32 v223, 15, v223
	v_pk_fma_f16 v18, v235, v242, v18 op_sel:[0,1,0]
	v_pk_fma_f16 v19, v21, v242, v19 op_sel:[0,1,0]
	v_add_co_ci_u32_e32 v196, vcc_lo, 0, v196, vcc_lo
	v_cvt_f16_u16_e64 v223, v223
	v_add_co_u32 v197, vcc_lo, v197, s6
	v_add_co_ci_u32_e32 v198, vcc_lo, 0, v198, vcc_lo
	s_delay_alu instid0(VALU_DEP_3)
	v_pack_b32_f16 v223, v224, v223
	v_lshrrev_b32_e32 v224, 16, v17
	v_bfe_u32 v17, v17, 24, 4
	v_add_co_u32 v199, vcc_lo, v199, s6
	s_waitcnt vmcnt(8)
	v_pk_fma_f16 v223, v227, v223, v227 op_sel:[0,0,1] op_sel_hi:[0,1,1]
	v_and_b32_e32 v224, 15, v224
	v_cvt_f16_u16_e32 v17, v17
	s_waitcnt vmcnt(3)
	v_ashrrev_i32_e32 v232, v217, v232
	v_add_co_ci_u32_e32 v200, vcc_lo, 0, v200, vcc_lo
	v_cvt_f16_u16_e64 v224, v224
	v_pk_fma_f16 v18, v223, v243, v18 op_sel_hi:[1,0,1]
	v_add_co_u32 v201, vcc_lo, v201, s6
	v_add_co_ci_u32_e32 v202, vcc_lo, 0, v202, vcc_lo
	s_delay_alu instid0(VALU_DEP_4) | instskip(SKIP_3) | instid1(VALU_DEP_3)
	v_pack_b32_f16 v17, v224, v17
	v_ashrrev_i32_e32 v224, v217, v225
	v_add_co_u32 v203, vcc_lo, v203, s6
	v_add_co_ci_u32_e32 v204, vcc_lo, 0, v204, vcc_lo
	v_lshrrev_b32_e32 v225, 8, v224
	v_and_b32_e32 v236, 15, v224
	v_pk_fma_f16 v227, v227, v17, v227 op_sel:[0,0,1] op_sel_hi:[0,1,1]
	v_ashrrev_i32_e32 v17, v217, v230
	v_add_co_u32 v205, vcc_lo, v205, s6
	v_and_b32_e32 v225, 15, v225
	v_cvt_f16_u16_e64 v236, v236
	s_delay_alu instid0(VALU_DEP_4) | instskip(SKIP_3) | instid1(VALU_DEP_4)
	v_and_b32_e32 v230, 15, v17
	v_pk_fma_f16 v19, v227, v243, v19 op_sel_hi:[1,0,1]
	v_add_co_ci_u32_e32 v206, vcc_lo, 0, v206, vcc_lo
	v_cvt_f16_u16_e64 v225, v225
	v_cvt_f16_u16_e64 v230, v230
	v_add_co_u32 v207, vcc_lo, v207, s6
	v_add_co_ci_u32_e32 v208, vcc_lo, 0, v208, vcc_lo
	s_delay_alu instid0(VALU_DEP_4) | instskip(SKIP_3) | instid1(VALU_DEP_4)
	v_pack_b32_f16 v225, v236, v225
	v_lshrrev_b32_e32 v236, 16, v224
	v_bfe_u32 v224, v224, 24, 4
	v_add_co_u32 v209, vcc_lo, v209, s6
	v_pk_fma_f16 v225, v228, v225, v228 op_sel:[0,0,1] op_sel_hi:[0,1,1]
	s_delay_alu instid0(VALU_DEP_4) | instskip(NEXT) | instid1(VALU_DEP_4)
	v_and_b32_e32 v236, 15, v236
	v_cvt_f16_u16_e64 v224, v224
	v_add_co_ci_u32_e32 v210, vcc_lo, 0, v210, vcc_lo
	s_delay_alu instid0(VALU_DEP_4) | instskip(NEXT) | instid1(VALU_DEP_4)
	v_pk_fma_f16 v18, v225, v243, v18 op_sel:[0,1,0]
	v_cvt_f16_u16_e64 v236, v236
	v_add_co_u32 v211, vcc_lo, v211, s6
	v_add_co_ci_u32_e32 v212, vcc_lo, 0, v212, vcc_lo
	s_delay_alu instid0(VALU_DEP_3) | instskip(SKIP_3) | instid1(VALU_DEP_3)
	v_pack_b32_f16 v224, v236, v224
	v_lshrrev_b32_e32 v236, 8, v226
	v_add_co_u32 v213, vcc_lo, v213, s6
	v_add_co_ci_u32_e32 v214, vcc_lo, 0, v214, vcc_lo
	v_and_b32_e32 v236, 15, v236
	v_pk_fma_f16 v224, v228, v224, v228 op_sel:[0,0,1] op_sel_hi:[0,1,1]
	v_add_co_u32 v215, vcc_lo, v215, s6
	v_add_co_ci_u32_e32 v216, vcc_lo, 0, v216, vcc_lo
	s_delay_alu instid0(VALU_DEP_4) | instskip(NEXT) | instid1(VALU_DEP_4)
	v_cvt_f16_u16_e64 v236, v236
	v_pk_fma_f16 v19, v224, v243, v19 op_sel:[0,1,0]
	s_delay_alu instid0(VALU_DEP_2) | instskip(SKIP_2) | instid1(VALU_DEP_3)
	v_pack_b32_f16 v236, v237, v236
	v_lshrrev_b32_e32 v237, 16, v226
	v_bfe_u32 v226, v226, 24, 4
	v_pk_fma_f16 v228, v229, v236, v229 op_sel:[0,0,1] op_sel_hi:[0,1,1]
	s_delay_alu instid0(VALU_DEP_3) | instskip(NEXT) | instid1(VALU_DEP_3)
	v_and_b32_e32 v237, 15, v237
	v_cvt_f16_u16_e64 v226, v226
	s_delay_alu instid0(VALU_DEP_3) | instskip(NEXT) | instid1(VALU_DEP_3)
	v_pk_fma_f16 v18, v228, v244, v18 op_sel_hi:[1,0,1]
	v_cvt_f16_u16_e64 v237, v237
	s_delay_alu instid0(VALU_DEP_1) | instskip(SKIP_1) | instid1(VALU_DEP_2)
	v_pack_b32_f16 v226, v237, v226
	v_and_b32_e32 v237, 15, v232
	v_pk_fma_f16 v226, v229, v226, v229 op_sel:[0,0,1] op_sel_hi:[0,1,1]
	v_lshrrev_b32_e32 v229, 8, v17
	s_delay_alu instid0(VALU_DEP_3) | instskip(NEXT) | instid1(VALU_DEP_3)
	v_cvt_f16_u16_e64 v237, v237
	v_pk_fma_f16 v19, v226, v244, v19 op_sel_hi:[1,0,1]
	s_delay_alu instid0(VALU_DEP_3) | instskip(NEXT) | instid1(VALU_DEP_1)
	v_and_b32_e32 v229, 15, v229
	v_cvt_f16_u16_e64 v229, v229
	s_delay_alu instid0(VALU_DEP_1) | instskip(SKIP_3) | instid1(VALU_DEP_3)
	v_pack_b32_f16 v229, v230, v229
	v_lshrrev_b32_e32 v230, 16, v17
	v_bfe_u32 v17, v17, 24, 4
	s_waitcnt vmcnt(2)
	v_pk_fma_f16 v229, v233, v229, v233 op_sel:[0,0,1] op_sel_hi:[0,1,1]
	s_delay_alu instid0(VALU_DEP_3) | instskip(NEXT) | instid1(VALU_DEP_3)
	v_and_b32_e32 v230, 15, v230
	v_cvt_f16_u16_e32 v17, v17
	s_delay_alu instid0(VALU_DEP_3) | instskip(NEXT) | instid1(VALU_DEP_3)
	v_pk_fma_f16 v18, v229, v244, v18 op_sel:[0,1,0]
	v_cvt_f16_u16_e64 v230, v230
	s_delay_alu instid0(VALU_DEP_1) | instskip(SKIP_1) | instid1(VALU_DEP_2)
	v_pack_b32_f16 v17, v230, v17
	v_ashrrev_i32_e32 v230, v217, v231
	v_pk_fma_f16 v233, v233, v17, v233 op_sel:[0,0,1] op_sel_hi:[0,1,1]
	s_delay_alu instid0(VALU_DEP_2) | instskip(SKIP_2) | instid1(VALU_DEP_4)
	v_lshrrev_b32_e32 v231, 8, v230
	v_and_b32_e32 v236, 15, v230
	v_pk_fma_f16 v17, v222, v238, v23 op_sel_hi:[1,0,1]
	v_pk_fma_f16 v19, v233, v244, v19 op_sel:[0,1,0]
	s_delay_alu instid0(VALU_DEP_4) | instskip(NEXT) | instid1(VALU_DEP_4)
	v_and_b32_e32 v231, 15, v231
	v_cvt_f16_u16_e64 v236, v236
	s_delay_alu instid0(VALU_DEP_4) | instskip(NEXT) | instid1(VALU_DEP_3)
	v_pk_fma_f16 v17, v21, v238, v17 op_sel:[0,1,0]
	v_cvt_f16_u16_e64 v231, v231
	s_delay_alu instid0(VALU_DEP_2) | instskip(NEXT) | instid1(VALU_DEP_2)
	v_pk_fma_f16 v17, v227, v239, v17 op_sel_hi:[1,0,1]
	v_pack_b32_f16 v231, v236, v231
	v_lshrrev_b32_e32 v236, 16, v230
	v_bfe_u32 v230, v230, 24, 4
	s_delay_alu instid0(VALU_DEP_4)
	v_pk_fma_f16 v17, v224, v239, v17 op_sel:[0,1,0]
	s_waitcnt vmcnt(1)
	v_pk_fma_f16 v231, v234, v231, v234 op_sel:[0,0,1] op_sel_hi:[0,1,1]
	v_and_b32_e32 v236, 15, v236
	v_cvt_f16_u16_e64 v230, v230
	v_pk_fma_f16 v17, v226, v240, v17 op_sel_hi:[1,0,1]
	s_delay_alu instid0(VALU_DEP_4) | instskip(NEXT) | instid1(VALU_DEP_4)
	v_pk_fma_f16 v18, v231, v245, v18 op_sel_hi:[1,0,1]
	v_cvt_f16_u16_e64 v236, v236
	s_delay_alu instid0(VALU_DEP_3) | instskip(NEXT) | instid1(VALU_DEP_2)
	v_pk_fma_f16 v17, v233, v240, v17 op_sel:[0,1,0]
	v_pack_b32_f16 v230, v236, v230
	v_lshrrev_b32_e32 v236, 8, v232
	s_delay_alu instid0(VALU_DEP_2) | instskip(NEXT) | instid1(VALU_DEP_2)
	v_pk_fma_f16 v230, v234, v230, v234 op_sel:[0,0,1] op_sel_hi:[0,1,1]
	v_and_b32_e32 v236, 15, v236
	s_delay_alu instid0(VALU_DEP_2) | instskip(NEXT) | instid1(VALU_DEP_2)
	v_pk_fma_f16 v17, v230, v241, v17 op_sel_hi:[1,0,1]
	v_cvt_f16_u16_e64 v236, v236
	v_pk_fma_f16 v19, v230, v245, v19 op_sel_hi:[1,0,1]
	s_delay_alu instid0(VALU_DEP_2) | instskip(SKIP_3) | instid1(VALU_DEP_3)
	v_pack_b32_f16 v236, v237, v236
	v_lshrrev_b32_e32 v237, 16, v232
	v_bfe_u32 v232, v232, 24, 4
	s_waitcnt vmcnt(0)
	v_pk_fma_f16 v234, v16, v236, v16 op_sel:[0,0,1] op_sel_hi:[0,1,1]
	s_delay_alu instid0(VALU_DEP_3) | instskip(NEXT) | instid1(VALU_DEP_3)
	v_and_b32_e32 v237, 15, v237
	v_cvt_f16_u16_e64 v232, v232
	s_delay_alu instid0(VALU_DEP_3) | instskip(NEXT) | instid1(VALU_DEP_3)
	v_pk_fma_f16 v18, v234, v245, v18 op_sel:[0,1,0]
	v_cvt_f16_u16_e64 v237, v237
	s_delay_alu instid0(VALU_DEP_1) | instskip(NEXT) | instid1(VALU_DEP_1)
	v_pack_b32_f16 v232, v237, v232
	v_pk_fma_f16 v232, v16, v232, v16 op_sel:[0,0,1] op_sel_hi:[0,1,1]
	v_pk_fma_f16 v16, v20, v238, v22 op_sel_hi:[1,0,1]
	s_delay_alu instid0(VALU_DEP_2) | instskip(NEXT) | instid1(VALU_DEP_2)
	v_pk_fma_f16 v17, v232, v241, v17 op_sel:[0,1,0]
	v_pk_fma_f16 v16, v235, v238, v16 op_sel:[0,1,0]
	;; [unrolled: 1-line block ×3, first 2 shown]
	s_delay_alu instid0(VALU_DEP_2) | instskip(NEXT) | instid1(VALU_DEP_1)
	v_pk_fma_f16 v16, v223, v239, v16 op_sel_hi:[1,0,1]
	v_pk_fma_f16 v16, v225, v239, v16 op_sel:[0,1,0]
	s_delay_alu instid0(VALU_DEP_1) | instskip(NEXT) | instid1(VALU_DEP_1)
	v_pk_fma_f16 v16, v228, v240, v16 op_sel_hi:[1,0,1]
	v_pk_fma_f16 v16, v229, v240, v16 op_sel:[0,1,0]
	s_delay_alu instid0(VALU_DEP_1) | instskip(NEXT) | instid1(VALU_DEP_1)
	v_pk_fma_f16 v16, v231, v241, v16 op_sel_hi:[1,0,1]
	v_pk_fma_f16 v16, v234, v241, v16 op_sel:[0,1,0]
	s_cbranch_scc1 .LBB22_43
; %bb.42:                               ;   in Loop: Header=BB22_17 Depth=1
	v_dual_mov_b32 v21, v58 :: v_dual_mov_b32 v20, v59
	s_branch .LBB22_17
.LBB22_43:
	ds_store_b128 v65, v[16:19]
.LBB22_44:
	s_cmp_eq_u64 s[24:25], 0
	s_cselect_b32 s1, -1, 0
	s_cmp_lg_u32 s14, 0
	s_cselect_b32 s4, -1, 0
	s_delay_alu instid0(SALU_CYCLE_1) | instskip(NEXT) | instid1(SALU_CYCLE_1)
	s_or_b32 s1, s4, s1
	s_or_b32 s0, s0, s1
	s_delay_alu instid0(SALU_CYCLE_1) | instskip(NEXT) | instid1(SALU_CYCLE_1)
	s_xor_b32 s0, s0, -1
	s_and_saveexec_b32 s1, s0
	s_cbranch_execz .LBB22_46
; %bb.45:
	s_ashr_i32 s13, s12, 31
	v_cmp_eq_u32_e32 vcc_lo, 1, v61
	s_lshl_b64 s[4:5], s[12:13], 2
	s_delay_alu instid0(SALU_CYCLE_1) | instskip(SKIP_3) | instid1(VALU_DEP_1)
	s_add_u32 s4, s24, s4
	s_addc_u32 s5, s25, s5
	s_load_b32 s0, s[4:5], 0x0
	v_cndmask_b32_e32 v0, v58, v59, vcc_lo
	v_max_f32_e32 v1, v0, v0
	s_waitcnt lgkmcnt(0)
	v_max_f32_e64 v2, s0, s0
	s_delay_alu instid0(VALU_DEP_1) | instskip(NEXT) | instid1(VALU_DEP_1)
	v_max_f32_e32 v2, v2, v1
	v_sub_f32_e32 v3, s0, v2
	v_sub_f32_e32 v4, v0, v2
	s_delay_alu instid0(VALU_DEP_2) | instskip(SKIP_1) | instid1(VALU_DEP_2)
	v_mul_f32_e32 v0, 0x3fb8aa3b, v3
	v_cmp_ngt_f32_e64 s0, 0xc2ce8ed0, v3
	v_fma_f32 v5, 0x3fb8aa3b, v3, -v0
	v_rndne_f32_e32 v6, v0
	s_delay_alu instid0(VALU_DEP_2) | instskip(SKIP_2) | instid1(VALU_DEP_2)
	v_fmac_f32_e32 v5, 0x32a5705f, v3
	v_mul_f32_e32 v1, 0x3fb8aa3b, v4
	v_cndmask_b32_e32 v59, v59, v2, vcc_lo
	v_fma_f32 v7, 0x3fb8aa3b, v4, -v1
	v_rndne_f32_e32 v8, v1
	s_delay_alu instid0(VALU_DEP_2) | instskip(NEXT) | instid1(VALU_DEP_1)
	v_dual_sub_f32 v0, v0, v6 :: v_dual_fmac_f32 v7, 0x32a5705f, v4
	v_dual_sub_f32 v1, v1, v8 :: v_dual_add_f32 v0, v0, v5
	s_delay_alu instid0(VALU_DEP_1) | instskip(NEXT) | instid1(VALU_DEP_2)
	v_add_f32_e32 v1, v1, v7
	v_exp_f32_e32 v0, v0
	v_cvt_i32_f32_e32 v7, v8
	s_delay_alu instid0(VALU_DEP_2)
	v_exp_f32_e32 v5, v1
	v_cvt_i32_f32_e32 v1, v6
	v_lshl_add_u32 v6, v61, 3, v65
	s_waitcnt_depctr 0xfff
	v_ldexp_f32 v8, v0, v1
	ds_load_b64 v[0:1], v6
	v_ldexp_f32 v5, v5, v7
	v_cndmask_b32_e64 v7, 0, v8, s0
	v_cmp_ngt_f32_e64 s0, 0xc2ce8ed0, v4
	s_delay_alu instid0(VALU_DEP_1) | instskip(SKIP_1) | instid1(VALU_DEP_1)
	v_cndmask_b32_e64 v5, 0, v5, s0
	v_cmp_nlt_f32_e64 s0, 0x42b17218, v3
	v_cndmask_b32_e64 v3, 0x7f800000, v7, s0
	v_cmp_nlt_f32_e64 s0, 0x42b17218, v4
	v_cndmask_b32_e32 v7, v56, v57, vcc_lo
	s_delay_alu instid0(VALU_DEP_2) | instskip(SKIP_1) | instid1(VALU_DEP_2)
	v_cndmask_b32_e64 v4, 0x7f800000, v5, s0
	v_cmp_eq_u32_e64 s0, 0, v60
	v_cvt_f16_f32_e32 v5, v4
	s_delay_alu instid0(VALU_DEP_2) | instskip(SKIP_2) | instid1(VALU_DEP_3)
	v_cndmask_b32_e64 v3, 0, v3, s0
	v_cmp_eq_u32_e64 s0, 0, v61
	s_waitcnt lgkmcnt(0)
	v_pk_mul_f16 v0, v5, v0 op_sel_hi:[0,1]
	s_delay_alu instid0(VALU_DEP_3) | instskip(NEXT) | instid1(VALU_DEP_3)
	v_fmac_f32_e32 v3, v7, v4
	v_cndmask_b32_e64 v58, v58, v2, s0
	v_pk_mul_f16 v1, v5, v1 op_sel_hi:[0,1]
	s_delay_alu instid0(VALU_DEP_3)
	v_cndmask_b32_e32 v57, v57, v3, vcc_lo
	v_cndmask_b32_e64 v56, v56, v3, s0
	ds_store_b64 v6, v[0:1]
.LBB22_46:
	s_or_b32 exec_lo, exec_lo, s1
	s_delay_alu instid0(SALU_CYCLE_1)
	s_mov_b32 s0, exec_lo
	v_cmpx_eq_u32_e32 0, v61
	s_cbranch_execz .LBB22_48
; %bb.47:
	v_mov_b32_e32 v0, 0xfeffffff
	v_dual_mov_b32 v2, 0 :: v_dual_add_nc_u32 v1, 0x400, v66
	ds_store_2addr_b32 v1, v0, v0 offset1:32
	ds_store_2addr_b32 v1, v2, v2 offset0:64 offset1:96
.LBB22_48:
	s_or_b32 exec_lo, exec_lo, s0
	v_cmp_eq_u32_e64 s0, 0, v60
	s_waitcnt lgkmcnt(0)
	s_barrier
	buffer_gl0_inv
	s_and_saveexec_b32 s1, s0
	s_cbranch_execz .LBB22_50
; %bb.49:
	v_lshlrev_b32_e32 v0, 2, v61
	s_delay_alu instid0(VALU_DEP_1)
	v_add_nc_u32_e32 v0, 0x400, v0
	ds_store_2addr_b32 v0, v58, v59 offset1:32
.LBB22_50:
	s_or_b32 exec_lo, exec_lo, s1
	s_cmp_lt_i32 s15, s34
	s_waitcnt lgkmcnt(0)
	s_barrier
	buffer_gl0_inv
	s_cbranch_scc1 .LBB22_52
; %bb.51:
	s_load_b32 s4, s[2:3], 0xd4
	s_cbranch_execz .LBB22_53
	s_branch .LBB22_60
.LBB22_52:
                                        ; implicit-def: $sgpr4
.LBB22_53:
	v_xor_b32_e32 v1, 16, v68
	v_xor_b32_e32 v3, 8, v68
	ds_load_b32 v0, v66 offset:1024
	v_xor_b32_e32 v4, 4, v68
	v_xor_b32_e32 v5, 2, v68
	v_cmp_gt_i32_e32 vcc_lo, 32, v1
	v_xor_b32_e32 v6, 1, v68
	s_waitcnt lgkmcnt(0)
	s_load_b32 s4, s[2:3], 0xd4
	v_lshlrev_b32_e32 v11, 3, v60
	v_cndmask_b32_e32 v1, v68, v1, vcc_lo
	v_cmp_gt_i32_e32 vcc_lo, 32, v3
	v_cndmask_b32_e32 v3, v68, v3, vcc_lo
	v_cmp_gt_i32_e32 vcc_lo, 32, v4
	;; [unrolled: 2-line block ×3, first 2 shown]
	s_delay_alu instid0(VALU_DEP_2)
	v_lshlrev_b32_e32 v4, 2, v4
	v_lshlrev_b32_e32 v2, 2, v1
	v_cndmask_b32_e32 v5, v68, v5, vcc_lo
	v_cmp_gt_i32_e32 vcc_lo, 32, v6
	ds_bpermute_b32 v1, v2, v0
	v_dual_max_f32 v0, v0, v0 :: v_dual_lshlrev_b32 v5, 2, v5
	v_cndmask_b32_e32 v6, v68, v6, vcc_lo
	s_waitcnt lgkmcnt(0)
	s_delay_alu instid0(VALU_DEP_1) | instskip(NEXT) | instid1(VALU_DEP_1)
	v_dual_max_f32 v1, v1, v1 :: v_dual_lshlrev_b32 v6, 2, v6
	v_dual_max_f32 v0, v0, v1 :: v_dual_lshlrev_b32 v3, 2, v3
	ds_bpermute_b32 v1, v3, v0
	s_waitcnt lgkmcnt(0)
	v_max_f32_e32 v1, v1, v1
	s_delay_alu instid0(VALU_DEP_1) | instskip(SKIP_3) | instid1(VALU_DEP_1)
	v_max_f32_e32 v0, v0, v1
	ds_bpermute_b32 v1, v4, v0
	s_waitcnt lgkmcnt(0)
	v_max_f32_e32 v1, v1, v1
	v_max_f32_e32 v0, v0, v1
	ds_bpermute_b32 v1, v5, v0
	s_waitcnt lgkmcnt(0)
	v_max_f32_e32 v1, v1, v1
	s_delay_alu instid0(VALU_DEP_1) | instskip(SKIP_3) | instid1(VALU_DEP_1)
	v_max_f32_e32 v0, v0, v1
	ds_bpermute_b32 v1, v6, v0
	s_waitcnt lgkmcnt(0)
	v_max_f32_e32 v1, v1, v1
	v_max_f32_e32 v0, v0, v1
	s_delay_alu instid0(VALU_DEP_1) | instskip(NEXT) | instid1(VALU_DEP_1)
	v_sub_f32_e32 v1, v58, v0
	v_mul_f32_e32 v7, 0x3fb8aa3b, v1
	v_cmp_ngt_f32_e32 vcc_lo, 0xc2ce8ed0, v1
	s_delay_alu instid0(VALU_DEP_2) | instskip(SKIP_1) | instid1(VALU_DEP_1)
	v_fma_f32 v8, 0x3fb8aa3b, v1, -v7
	v_rndne_f32_e32 v9, v7
	v_dual_fmamk_f32 v8, v1, 0x32a5705f, v8 :: v_dual_sub_f32 v7, v7, v9
	s_delay_alu instid0(VALU_DEP_1)
	v_add_f32_e32 v7, v7, v8
	v_cvt_i32_f32_e32 v8, v9
	ds_load_b64 v[9:10], v65
	v_exp_f32_e32 v7, v7
	s_waitcnt_depctr 0xfff
	v_ldexp_f32 v7, v7, v8
	s_delay_alu instid0(VALU_DEP_1) | instskip(SKIP_1) | instid1(VALU_DEP_2)
	v_cndmask_b32_e32 v7, 0, v7, vcc_lo
	v_cmp_nlt_f32_e32 vcc_lo, 0x42b17218, v1
	v_cndmask_b32_e32 v7, 0x7f800000, v7, vcc_lo
	s_delay_alu instid0(VALU_DEP_1)
	v_mul_f32_e32 v1, v56, v7
	ds_bpermute_b32 v1, v2, v1
	s_waitcnt lgkmcnt(0)
	v_fmac_f32_e32 v1, v56, v7
	v_cvt_f16_f32_e32 v7, v7
	ds_bpermute_b32 v8, v3, v1
	v_pk_mul_f16 v9, v7, v9 op_sel_hi:[0,1]
	v_pk_mul_f16 v10, v7, v10 op_sel_hi:[0,1]
	v_add_nc_u32_e32 v7, v62, v11
	ds_store_b64 v65, v[9:10]
	ds_store_b64 v7, v[9:10]
	s_waitcnt lgkmcnt(2)
	v_add_f32_e32 v1, v1, v8
	ds_bpermute_b32 v8, v4, v1
	s_waitcnt lgkmcnt(0)
	v_add_f32_e32 v1, v1, v8
	ds_bpermute_b32 v8, v5, v1
	;; [unrolled: 3-line block ×3, first 2 shown]
	s_and_saveexec_b32 s1, s0
	s_cbranch_execz .LBB22_55
; %bb.54:
	s_waitcnt lgkmcnt(0)
	v_dual_add_f32 v1, v1, v8 :: v_dual_lshlrev_b32 v8, 2, v61
	ds_store_b32 v8, v1 offset:1280
.LBB22_55:
	s_or_b32 exec_lo, exec_lo, s1
	s_waitcnt lgkmcnt(0)
	s_barrier
	buffer_gl0_inv
	ds_load_b32 v1, v66 offset:1280
	ds_load_u16 v8, v64
	ds_load_u16 v9, v64 offset:256
	ds_load_u16 v10, v64 offset:512
	;; [unrolled: 1-line block ×3, first 2 shown]
	s_cmp_eq_u32 s4, 1
	s_mul_i32 s2, s33, s34
	s_cselect_b32 s1, -1, 0
	s_add_i32 s2, s2, s15
	s_delay_alu instid0(SALU_CYCLE_1) | instskip(NEXT) | instid1(SALU_CYCLE_1)
	s_mul_i32 s2, s2, s35
	s_add_i32 s2, s2, s12
	s_delay_alu instid0(SALU_CYCLE_1) | instskip(NEXT) | instid1(SALU_CYCLE_1)
	s_mul_i32 s3, s4, s2
	s_add_i32 s3, s3, s14
	s_waitcnt lgkmcnt(4)
	ds_bpermute_b32 v12, v2, v1
	s_waitcnt lgkmcnt(4)
	v_cvt_f32_f16_e32 v8, v8
	s_waitcnt lgkmcnt(3)
	v_cvt_f32_f16_e32 v9, v9
	;; [unrolled: 2-line block ×3, first 2 shown]
	v_add_f32_e32 v8, 0, v8
	s_delay_alu instid0(VALU_DEP_1) | instskip(SKIP_3) | instid1(VALU_DEP_2)
	v_add_f32_e32 v8, v8, v9
	s_waitcnt lgkmcnt(1)
	v_cvt_f32_f16_e32 v9, v11
	s_waitcnt lgkmcnt(0)
	v_dual_add_f32 v8, v8, v10 :: v_dual_add_f32 v1, v1, v12
	s_delay_alu instid0(VALU_DEP_1)
	v_add_f32_e32 v10, v8, v9
	ds_bpermute_b32 v12, v3, v1
	s_waitcnt lgkmcnt(0)
	v_add_f32_e32 v1, v1, v12
	ds_bpermute_b32 v12, v4, v1
	s_waitcnt lgkmcnt(0)
	;; [unrolled: 3-line block ×4, first 2 shown]
	v_add_f32_e32 v56, v1, v12
	s_delay_alu instid0(VALU_DEP_1) | instskip(SKIP_1) | instid1(VALU_DEP_2)
	v_div_scale_f32 v1, null, v56, v56, v10
	v_div_scale_f32 v11, vcc_lo, v10, v56, v10
	v_rcp_f32_e32 v8, v1
	s_waitcnt_depctr 0xfff
	v_fma_f32 v9, -v1, v8, 1.0
	s_delay_alu instid0(VALU_DEP_1) | instskip(NEXT) | instid1(VALU_DEP_1)
	v_fmac_f32_e32 v8, v9, v8
	v_mul_f32_e32 v9, v11, v8
	s_delay_alu instid0(VALU_DEP_1) | instskip(NEXT) | instid1(VALU_DEP_1)
	v_fma_f32 v12, -v1, v9, v11
	v_fmac_f32_e32 v9, v12, v8
	s_delay_alu instid0(VALU_DEP_1) | instskip(NEXT) | instid1(VALU_DEP_1)
	v_fma_f32 v1, -v1, v9, v11
	v_div_fmas_f32 v1, v1, v8, v9
	v_mov_b32_e32 v9, 0
	v_lshl_or_b32 v8, s3, 7, v63
	s_or_b32 s3, s15, 1
	s_delay_alu instid0(VALU_DEP_3) | instskip(SKIP_1) | instid1(VALU_DEP_2)
	v_div_fixup_f32 v1, v1, v56, v10
	s_cmp_ge_i32 s3, s34
	v_lshlrev_b64 v[8:9], 2, v[8:9]
	s_delay_alu instid0(VALU_DEP_2) | instskip(SKIP_1) | instid1(VALU_DEP_3)
	v_cndmask_b32_e64 v10, v10, v1, s1
	v_mov_b32_e32 v1, v59
	v_add_co_u32 v8, vcc_lo, s28, v8
	s_delay_alu instid0(VALU_DEP_4)
	v_add_co_ci_u32_e32 v9, vcc_lo, s29, v9, vcc_lo
	global_store_b32 v[8:9], v10, off
	s_waitcnt_vscnt null, 0x0
	s_barrier
	buffer_gl0_inv
	s_cbranch_scc1 .LBB22_59
; %bb.56:
	v_or_b32_e32 v1, 0x400, v66
	ds_load_b32 v1, v1 offset:128
	s_waitcnt lgkmcnt(0)
	ds_bpermute_b32 v8, v2, v1
	s_waitcnt lgkmcnt(0)
	v_dual_max_f32 v1, v1, v1 :: v_dual_max_f32 v8, v8, v8
	s_delay_alu instid0(VALU_DEP_1) | instskip(SKIP_3) | instid1(VALU_DEP_1)
	v_max_f32_e32 v1, v1, v8
	ds_bpermute_b32 v8, v3, v1
	s_waitcnt lgkmcnt(0)
	v_max_f32_e32 v8, v8, v8
	v_max_f32_e32 v1, v1, v8
	ds_bpermute_b32 v8, v4, v1
	s_waitcnt lgkmcnt(0)
	v_max_f32_e32 v8, v8, v8
	s_delay_alu instid0(VALU_DEP_1) | instskip(SKIP_3) | instid1(VALU_DEP_1)
	v_max_f32_e32 v1, v1, v8
	ds_bpermute_b32 v8, v5, v1
	s_waitcnt lgkmcnt(0)
	v_max_f32_e32 v8, v8, v8
	v_max_f32_e32 v1, v1, v8
	ds_bpermute_b32 v8, v6, v1
	s_waitcnt lgkmcnt(0)
	v_max_f32_e32 v8, v8, v8
	s_delay_alu instid0(VALU_DEP_1) | instskip(NEXT) | instid1(VALU_DEP_1)
	v_max_f32_e32 v1, v1, v8
	v_sub_f32_e32 v8, v59, v1
	s_delay_alu instid0(VALU_DEP_1) | instskip(SKIP_1) | instid1(VALU_DEP_2)
	v_mul_f32_e32 v9, 0x3fb8aa3b, v8
	v_cmp_ngt_f32_e32 vcc_lo, 0xc2ce8ed0, v8
	v_fma_f32 v10, 0x3fb8aa3b, v8, -v9
	v_rndne_f32_e32 v11, v9
	s_delay_alu instid0(VALU_DEP_1) | instskip(NEXT) | instid1(VALU_DEP_1)
	v_dual_fmamk_f32 v10, v8, 0x32a5705f, v10 :: v_dual_sub_f32 v9, v9, v11
	v_add_f32_e32 v9, v9, v10
	v_cvt_i32_f32_e32 v10, v11
	ds_load_b64 v[11:12], v65 offset:8
	v_exp_f32_e32 v9, v9
	s_waitcnt_depctr 0xfff
	v_ldexp_f32 v9, v9, v10
	s_delay_alu instid0(VALU_DEP_1) | instskip(SKIP_1) | instid1(VALU_DEP_2)
	v_cndmask_b32_e32 v9, 0, v9, vcc_lo
	v_cmp_nlt_f32_e32 vcc_lo, 0x42b17218, v8
	v_cndmask_b32_e32 v8, 0x7f800000, v9, vcc_lo
	s_delay_alu instid0(VALU_DEP_1)
	v_mul_f32_e32 v9, v57, v8
	ds_bpermute_b32 v9, v2, v9
	s_waitcnt lgkmcnt(0)
	v_fmac_f32_e32 v9, v57, v8
	v_cvt_f16_f32_e32 v8, v8
	ds_bpermute_b32 v10, v3, v9
	v_pk_mul_f16 v11, v8, v11 op_sel_hi:[0,1]
	v_pk_mul_f16 v12, v8, v12 op_sel_hi:[0,1]
	v_add_nc_u32_e32 v8, 0x500, v66
	ds_store_b64 v65, v[11:12] offset:8
	ds_store_b64 v7, v[11:12]
	s_waitcnt lgkmcnt(2)
	v_add_f32_e32 v9, v9, v10
	ds_bpermute_b32 v10, v4, v9
	s_waitcnt lgkmcnt(0)
	v_add_f32_e32 v9, v9, v10
	ds_bpermute_b32 v10, v5, v9
	;; [unrolled: 3-line block ×3, first 2 shown]
	s_and_saveexec_b32 s3, s0
	s_cbranch_execz .LBB22_58
; %bb.57:
	v_lshlrev_b32_e32 v7, 2, v61
	s_waitcnt lgkmcnt(0)
	v_add_f32_e32 v9, v9, v10
	ds_store_b32 v7, v9 offset:1408
.LBB22_58:
	s_or_b32 exec_lo, exec_lo, s3
	s_waitcnt lgkmcnt(0)
	s_barrier
	buffer_gl0_inv
	ds_load_b32 v7, v8 offset:128
	ds_load_u16 v8, v64
	ds_load_u16 v9, v64 offset:256
	ds_load_u16 v10, v64 offset:512
	;; [unrolled: 1-line block ×3, first 2 shown]
	s_add_i32 s2, s2, s35
	s_delay_alu instid0(SALU_CYCLE_1) | instskip(NEXT) | instid1(SALU_CYCLE_1)
	s_mul_i32 s0, s4, s2
	s_add_i32 s0, s0, s14
	s_waitcnt lgkmcnt(4)
	ds_bpermute_b32 v2, v2, v7
	s_waitcnt lgkmcnt(0)
	v_add_f32_e32 v2, v7, v2
	ds_bpermute_b32 v3, v3, v2
	s_waitcnt lgkmcnt(0)
	v_add_f32_e32 v2, v2, v3
	;; [unrolled: 3-line block ×3, first 2 shown]
	ds_bpermute_b32 v3, v5, v2
	v_cvt_f32_f16_e32 v5, v9
	s_waitcnt lgkmcnt(0)
	v_add_f32_e32 v2, v2, v3
	v_cvt_f32_f16_e32 v3, v8
	ds_bpermute_b32 v4, v6, v2
	v_add_f32_e32 v3, 0, v3
	v_cvt_f32_f16_e32 v6, v10
	s_delay_alu instid0(VALU_DEP_2) | instskip(SKIP_1) | instid1(VALU_DEP_2)
	v_add_f32_e32 v3, v3, v5
	v_cvt_f32_f16_e32 v5, v11
	v_add_f32_e32 v3, v3, v6
	s_delay_alu instid0(VALU_DEP_1) | instskip(SKIP_2) | instid1(VALU_DEP_1)
	v_add_f32_e32 v5, v3, v5
	s_waitcnt lgkmcnt(0)
	v_add_f32_e32 v57, v2, v4
	v_div_scale_f32 v3, null, v57, v57, v5
	v_div_scale_f32 v6, vcc_lo, v5, v57, v5
	s_delay_alu instid0(VALU_DEP_2) | instskip(SKIP_2) | instid1(VALU_DEP_1)
	v_rcp_f32_e32 v4, v3
	s_waitcnt_depctr 0xfff
	v_fma_f32 v2, -v3, v4, 1.0
	v_fmac_f32_e32 v4, v2, v4
	s_delay_alu instid0(VALU_DEP_1) | instskip(NEXT) | instid1(VALU_DEP_1)
	v_mul_f32_e32 v7, v6, v4
	v_fma_f32 v2, -v3, v7, v6
	s_delay_alu instid0(VALU_DEP_1) | instskip(SKIP_1) | instid1(VALU_DEP_2)
	v_fmac_f32_e32 v7, v2, v4
	v_lshl_or_b32 v2, s0, 7, v63
	v_fma_f32 v6, -v3, v7, v6
	v_mov_b32_e32 v3, 0
	s_delay_alu instid0(VALU_DEP_2) | instskip(NEXT) | instid1(VALU_DEP_2)
	v_div_fmas_f32 v4, v6, v4, v7
	v_lshlrev_b64 v[2:3], 2, v[2:3]
	s_delay_alu instid0(VALU_DEP_2) | instskip(NEXT) | instid1(VALU_DEP_2)
	v_div_fixup_f32 v4, v4, v57, v5
	v_add_co_u32 v2, vcc_lo, s28, v2
	s_delay_alu instid0(VALU_DEP_3) | instskip(NEXT) | instid1(VALU_DEP_3)
	v_add_co_ci_u32_e32 v3, vcc_lo, s29, v3, vcc_lo
	v_cndmask_b32_e64 v4, v5, v4, s1
	global_store_b32 v[2:3], v4, off
.LBB22_59:
	v_dual_mov_b32 v59, v1 :: v_dual_mov_b32 v58, v0
.LBB22_60:
	v_or_b32_e32 v0, s15, v60
	v_cmp_gt_u32_e32 vcc_lo, 2, v63
	s_waitcnt lgkmcnt(0)
	s_cmp_lg_u32 s4, 1
	s_cselect_b32 s1, -1, 0
	v_cmp_gt_i32_e64 s0, s34, v0
	s_and_b32 s1, vcc_lo, s1
	s_delay_alu instid0(VALU_DEP_1) | instid1(SALU_CYCLE_1)
	s_and_b32 s0, s1, s0
	s_delay_alu instid0(SALU_CYCLE_1)
	s_and_saveexec_b32 s1, s0
	s_cbranch_execz .LBB22_62
; %bb.61:
	v_mad_u64_u32 v[1:2], null, s33, s34, v[0:1]
	v_cmp_eq_u32_e32 vcc_lo, 1, v63
	s_delay_alu instid0(VALU_DEP_2) | instskip(SKIP_1) | instid1(VALU_DEP_2)
	v_mad_u64_u32 v[2:3], null, v1, s35, s[12:13]
	v_cndmask_b32_e32 v3, v56, v57, vcc_lo
	v_mad_u64_u32 v[0:1], null, s4, v2, s[14:15]
	v_dual_mov_b32 v1, 0 :: v_dual_cndmask_b32 v2, v58, v59
	s_delay_alu instid0(VALU_DEP_1) | instskip(NEXT) | instid1(VALU_DEP_1)
	v_lshlrev_b64 v[0:1], 3, v[0:1]
	v_add_co_u32 v0, vcc_lo, s30, v0
	s_delay_alu instid0(VALU_DEP_2)
	v_add_co_ci_u32_e32 v1, vcc_lo, s31, v1, vcc_lo
	global_store_b64 v[0:1], v[2:3], off
.LBB22_62:
	s_nop 0
	s_sendmsg sendmsg(MSG_DEALLOC_VGPRS)
	s_endpgm
	.section	.rodata,"a",@progbits
	.p2align	6, 0x0
	.amdhsa_kernel _ZL18flash_attn_ext_vecILi128ELi2EL9ggml_type3ELS0_3ELb1EEvPKcS2_S2_S2_S2_PKiPfP15HIP_vector_typeIfLj2EEffffjfiS6_IjLj3EEiiiiiiiiiiiliiliiiiil
		.amdhsa_group_segment_fixed_size 3584
		.amdhsa_private_segment_fixed_size 0
		.amdhsa_kernarg_size 464
		.amdhsa_user_sgpr_count 13
		.amdhsa_user_sgpr_dispatch_ptr 1
		.amdhsa_user_sgpr_queue_ptr 0
		.amdhsa_user_sgpr_kernarg_segment_ptr 1
		.amdhsa_user_sgpr_dispatch_id 0
		.amdhsa_user_sgpr_private_segment_size 0
		.amdhsa_wavefront_size32 1
		.amdhsa_uses_dynamic_stack 0
		.amdhsa_enable_private_segment 0
		.amdhsa_system_sgpr_workgroup_id_x 1
		.amdhsa_system_sgpr_workgroup_id_y 1
		.amdhsa_system_sgpr_workgroup_id_z 1
		.amdhsa_system_sgpr_workgroup_info 0
		.amdhsa_system_vgpr_workitem_id 2
		.amdhsa_next_free_vgpr 256
		.amdhsa_next_free_sgpr 53
		.amdhsa_reserve_vcc 1
		.amdhsa_float_round_mode_32 0
		.amdhsa_float_round_mode_16_64 0
		.amdhsa_float_denorm_mode_32 3
		.amdhsa_float_denorm_mode_16_64 3
		.amdhsa_dx10_clamp 1
		.amdhsa_ieee_mode 1
		.amdhsa_fp16_overflow 0
		.amdhsa_workgroup_processor_mode 1
		.amdhsa_memory_ordered 1
		.amdhsa_forward_progress 0
		.amdhsa_shared_vgpr_count 0
		.amdhsa_exception_fp_ieee_invalid_op 0
		.amdhsa_exception_fp_denorm_src 0
		.amdhsa_exception_fp_ieee_div_zero 0
		.amdhsa_exception_fp_ieee_overflow 0
		.amdhsa_exception_fp_ieee_underflow 0
		.amdhsa_exception_fp_ieee_inexact 0
		.amdhsa_exception_int_div_zero 0
	.end_amdhsa_kernel
	.section	.text._ZL18flash_attn_ext_vecILi128ELi2EL9ggml_type3ELS0_3ELb1EEvPKcS2_S2_S2_S2_PKiPfP15HIP_vector_typeIfLj2EEffffjfiS6_IjLj3EEiiiiiiiiiiiliiliiiiil,"axG",@progbits,_ZL18flash_attn_ext_vecILi128ELi2EL9ggml_type3ELS0_3ELb1EEvPKcS2_S2_S2_S2_PKiPfP15HIP_vector_typeIfLj2EEffffjfiS6_IjLj3EEiiiiiiiiiiiliiliiiiil,comdat
.Lfunc_end22:
	.size	_ZL18flash_attn_ext_vecILi128ELi2EL9ggml_type3ELS0_3ELb1EEvPKcS2_S2_S2_S2_PKiPfP15HIP_vector_typeIfLj2EEffffjfiS6_IjLj3EEiiiiiiiiiiiliiliiiiil, .Lfunc_end22-_ZL18flash_attn_ext_vecILi128ELi2EL9ggml_type3ELS0_3ELb1EEvPKcS2_S2_S2_S2_PKiPfP15HIP_vector_typeIfLj2EEffffjfiS6_IjLj3EEiiiiiiiiiiiliiliiiiil
                                        ; -- End function
	.section	.AMDGPU.csdata,"",@progbits
; Kernel info:
; codeLenInByte = 21044
; NumSgprs: 55
; NumVgprs: 256
; ScratchSize: 0
; MemoryBound: 0
; FloatMode: 240
; IeeeMode: 1
; LDSByteSize: 3584 bytes/workgroup (compile time only)
; SGPRBlocks: 6
; VGPRBlocks: 31
; NumSGPRsForWavesPerEU: 55
; NumVGPRsForWavesPerEU: 256
; Occupancy: 5
; WaveLimiterHint : 0
; COMPUTE_PGM_RSRC2:SCRATCH_EN: 0
; COMPUTE_PGM_RSRC2:USER_SGPR: 13
; COMPUTE_PGM_RSRC2:TRAP_HANDLER: 0
; COMPUTE_PGM_RSRC2:TGID_X_EN: 1
; COMPUTE_PGM_RSRC2:TGID_Y_EN: 1
; COMPUTE_PGM_RSRC2:TGID_Z_EN: 1
; COMPUTE_PGM_RSRC2:TIDIG_COMP_CNT: 2
	.section	.text._ZL18flash_attn_ext_vecILi256ELi1EL9ggml_type3ELS0_3ELb0EEvPKcS2_S2_S2_S2_PKiPfP15HIP_vector_typeIfLj2EEffffjfiS6_IjLj3EEiiiiiiiiiiiliiliiiiil,"axG",@progbits,_ZL18flash_attn_ext_vecILi256ELi1EL9ggml_type3ELS0_3ELb0EEvPKcS2_S2_S2_S2_PKiPfP15HIP_vector_typeIfLj2EEffffjfiS6_IjLj3EEiiiiiiiiiiiliiliiiiil,comdat
	.globl	_ZL18flash_attn_ext_vecILi256ELi1EL9ggml_type3ELS0_3ELb0EEvPKcS2_S2_S2_S2_PKiPfP15HIP_vector_typeIfLj2EEffffjfiS6_IjLj3EEiiiiiiiiiiiliiliiiiil ; -- Begin function _ZL18flash_attn_ext_vecILi256ELi1EL9ggml_type3ELS0_3ELb0EEvPKcS2_S2_S2_S2_PKiPfP15HIP_vector_typeIfLj2EEffffjfiS6_IjLj3EEiiiiiiiiiiiliiliiiiil
	.p2align	8
	.type	_ZL18flash_attn_ext_vecILi256ELi1EL9ggml_type3ELS0_3ELb0EEvPKcS2_S2_S2_S2_PKiPfP15HIP_vector_typeIfLj2EEffffjfiS6_IjLj3EEiiiiiiiiiiiliiliiiiil,@function
_ZL18flash_attn_ext_vecILi256ELi1EL9ggml_type3ELS0_3ELb0EEvPKcS2_S2_S2_S2_PKiPfP15HIP_vector_typeIfLj2EEffffjfiS6_IjLj3EEiiiiiiiiiiiliiliiiiil: ; @_ZL18flash_attn_ext_vecILi256ELi1EL9ggml_type3ELS0_3ELb0EEvPKcS2_S2_S2_S2_PKiPfP15HIP_vector_typeIfLj2EEffffjfiS6_IjLj3EEiiiiiiiiiiiliiliiiiil
; %bb.0:
	s_clause 0x2
	s_load_b64 s[84:85], s[0:1], 0x64
	s_load_b64 s[88:89], s[0:1], 0x80
	;; [unrolled: 1-line block ×3, first 2 shown]
	v_mov_b32_e32 v3, 1.0
	scratch_store_b32 off, v3, off offset:552 ; 4-byte Folded Spill
	s_waitcnt lgkmcnt(0)
	v_cvt_f32_u32_e32 v1, s85
	s_sub_i32 s3, 0, s85
	s_delay_alu instid0(VALU_DEP_1) | instskip(SKIP_2) | instid1(VALU_DEP_1)
	v_rcp_iflag_f32_e32 v1, v1
	s_waitcnt_depctr 0xfff
	v_mul_f32_e32 v1, 0x4f7ffffe, v1
	v_cvt_u32_f32_e32 v1, v1
	s_delay_alu instid0(VALU_DEP_1) | instskip(NEXT) | instid1(VALU_DEP_1)
	v_readfirstlane_b32 s2, v1
	s_mul_i32 s3, s3, s2
	s_delay_alu instid0(SALU_CYCLE_1) | instskip(NEXT) | instid1(SALU_CYCLE_1)
	s_mul_hi_u32 s3, s2, s3
	s_add_i32 s2, s2, s3
	s_delay_alu instid0(SALU_CYCLE_1) | instskip(NEXT) | instid1(SALU_CYCLE_1)
	s_mul_hi_u32 s2, s15, s2
	s_mul_i32 s3, s2, s85
	s_add_i32 s4, s2, 1
	s_sub_i32 s3, s15, s3
	s_delay_alu instid0(SALU_CYCLE_1)
	s_sub_i32 s5, s3, s85
	s_cmp_ge_u32 s3, s85
	s_cselect_b32 s2, s4, s2
	s_cselect_b32 s3, s5, s3
	s_add_i32 s4, s2, 1
	s_cmp_ge_u32 s3, s85
	s_cselect_b32 s94, s4, s2
	s_abs_i32 s2, s89
	s_abs_i32 s8, s85
	v_cvt_f32_u32_e32 v1, s2
	s_sub_i32 s4, 0, s2
	s_xor_b32 s5, s85, s89
	s_delay_alu instid0(SALU_CYCLE_1) | instskip(NEXT) | instid1(VALU_DEP_1)
	s_ashr_i32 s5, s5, 31
	v_rcp_iflag_f32_e32 v1, v1
	s_waitcnt_depctr 0xfff
	v_mul_f32_e32 v1, 0x4f7ffffe, v1
	s_delay_alu instid0(VALU_DEP_1) | instskip(NEXT) | instid1(VALU_DEP_1)
	v_cvt_u32_f32_e32 v1, v1
	v_readfirstlane_b32 s3, v1
	s_delay_alu instid0(VALU_DEP_1) | instskip(NEXT) | instid1(SALU_CYCLE_1)
	s_mul_i32 s4, s4, s3
	s_mul_hi_u32 s4, s3, s4
	s_delay_alu instid0(SALU_CYCLE_1) | instskip(SKIP_4) | instid1(SALU_CYCLE_1)
	s_add_i32 s3, s3, s4
	s_mul_i32 s4, s94, s85
	s_mul_hi_u32 s3, s8, s3
	s_sub_i32 s86, s15, s4
	s_mul_i32 s9, s3, s2
	s_sub_i32 s4, s8, s9
	s_add_i32 s8, s3, 1
	s_sub_i32 s9, s4, s2
	s_cmp_ge_u32 s4, s2
	s_cselect_b32 s3, s8, s3
	s_cselect_b32 s4, s9, s4
	s_add_i32 s8, s3, 1
	s_cmp_ge_u32 s4, s2
	s_cselect_b32 s2, s8, s3
	s_abs_i32 s12, s6
	s_xor_b32 s2, s2, s5
	v_cvt_f32_u32_e32 v1, s12
	s_sub_i32 s17, s2, s5
	s_clause 0x1
	s_load_b128 s[8:11], s[0:1], 0x40
	s_load_b32 s2, s[0:1], 0x50
	s_abs_i32 s15, s17
	v_rcp_iflag_f32_e32 v1, v1
	v_cvt_f32_u32_e32 v2, s15
	s_sub_i32 s4, 0, s15
	s_abs_i32 s16, s86
	s_delay_alu instid0(VALU_DEP_1) | instskip(SKIP_2) | instid1(VALU_DEP_1)
	v_rcp_iflag_f32_e32 v2, v2
	s_waitcnt_depctr 0xfff
	v_mul_f32_e32 v1, 0x4f7ffffe, v1
	v_cvt_u32_f32_e32 v1, v1
	v_mul_f32_e32 v2, 0x4f7ffffe, v2
	s_waitcnt lgkmcnt(0)
	v_cmp_le_f32_e64 s3, s9, 0
	s_abs_i32 s9, s94
	v_readfirstlane_b32 s5, v1
	v_cvt_u32_f32_e32 v2, v2
	s_delay_alu instid0(VALU_DEP_3)
	s_and_b32 vcc_lo, exec_lo, s3
	s_sub_i32 s3, 0, s12
	s_delay_alu instid0(VALU_DEP_2) | instid1(SALU_CYCLE_1)
	s_mul_i32 s3, s3, s5
	s_delay_alu instid0(VALU_DEP_1) | instskip(SKIP_1) | instid1(SALU_CYCLE_1)
	v_readfirstlane_b32 s6, v2
	s_mul_hi_u32 s3, s5, s3
	s_add_i32 s5, s5, s3
	s_delay_alu instid0(VALU_DEP_1) | instskip(NEXT) | instid1(SALU_CYCLE_1)
	s_mul_i32 s4, s4, s6
	s_mul_hi_u32 s4, s6, s4
	s_delay_alu instid0(SALU_CYCLE_1)
	s_add_i32 s6, s6, s4
	s_cbranch_vccnz .LBB23_2
; %bb.1:
	s_sub_i32 s3, s86, s2
	s_add_i32 s4, s86, 1
	s_lshl_b32 s3, s3, 1
	v_mov_b32_e32 v1, s10
	s_or_b32 s3, s3, 1
	s_cmp_lt_u32 s86, s2
	s_cselect_b32 vcc_lo, -1, 0
	s_delay_alu instid0(VALU_DEP_1)
	v_cndmask_b32_e32 v3, s11, v1, vcc_lo
	s_and_b32 s2, vcc_lo, exec_lo
	s_cselect_b32 s2, s4, s3
	s_mov_b32 s3, 0x3e76c4e1
	v_cvt_f32_i32_e32 v1, s2
	v_cmp_neq_f32_e32 vcc_lo, 1.0, v3
	s_delay_alu instid0(VALU_DEP_2) | instskip(NEXT) | instid1(VALU_DEP_1)
	v_cndmask_b32_e32 v4, 1.0, v1, vcc_lo
	v_cmp_eq_f32_e32 vcc_lo, 0, v4
	v_cndmask_b32_e64 v5, |v3|, 1.0, vcc_lo
	s_delay_alu instid0(VALU_DEP_1) | instskip(NEXT) | instid1(VALU_DEP_1)
	v_frexp_mant_f32_e32 v1, v5
	v_cmp_gt_f32_e64 s2, 0x3f2aaaab, v1
	s_delay_alu instid0(VALU_DEP_1) | instskip(NEXT) | instid1(VALU_DEP_1)
	v_cndmask_b32_e64 v2, 1.0, 2.0, s2
	v_mul_f32_e32 v1, v1, v2
	s_delay_alu instid0(VALU_DEP_1) | instskip(SKIP_1) | instid1(VALU_DEP_2)
	v_add_f32_e32 v2, 1.0, v1
	v_add_f32_e32 v7, -1.0, v1
	v_rcp_f32_e32 v6, v2
	s_waitcnt_depctr 0xfff
	v_mul_f32_e32 v8, v7, v6
	s_delay_alu instid0(VALU_DEP_1) | instskip(NEXT) | instid1(VALU_DEP_1)
	v_dual_add_f32 v9, -1.0, v2 :: v_dual_mul_f32 v10, v2, v8
	v_sub_f32_e32 v1, v1, v9
	v_cndmask_b32_e64 v3, v3, 1.0, vcc_lo
	s_delay_alu instid0(VALU_DEP_3) | instskip(NEXT) | instid1(VALU_DEP_2)
	v_fma_f32 v2, v8, v2, -v10
	v_cmp_eq_f32_e64 s4, 0, v3
	s_delay_alu instid0(VALU_DEP_2) | instskip(NEXT) | instid1(VALU_DEP_1)
	v_fmac_f32_e32 v2, v8, v1
	v_add_f32_e32 v1, v10, v2
	s_delay_alu instid0(VALU_DEP_1) | instskip(NEXT) | instid1(VALU_DEP_1)
	v_dual_sub_f32 v10, v1, v10 :: v_dual_sub_f32 v9, v7, v1
	v_dual_sub_f32 v2, v10, v2 :: v_dual_sub_f32 v7, v7, v9
	s_delay_alu instid0(VALU_DEP_1) | instskip(NEXT) | instid1(VALU_DEP_1)
	v_sub_f32_e32 v1, v7, v1
	v_add_f32_e32 v1, v2, v1
	s_delay_alu instid0(VALU_DEP_1) | instskip(NEXT) | instid1(VALU_DEP_1)
	v_add_f32_e32 v1, v9, v1
	v_mul_f32_e32 v1, v6, v1
	s_delay_alu instid0(VALU_DEP_1) | instskip(NEXT) | instid1(VALU_DEP_1)
	v_add_f32_e32 v6, v8, v1
	v_sub_f32_e32 v2, v6, v8
	v_mul_f32_e32 v7, v6, v6
	s_delay_alu instid0(VALU_DEP_2) | instskip(NEXT) | instid1(VALU_DEP_2)
	v_sub_f32_e32 v8, v1, v2
	v_fma_f32 v9, v6, v6, -v7
	s_delay_alu instid0(VALU_DEP_2) | instskip(NEXT) | instid1(VALU_DEP_1)
	v_add_f32_e32 v1, v8, v8
	v_fmac_f32_e32 v9, v6, v1
	v_cvt_f64_f32_e32 v[1:2], v5
	s_delay_alu instid0(VALU_DEP_2) | instskip(NEXT) | instid1(VALU_DEP_1)
	v_add_f32_e32 v10, v7, v9
	v_fmaak_f32 v11, s3, v10, 0x3e91f4c4
	v_sub_f32_e32 v7, v10, v7
	v_mul_f32_e32 v14, v6, v10
	s_delay_alu instid0(VALU_DEP_3) | instskip(NEXT) | instid1(VALU_DEP_3)
	v_fmaak_f32 v11, v10, v11, 0x3ecccdef
	v_sub_f32_e32 v7, v9, v7
	s_delay_alu instid0(VALU_DEP_2) | instskip(NEXT) | instid1(VALU_DEP_1)
	v_mul_f32_e32 v12, v10, v11
	v_fma_f32 v9, v10, v11, -v12
	s_delay_alu instid0(VALU_DEP_1) | instskip(NEXT) | instid1(VALU_DEP_1)
	v_fmac_f32_e32 v9, v7, v11
	v_add_f32_e32 v11, v12, v9
	v_frexp_exp_i32_f64_e32 v1, v[1:2]
	s_delay_alu instid0(VALU_DEP_2) | instskip(NEXT) | instid1(VALU_DEP_1)
	v_sub_f32_e32 v12, v11, v12
	v_sub_f32_e32 v2, v9, v12
	v_fma_f32 v12, v10, v6, -v14
	s_delay_alu instid0(VALU_DEP_2) | instskip(NEXT) | instid1(VALU_DEP_2)
	v_add_f32_e32 v2, 0x31739010, v2
	v_dual_add_f32 v13, 0x3f2aaaaa, v11 :: v_dual_fmac_f32 v12, v10, v8
	v_ldexp_f32 v8, v8, 1
	s_delay_alu instid0(VALU_DEP_2) | instskip(NEXT) | instid1(VALU_DEP_1)
	v_dual_add_f32 v9, 0xbf2aaaaa, v13 :: v_dual_fmac_f32 v12, v7, v6
	v_sub_f32_e32 v9, v11, v9
	s_delay_alu instid0(VALU_DEP_1) | instskip(NEXT) | instid1(VALU_DEP_3)
	v_add_f32_e32 v2, v2, v9
	v_add_f32_e32 v9, v14, v12
	s_delay_alu instid0(VALU_DEP_2) | instskip(NEXT) | instid1(VALU_DEP_1)
	v_add_f32_e32 v7, v13, v2
	v_sub_f32_e32 v10, v13, v7
	s_delay_alu instid0(VALU_DEP_3) | instskip(SKIP_2) | instid1(VALU_DEP_4)
	v_mul_f32_e32 v11, v9, v7
	v_sub_f32_e32 v13, v9, v14
	v_subrev_co_ci_u32_e64 v1, s2, 0, v1, s2
	v_add_f32_e32 v2, v2, v10
	s_delay_alu instid0(VALU_DEP_4) | instskip(NEXT) | instid1(VALU_DEP_4)
	v_fma_f32 v10, v9, v7, -v11
	v_sub_f32_e32 v12, v12, v13
	s_delay_alu instid0(VALU_DEP_4) | instskip(NEXT) | instid1(VALU_DEP_3)
	v_cvt_f32_i32_e32 v1, v1
	v_fmac_f32_e32 v10, v9, v2
	v_ldexp_f32 v2, v6, 1
	s_delay_alu instid0(VALU_DEP_2) | instskip(NEXT) | instid1(VALU_DEP_1)
	v_fmac_f32_e32 v10, v12, v7
	v_add_f32_e32 v6, v11, v10
	s_delay_alu instid0(VALU_DEP_1) | instskip(NEXT) | instid1(VALU_DEP_1)
	v_add_f32_e32 v7, v2, v6
	v_dual_sub_f32 v2, v7, v2 :: v_dual_sub_f32 v9, v6, v11
	s_delay_alu instid0(VALU_DEP_1) | instskip(NEXT) | instid1(VALU_DEP_2)
	v_sub_f32_e32 v2, v6, v2
	v_sub_f32_e32 v9, v10, v9
	s_delay_alu instid0(VALU_DEP_1) | instskip(NEXT) | instid1(VALU_DEP_1)
	v_add_f32_e32 v6, v8, v9
	v_dual_mul_f32 v11, 0x3f317218, v1 :: v_dual_add_f32 v2, v6, v2
	s_delay_alu instid0(VALU_DEP_1) | instskip(NEXT) | instid1(VALU_DEP_2)
	v_fma_f32 v10, 0x3f317218, v1, -v11
	v_add_f32_e32 v8, v7, v2
	s_delay_alu instid0(VALU_DEP_1) | instskip(NEXT) | instid1(VALU_DEP_1)
	v_sub_f32_e32 v7, v8, v7
	v_dual_fmamk_f32 v1, v1, 0xb102e308, v10 :: v_dual_sub_f32 v2, v2, v7
	s_delay_alu instid0(VALU_DEP_1) | instskip(NEXT) | instid1(VALU_DEP_1)
	v_add_f32_e32 v6, v11, v1
	v_add_f32_e32 v9, v6, v8
	s_delay_alu instid0(VALU_DEP_1) | instskip(NEXT) | instid1(VALU_DEP_1)
	v_dual_sub_f32 v11, v6, v11 :: v_dual_sub_f32 v10, v9, v6
	v_sub_f32_e32 v12, v9, v10
	s_delay_alu instid0(VALU_DEP_2) | instskip(NEXT) | instid1(VALU_DEP_2)
	v_sub_f32_e32 v1, v1, v11
	v_dual_sub_f32 v7, v8, v10 :: v_dual_sub_f32 v6, v6, v12
	s_delay_alu instid0(VALU_DEP_2) | instskip(NEXT) | instid1(VALU_DEP_2)
	v_add_f32_e32 v8, v1, v2
	v_add_f32_e32 v6, v7, v6
	s_delay_alu instid0(VALU_DEP_1) | instskip(NEXT) | instid1(VALU_DEP_1)
	v_add_f32_e32 v6, v8, v6
	v_dual_sub_f32 v7, v8, v1 :: v_dual_add_f32 v10, v9, v6
	s_delay_alu instid0(VALU_DEP_1) | instskip(SKIP_1) | instid1(VALU_DEP_3)
	v_sub_f32_e32 v8, v8, v7
	v_sub_f32_e32 v2, v2, v7
	;; [unrolled: 1-line block ×3, first 2 shown]
	s_delay_alu instid0(VALU_DEP_3) | instskip(NEXT) | instid1(VALU_DEP_1)
	v_sub_f32_e32 v1, v1, v8
	v_add_f32_e32 v1, v2, v1
	s_delay_alu instid0(VALU_DEP_3) | instskip(NEXT) | instid1(VALU_DEP_1)
	v_sub_f32_e32 v2, v6, v7
	v_add_f32_e32 v1, v1, v2
	s_delay_alu instid0(VALU_DEP_1) | instskip(NEXT) | instid1(VALU_DEP_1)
	v_add_f32_e32 v2, v10, v1
	v_mul_f32_e32 v7, v4, v2
	v_sub_f32_e32 v6, v2, v10
	s_delay_alu instid0(VALU_DEP_2) | instskip(NEXT) | instid1(VALU_DEP_2)
	v_fma_f32 v2, v4, v2, -v7
	v_sub_f32_e32 v1, v1, v6
	v_cmp_class_f32_e64 s2, v7, 0x204
	s_delay_alu instid0(VALU_DEP_2) | instskip(NEXT) | instid1(VALU_DEP_1)
	v_fmac_f32_e32 v2, v4, v1
	v_add_f32_e32 v1, v7, v2
	s_delay_alu instid0(VALU_DEP_1) | instskip(NEXT) | instid1(VALU_DEP_1)
	v_cndmask_b32_e64 v6, v1, v7, s2
	v_cmp_eq_f32_e64 s2, 0x42b17218, v6
	s_delay_alu instid0(VALU_DEP_1) | instskip(SKIP_1) | instid1(VALU_DEP_2)
	v_cndmask_b32_e64 v8, 0, 0x37000000, s2
	v_cmp_neq_f32_e64 s2, 0x7f800000, |v6|
	v_sub_f32_e32 v9, v6, v8
	v_trunc_f32_e32 v6, v4
	s_delay_alu instid0(VALU_DEP_2) | instskip(NEXT) | instid1(VALU_DEP_1)
	v_mul_f32_e32 v10, 0x3fb8aa3b, v9
	v_fma_f32 v11, 0x3fb8aa3b, v9, -v10
	v_rndne_f32_e32 v12, v10
	s_delay_alu instid0(VALU_DEP_1) | instskip(NEXT) | instid1(VALU_DEP_1)
	v_dual_fmamk_f32 v11, v9, 0x32a5705f, v11 :: v_dual_sub_f32 v10, v10, v12
	v_add_f32_e32 v10, v10, v11
	v_sub_f32_e32 v1, v1, v7
	v_cvt_i32_f32_e32 v7, v12
	s_delay_alu instid0(VALU_DEP_3) | instskip(NEXT) | instid1(VALU_DEP_2)
	v_exp_f32_e32 v10, v10
	v_sub_f32_e32 v1, v2, v1
	s_delay_alu instid0(VALU_DEP_1)
	v_cndmask_b32_e64 v1, 0, v1, s2
	v_cmp_ngt_f32_e64 s2, 0xc2ce8ed0, v9
	s_waitcnt_depctr 0xfff
	v_ldexp_f32 v2, v10, v7
	v_mul_f32_e32 v7, 0.5, v4
	v_add_f32_e32 v1, v8, v1
	s_delay_alu instid0(VALU_DEP_3) | instskip(NEXT) | instid1(VALU_DEP_3)
	v_cndmask_b32_e64 v2, 0, v2, s2
	v_trunc_f32_e32 v10, v7
	v_cmp_nlt_f32_e64 s2, 0x42b17218, v9
	s_delay_alu instid0(VALU_DEP_2) | instskip(NEXT) | instid1(VALU_DEP_2)
	v_cmp_neq_f32_e64 s3, v10, v7
	v_cndmask_b32_e64 v2, 0x7f800000, v2, s2
	v_cmp_eq_f32_e64 s2, v6, v4
	s_delay_alu instid0(VALU_DEP_2) | instskip(NEXT) | instid1(VALU_DEP_2)
	v_fma_f32 v1, v2, v1, v2
	s_and_b32 vcc_lo, s2, s3
	v_cmp_class_f32_e64 s3, v2, 0x204
	v_cndmask_b32_e32 v6, 1.0, v3, vcc_lo
	s_delay_alu instid0(VALU_DEP_2) | instskip(SKIP_1) | instid1(VALU_DEP_2)
	v_cndmask_b32_e64 v1, v1, v2, s3
	v_cmp_gt_f32_e64 s3, 0, v4
	v_bfi_b32 v1, 0x7fffffff, v1, v6
	v_cndmask_b32_e32 v6, 0, v3, vcc_lo
	s_delay_alu instid0(VALU_DEP_3)
	s_xor_b32 s3, s3, s4
	v_cmp_eq_f32_e32 vcc_lo, 0x7f800000, v5
	v_cndmask_b32_e64 v2, 0x7f800000, 0, s3
	v_cndmask_b32_e64 v4, 0x7fc00000, v1, s2
	v_cmp_gt_f32_e64 s2, 0, v3
	s_or_b32 vcc_lo, vcc_lo, s4
	s_delay_alu instid0(VALU_DEP_3) | instskip(NEXT) | instid1(VALU_DEP_2)
	v_bfi_b32 v2, 0x7fffffff, v2, v6
	v_cndmask_b32_e64 v1, v1, v4, s2
	s_delay_alu instid0(VALU_DEP_1) | instskip(SKIP_1) | instid1(VALU_DEP_2)
	v_cndmask_b32_e32 v1, v1, v2, vcc_lo
	v_cmp_o_f32_e32 vcc_lo, v3, v3
	v_cndmask_b32_e32 v1, 0x7fc00000, v1, vcc_lo
	scratch_store_b32 off, v1, off offset:552 ; 4-byte Folded Spill
.LBB23_2:
	s_load_b512 s[64:79], s[0:1], 0x0
	v_bfe_u32 v32, v0, 10, 10
	v_and_b32_e32 v33, 0x3ff, v0
	s_mul_hi_u32 s10, s16, s6
	s_mul_hi_u32 s11, s9, s5
	s_delay_alu instid0(VALU_DEP_2) | instskip(NEXT) | instid1(VALU_DEP_1)
	v_cmp_eq_u32_e64 s2, 0, v32
	s_and_saveexec_b32 s18, s2
	s_cbranch_execz .LBB23_11
; %bb.3:
	s_load_b128 s[20:23], s[0:1], 0x70
	v_lshlrev_b32_e32 v0, 4, v33
	v_mbcnt_lo_u32_b32 v8, -1, 0
	s_mov_b32 s6, exec_lo
	s_delay_alu instid0(VALU_DEP_1) | instskip(SKIP_1) | instid1(VALU_DEP_2)
	v_xor_b32_e32 v1, 4, v8
	v_xor_b32_e32 v5, 2, v8
	v_cmp_gt_i32_e32 vcc_lo, 32, v1
	v_cndmask_b32_e32 v1, v8, v1, vcc_lo
	s_delay_alu instid0(VALU_DEP_3)
	v_cmp_gt_i32_e32 vcc_lo, 32, v5
	s_waitcnt lgkmcnt(0)
	s_mul_i32 s3, s94, s22
	s_mul_i32 s4, s13, s20
	;; [unrolled: 1-line block ×3, first 2 shown]
	s_add_i32 s3, s3, s4
	v_lshlrev_b32_e32 v4, 2, v1
	s_add_i32 s3, s3, s5
	s_delay_alu instid0(SALU_CYCLE_1)
	s_ashr_i32 s5, s3, 31
	s_add_u32 s4, s64, s3
	s_addc_u32 s5, s65, s5
	global_load_b128 v[11:14], v0, s[4:5]
	v_cndmask_b32_e32 v5, v8, v5, vcc_lo
	s_waitcnt vmcnt(0)
	v_mul_f32_e32 v3, s8, v11
	v_dual_mul_f32 v7, s8, v12 :: v_dual_mul_f32 v10, s8, v14
	v_mul_f32_e32 v11, s8, v13
	v_add_co_u32 v0, s3, s4, v0
	s_delay_alu instid0(VALU_DEP_4) | instskip(NEXT) | instid1(VALU_DEP_1)
	v_max_f32_e64 v2, |v3|, |v3|
	v_max_f32_e64 v2, v2, |v7|
	s_delay_alu instid0(VALU_DEP_1) | instskip(SKIP_3) | instid1(VALU_DEP_1)
	v_max3_f32 v1, v2, |v11|, |v10|
	ds_bpermute_b32 v2, v4, v1
	s_waitcnt lgkmcnt(0)
	v_max_f32_e32 v2, v2, v2
	v_dual_max_f32 v1, v1, v2 :: v_dual_lshlrev_b32 v6, 2, v5
	v_xor_b32_e32 v5, 1, v8
	ds_bpermute_b32 v2, v6, v1
	v_cmp_gt_i32_e32 vcc_lo, 32, v5
	v_cndmask_b32_e32 v5, v8, v5, vcc_lo
	v_fma_f32 v8, s8, v12, v3
	s_waitcnt lgkmcnt(0)
	s_delay_alu instid0(VALU_DEP_2) | instskip(NEXT) | instid1(VALU_DEP_1)
	v_dual_max_f32 v2, v2, v2 :: v_dual_lshlrev_b32 v5, 2, v5
	v_max_f32_e32 v1, v1, v2
	ds_bpermute_b32 v2, v5, v1
	s_waitcnt lgkmcnt(0)
	v_max_f32_e32 v2, v2, v2
	s_delay_alu instid0(VALU_DEP_1) | instskip(NEXT) | instid1(VALU_DEP_1)
	v_dual_fmac_f32 v8, s8, v13 :: v_dual_max_f32 v1, v1, v2
	v_fmac_f32_e32 v8, s8, v14
	s_delay_alu instid0(VALU_DEP_2)
	v_div_scale_f32 v2, null, 0x42fe0000, 0x42fe0000, v1
	ds_bpermute_b32 v9, v4, v8
	v_div_scale_f32 v14, vcc_lo, v1, 0x42fe0000, v1
	v_rcp_f32_e32 v12, v2
	s_waitcnt lgkmcnt(0)
	v_add_f32_e32 v8, v8, v9
	s_waitcnt_depctr 0xfff
	v_fma_f32 v9, -v2, v12, 1.0
	s_delay_alu instid0(VALU_DEP_1) | instskip(NEXT) | instid1(VALU_DEP_1)
	v_fmac_f32_e32 v12, v9, v12
	v_mul_f32_e32 v15, v14, v12
	ds_bpermute_b32 v13, v6, v8
	v_fma_f32 v9, -v2, v15, v14
	s_waitcnt lgkmcnt(0)
	s_delay_alu instid0(VALU_DEP_1) | instskip(NEXT) | instid1(VALU_DEP_1)
	v_dual_fmac_f32 v15, v9, v12 :: v_dual_add_f32 v8, v8, v13
	v_fma_f32 v2, -v2, v15, v14
	ds_bpermute_b32 v9, v5, v8
	v_div_fmas_f32 v2, v2, v12, v15
	v_mov_b32_e32 v12, 0
	s_delay_alu instid0(VALU_DEP_2) | instskip(SKIP_1) | instid1(VALU_DEP_2)
	v_div_fixup_f32 v2, v2, 0x42fe0000, v1
	v_add_co_ci_u32_e64 v1, null, s5, 0, s3
	v_cmpx_neq_f32_e32 0, v2
	s_cbranch_execz .LBB23_5
; %bb.4:
	v_div_scale_f32 v12, null, v2, v2, v3
	v_div_scale_f32 v13, null, v2, v2, v7
	;; [unrolled: 1-line block ×3, first 2 shown]
	s_delay_alu instid0(VALU_DEP_3) | instskip(SKIP_1) | instid1(VALU_DEP_3)
	v_rcp_f32_e32 v14, v12
	v_div_scale_f32 v16, null, v2, v2, v10
	v_rcp_f32_e32 v17, v13
	s_delay_alu instid0(VALU_DEP_2) | instskip(SKIP_1) | instid1(VALU_DEP_2)
	v_rcp_f32_e32 v18, v15
	v_div_scale_f32 v22, vcc_lo, v3, v2, v3
	v_rcp_f32_e32 v19, v16
	v_fma_f32 v20, -v12, v14, 1.0
	s_delay_alu instid0(TRANS32_DEP_3)
	v_fma_f32 v21, -v13, v17, 1.0
	s_waitcnt_depctr 0xfff
	v_fma_f32 v23, -v15, v18, 1.0
	v_fmac_f32_e32 v14, v20, v14
	v_div_scale_f32 v20, s3, v7, v2, v7
	v_fmac_f32_e32 v17, v21, v17
	v_fma_f32 v24, -v16, v19, 1.0
	v_fmac_f32_e32 v18, v23, v18
	v_div_scale_f32 v21, s4, v11, v2, v11
	s_delay_alu instid0(VALU_DEP_4) | instskip(NEXT) | instid1(VALU_DEP_4)
	v_mul_f32_e32 v25, v20, v17
	v_dual_fmac_f32 v19, v24, v19 :: v_dual_mul_f32 v24, v22, v14
	v_div_scale_f32 v23, s5, v10, v2, v10
	s_delay_alu instid0(VALU_DEP_4) | instskip(NEXT) | instid1(VALU_DEP_4)
	v_mul_f32_e32 v26, v21, v18
	v_fma_f32 v29, -v13, v25, v20
	s_delay_alu instid0(VALU_DEP_4) | instskip(NEXT) | instid1(VALU_DEP_4)
	v_fma_f32 v28, -v12, v24, v22
	v_mul_f32_e32 v27, v23, v19
	s_delay_alu instid0(VALU_DEP_4) | instskip(NEXT) | instid1(VALU_DEP_3)
	v_fma_f32 v30, -v15, v26, v21
	v_dual_fmac_f32 v25, v29, v17 :: v_dual_fmac_f32 v24, v28, v14
	s_delay_alu instid0(VALU_DEP_3) | instskip(NEXT) | instid1(VALU_DEP_3)
	v_fma_f32 v31, -v16, v27, v23
	v_fmac_f32_e32 v26, v30, v18
	s_delay_alu instid0(VALU_DEP_3) | instskip(NEXT) | instid1(VALU_DEP_4)
	v_fma_f32 v13, -v13, v25, v20
	v_fma_f32 v12, -v12, v24, v22
	s_delay_alu instid0(VALU_DEP_4) | instskip(NEXT) | instid1(VALU_DEP_4)
	v_fmac_f32_e32 v27, v31, v19
	v_fma_f32 v15, -v15, v26, v21
	s_delay_alu instid0(VALU_DEP_3) | instskip(SKIP_3) | instid1(VALU_DEP_2)
	v_div_fmas_f32 v12, v12, v14, v24
	s_mov_b32 vcc_lo, s3
	v_div_fmas_f32 v13, v13, v17, v25
	s_mov_b32 vcc_lo, s4
	v_div_fixup_f32 v3, v12, v2, v3
	v_div_fmas_f32 v14, v15, v18, v26
	v_fma_f32 v15, -v16, v27, v23
	s_mov_b32 vcc_lo, s5
	v_div_fixup_f32 v7, v13, v2, v7
	v_trunc_f32_e32 v17, v3
	v_div_fixup_f32 v11, v14, v2, v11
	v_div_fmas_f32 v14, v15, v19, v27
	s_delay_alu instid0(VALU_DEP_2) | instskip(NEXT) | instid1(VALU_DEP_2)
	v_trunc_f32_e32 v13, v11
	v_div_fixup_f32 v10, v14, v2, v10
	v_trunc_f32_e32 v14, v7
	s_delay_alu instid0(VALU_DEP_2) | instskip(NEXT) | instid1(VALU_DEP_1)
	v_trunc_f32_e32 v12, v10
	v_dual_sub_f32 v15, v11, v13 :: v_dual_sub_f32 v18, v10, v12
	s_delay_alu instid0(VALU_DEP_1) | instskip(NEXT) | instid1(VALU_DEP_1)
	v_cmp_ge_f32_e64 s3, |v15|, 0.5
	v_cndmask_b32_e64 v15, 0, 1.0, s3
	s_delay_alu instid0(VALU_DEP_1) | instskip(NEXT) | instid1(VALU_DEP_1)
	v_bfi_b32 v11, 0x7fffffff, v15, v11
	v_dual_sub_f32 v16, v7, v14 :: v_dual_add_f32 v11, v13, v11
	s_delay_alu instid0(VALU_DEP_1) | instskip(NEXT) | instid1(VALU_DEP_2)
	v_cmp_ge_f32_e64 s3, |v16|, 0.5
	v_cvt_i32_f32_e32 v11, v11
	s_delay_alu instid0(VALU_DEP_2) | instskip(SKIP_1) | instid1(VALU_DEP_3)
	v_cndmask_b32_e64 v16, 0, 1.0, s3
	v_cmp_ge_f32_e64 s3, |v18|, 0.5
	v_and_b32_e32 v11, 0xff, v11
	s_delay_alu instid0(VALU_DEP_3) | instskip(NEXT) | instid1(VALU_DEP_3)
	v_bfi_b32 v7, 0x7fffffff, v16, v7
	v_cndmask_b32_e64 v18, 0, 1.0, s3
	s_delay_alu instid0(VALU_DEP_3) | instskip(NEXT) | instid1(VALU_DEP_3)
	v_lshlrev_b32_e32 v11, 16, v11
	v_add_f32_e32 v7, v14, v7
	s_delay_alu instid0(VALU_DEP_3) | instskip(SKIP_1) | instid1(VALU_DEP_3)
	v_bfi_b32 v10, 0x7fffffff, v18, v10
	v_sub_f32_e32 v15, v3, v17
	v_cvt_i32_f32_e32 v7, v7
	s_delay_alu instid0(VALU_DEP_3) | instskip(NEXT) | instid1(VALU_DEP_3)
	v_add_f32_e32 v10, v12, v10
	v_cmp_ge_f32_e64 s3, |v15|, 0.5
	s_delay_alu instid0(VALU_DEP_3) | instskip(NEXT) | instid1(VALU_DEP_3)
	v_and_b32_e32 v7, 0xff, v7
	v_cvt_i32_f32_e32 v10, v10
	s_delay_alu instid0(VALU_DEP_3) | instskip(NEXT) | instid1(VALU_DEP_3)
	v_cndmask_b32_e64 v13, 0, 1.0, s3
	v_lshlrev_b32_e32 v7, 8, v7
	s_delay_alu instid0(VALU_DEP_3) | instskip(NEXT) | instid1(VALU_DEP_3)
	v_lshl_or_b32 v10, v10, 24, v11
	v_bfi_b32 v3, 0x7fffffff, v13, v3
	s_delay_alu instid0(VALU_DEP_1) | instskip(NEXT) | instid1(VALU_DEP_1)
	v_add_f32_e32 v3, v17, v3
	v_cvt_i32_f32_e32 v3, v3
	s_delay_alu instid0(VALU_DEP_1) | instskip(NEXT) | instid1(VALU_DEP_1)
	v_and_b32_e32 v3, 0xff, v3
	v_or3_b32 v12, v10, v7, v3
.LBB23_5:
	s_or_b32 exec_lo, exec_lo, s6
	v_and_b32_e32 v3, 7, v33
	v_lshlrev_b32_e32 v7, 2, v33
	s_delay_alu instid0(VALU_DEP_2)
	v_cmp_eq_u32_e64 s3, 0, v3
	ds_store_b32 v7, v12
	s_and_saveexec_b32 s4, s3
	s_cbranch_execz .LBB23_7
; %bb.6:
	s_waitcnt lgkmcnt(1)
	v_add_f32_e32 v3, v8, v9
	ds_store_b64 v33, v[2:3] offset:256
.LBB23_7:
	s_or_b32 exec_lo, exec_lo, s4
	global_load_b128 v[10:13], v[0:1], off offset:512
	s_waitcnt vmcnt(0)
	v_dual_mul_f32 v3, s8, v10 :: v_dual_mul_f32 v8, s8, v11
	s_waitcnt lgkmcnt(1)
	v_dual_mul_f32 v10, s8, v12 :: v_dual_mul_f32 v9, s8, v13
	s_delay_alu instid0(VALU_DEP_2) | instskip(SKIP_1) | instid1(VALU_DEP_2)
	v_max_f32_e64 v0, |v3|, |v3|
	v_fma_f32 v2, s8, v11, v3
	v_max_f32_e64 v0, v0, |v8|
	s_delay_alu instid0(VALU_DEP_2) | instskip(NEXT) | instid1(VALU_DEP_2)
	v_fmac_f32_e32 v2, s8, v12
	v_max3_f32 v0, v0, |v10|, |v9|
	s_delay_alu instid0(VALU_DEP_2)
	v_fmac_f32_e32 v2, s8, v13
	s_mov_b32 s8, exec_lo
	ds_bpermute_b32 v1, v4, v0
	ds_bpermute_b32 v4, v4, v2
	s_waitcnt lgkmcnt(1)
	v_max_f32_e32 v1, v1, v1
	s_delay_alu instid0(VALU_DEP_1) | instskip(SKIP_3) | instid1(VALU_DEP_1)
	v_max_f32_e32 v0, v0, v1
	ds_bpermute_b32 v1, v6, v0
	s_waitcnt lgkmcnt(0)
	v_max_f32_e32 v1, v1, v1
	v_max_f32_e32 v0, v0, v1
	ds_bpermute_b32 v1, v5, v0
	s_waitcnt lgkmcnt(0)
	v_max_f32_e32 v1, v1, v1
	s_delay_alu instid0(VALU_DEP_1) | instskip(NEXT) | instid1(VALU_DEP_1)
	v_dual_max_f32 v0, v0, v1 :: v_dual_add_f32 v1, v2, v4
	v_div_scale_f32 v11, null, 0x42fe0000, 0x42fe0000, v0
	ds_bpermute_b32 v4, v6, v1
	v_div_scale_f32 v6, vcc_lo, v0, 0x42fe0000, v0
	v_rcp_f32_e32 v12, v11
	s_waitcnt_depctr 0xfff
	v_fma_f32 v2, -v11, v12, 1.0
	s_delay_alu instid0(VALU_DEP_1) | instskip(SKIP_2) | instid1(VALU_DEP_2)
	v_fmac_f32_e32 v12, v2, v12
	s_waitcnt lgkmcnt(0)
	v_add_f32_e32 v1, v1, v4
	v_mul_f32_e32 v13, v6, v12
	s_delay_alu instid0(VALU_DEP_1) | instskip(NEXT) | instid1(VALU_DEP_1)
	v_fma_f32 v2, -v11, v13, v6
	v_fmac_f32_e32 v13, v2, v12
	ds_bpermute_b32 v2, v5, v1
	v_fma_f32 v4, -v11, v13, v6
	s_delay_alu instid0(VALU_DEP_1) | instskip(NEXT) | instid1(VALU_DEP_1)
	v_div_fmas_f32 v4, v4, v12, v13
	v_div_fixup_f32 v0, v4, 0x42fe0000, v0
	v_mov_b32_e32 v4, 0
	s_delay_alu instid0(VALU_DEP_2)
	v_cmpx_neq_f32_e32 0, v0
	s_cbranch_execz .LBB23_9
; %bb.8:
	v_div_scale_f32 v4, null, v0, v0, v3
	v_div_scale_f32 v5, null, v0, v0, v8
	;; [unrolled: 1-line block ×3, first 2 shown]
	s_delay_alu instid0(VALU_DEP_3) | instskip(SKIP_1) | instid1(VALU_DEP_3)
	v_rcp_f32_e32 v6, v4
	v_div_scale_f32 v12, null, v0, v0, v9
	v_rcp_f32_e32 v13, v5
	s_delay_alu instid0(VALU_DEP_2) | instskip(SKIP_1) | instid1(VALU_DEP_2)
	v_rcp_f32_e32 v14, v11
	v_div_scale_f32 v18, vcc_lo, v3, v0, v3
	v_rcp_f32_e32 v15, v12
	v_fma_f32 v16, -v4, v6, 1.0
	s_delay_alu instid0(TRANS32_DEP_3)
	v_fma_f32 v17, -v5, v13, 1.0
	s_waitcnt_depctr 0xfff
	v_fma_f32 v19, -v11, v14, 1.0
	v_fmac_f32_e32 v6, v16, v6
	v_div_scale_f32 v16, s4, v8, v0, v8
	v_fmac_f32_e32 v13, v17, v13
	v_fma_f32 v20, -v12, v15, 1.0
	v_fmac_f32_e32 v14, v19, v14
	v_div_scale_f32 v17, s5, v10, v0, v10
	s_delay_alu instid0(VALU_DEP_4) | instskip(NEXT) | instid1(VALU_DEP_4)
	v_mul_f32_e32 v21, v16, v13
	v_dual_fmac_f32 v15, v20, v15 :: v_dual_mul_f32 v20, v18, v6
	v_div_scale_f32 v19, s6, v9, v0, v9
	s_delay_alu instid0(VALU_DEP_4) | instskip(NEXT) | instid1(VALU_DEP_4)
	v_mul_f32_e32 v22, v17, v14
	v_fma_f32 v25, -v5, v21, v16
	s_delay_alu instid0(VALU_DEP_4) | instskip(NEXT) | instid1(VALU_DEP_4)
	v_fma_f32 v24, -v4, v20, v18
	v_mul_f32_e32 v23, v19, v15
	s_delay_alu instid0(VALU_DEP_4) | instskip(NEXT) | instid1(VALU_DEP_3)
	v_fma_f32 v26, -v11, v22, v17
	v_dual_fmac_f32 v21, v25, v13 :: v_dual_fmac_f32 v20, v24, v6
	s_delay_alu instid0(VALU_DEP_3) | instskip(NEXT) | instid1(VALU_DEP_3)
	v_fma_f32 v27, -v12, v23, v19
	v_fmac_f32_e32 v22, v26, v14
	s_delay_alu instid0(VALU_DEP_3) | instskip(NEXT) | instid1(VALU_DEP_4)
	v_fma_f32 v5, -v5, v21, v16
	v_fma_f32 v4, -v4, v20, v18
	s_delay_alu instid0(VALU_DEP_4) | instskip(NEXT) | instid1(VALU_DEP_4)
	v_fmac_f32_e32 v23, v27, v15
	v_fma_f32 v11, -v11, v22, v17
	s_delay_alu instid0(VALU_DEP_3) | instskip(SKIP_3) | instid1(VALU_DEP_2)
	v_div_fmas_f32 v4, v4, v6, v20
	s_mov_b32 vcc_lo, s4
	v_div_fmas_f32 v5, v5, v13, v21
	s_mov_b32 vcc_lo, s5
	v_div_fixup_f32 v3, v4, v0, v3
	v_div_fmas_f32 v6, v11, v14, v22
	v_fma_f32 v11, -v12, v23, v19
	s_mov_b32 vcc_lo, s6
	v_div_fixup_f32 v5, v5, v0, v8
	v_trunc_f32_e32 v13, v3
	v_div_fixup_f32 v6, v6, v0, v10
	v_div_fmas_f32 v10, v11, v15, v23
	s_delay_alu instid0(VALU_DEP_2) | instskip(NEXT) | instid1(VALU_DEP_2)
	v_trunc_f32_e32 v8, v6
	v_div_fixup_f32 v9, v10, v0, v9
	v_trunc_f32_e32 v10, v5
	s_delay_alu instid0(VALU_DEP_3) | instskip(NEXT) | instid1(VALU_DEP_3)
	v_sub_f32_e32 v11, v6, v8
	v_trunc_f32_e32 v4, v9
	s_delay_alu instid0(VALU_DEP_3) | instskip(NEXT) | instid1(VALU_DEP_3)
	v_sub_f32_e32 v12, v5, v10
	v_cmp_ge_f32_e64 s4, |v11|, 0.5
	s_delay_alu instid0(VALU_DEP_3) | instskip(NEXT) | instid1(VALU_DEP_2)
	v_sub_f32_e32 v14, v9, v4
	v_cndmask_b32_e64 v11, 0, 1.0, s4
	s_delay_alu instid0(VALU_DEP_4) | instskip(NEXT) | instid1(VALU_DEP_2)
	v_cmp_ge_f32_e64 s4, |v12|, 0.5
	v_bfi_b32 v6, 0x7fffffff, v11, v6
	v_sub_f32_e32 v11, v3, v13
	s_delay_alu instid0(VALU_DEP_3) | instskip(SKIP_1) | instid1(VALU_DEP_2)
	v_cndmask_b32_e64 v12, 0, 1.0, s4
	v_cmp_ge_f32_e64 s4, |v14|, 0.5
	v_bfi_b32 v5, 0x7fffffff, v12, v5
	s_delay_alu instid0(VALU_DEP_2) | instskip(SKIP_1) | instid1(VALU_DEP_3)
	v_cndmask_b32_e64 v14, 0, 1.0, s4
	v_cmp_ge_f32_e64 s4, |v11|, 0.5
	v_dual_add_f32 v6, v8, v6 :: v_dual_add_f32 v5, v10, v5
	s_delay_alu instid0(VALU_DEP_3) | instskip(NEXT) | instid1(VALU_DEP_3)
	v_bfi_b32 v9, 0x7fffffff, v14, v9
	v_cndmask_b32_e64 v8, 0, 1.0, s4
	s_delay_alu instid0(VALU_DEP_3) | instskip(NEXT) | instid1(VALU_DEP_4)
	v_cvt_i32_f32_e32 v6, v6
	v_cvt_i32_f32_e32 v5, v5
	s_delay_alu instid0(VALU_DEP_3) | instskip(SKIP_1) | instid1(VALU_DEP_4)
	v_bfi_b32 v3, 0x7fffffff, v8, v3
	v_add_f32_e32 v4, v4, v9
	v_and_b32_e32 v6, 0xff, v6
	s_delay_alu instid0(VALU_DEP_4) | instskip(NEXT) | instid1(VALU_DEP_4)
	v_and_b32_e32 v5, 0xff, v5
	v_add_f32_e32 v3, v13, v3
	s_delay_alu instid0(VALU_DEP_4) | instskip(NEXT) | instid1(VALU_DEP_4)
	v_cvt_i32_f32_e32 v4, v4
	v_lshlrev_b32_e32 v6, 16, v6
	s_delay_alu instid0(VALU_DEP_4) | instskip(NEXT) | instid1(VALU_DEP_4)
	v_lshlrev_b32_e32 v5, 8, v5
	v_cvt_i32_f32_e32 v3, v3
	s_delay_alu instid0(VALU_DEP_3) | instskip(NEXT) | instid1(VALU_DEP_2)
	v_lshl_or_b32 v4, v4, 24, v6
	v_and_b32_e32 v3, 0xff, v3
	s_delay_alu instid0(VALU_DEP_1)
	v_or3_b32 v4, v4, v5, v3
.LBB23_9:
	s_or_b32 exec_lo, exec_lo, s8
	ds_store_b32 v7, v4 offset:128
	s_and_b32 exec_lo, exec_lo, s3
	s_cbranch_execz .LBB23_11
; %bb.10:
	s_waitcnt lgkmcnt(1)
	v_add_f32_e32 v1, v1, v2
	ds_store_b64 v33, v[0:1] offset:288
.LBB23_11:
	s_or_b32 exec_lo, exec_lo, s18
	s_waitcnt lgkmcnt(0)
	v_and_b32_e32 v2, 1, v33
	v_mov_b32_e32 v90, 0
	s_waitcnt_vscnt null, 0x0
	s_barrier
	buffer_gl0_inv
	v_lshlrev_b32_e32 v0, 2, v2
	s_ashr_i32 s87, s86, 31
	s_ashr_i32 s3, s17, 31
	;; [unrolled: 1-line block ×3, first 2 shown]
	s_cmp_eq_u64 s[74:75], 0
	ds_load_2addr_b32 v[4:5], v0 offset1:2
	ds_load_2addr_b32 v[6:7], v0 offset0:4 offset1:6
	ds_load_2addr_b32 v[8:9], v0 offset0:8 offset1:10
	;; [unrolled: 1-line block ×3, first 2 shown]
	ds_load_b128 v[16:19], v90 offset:256
	ds_load_b128 v[12:15], v90 offset:272
	s_waitcnt lgkmcnt(0)
	scratch_store_b128 off, v[12:15], off offset:8 ; 16-byte Folded Spill
	ds_load_b128 v[12:15], v90 offset:288
	s_waitcnt lgkmcnt(0)
	scratch_store_b128 off, v[12:15], off offset:24 ; 16-byte Folded Spill
	ds_load_b128 v[20:23], v90 offset:304
	ds_load_2addr_b32 v[12:13], v0 offset0:16 offset1:18
	s_waitcnt lgkmcnt(0)
	scratch_store_b64 off, v[12:13], off offset:40 ; 8-byte Folded Spill
	ds_load_2addr_b32 v[12:13], v0 offset0:20 offset1:22
	s_waitcnt lgkmcnt(0)
	scratch_store_b64 off, v[12:13], off offset:48 ; 8-byte Folded Spill
	;; [unrolled: 3-line block ×9, first 2 shown]
	ds_load_2addr_b32 v[12:13], v0 offset0:52 offset1:54
	ds_load_2addr_b32 v[14:15], v0 offset0:56 offset1:58
	;; [unrolled: 1-line block ×3, first 2 shown]
	s_waitcnt lgkmcnt(1)
	scratch_store_b64 off, v[14:15], off offset:112 ; 8-byte Folded Spill
	s_waitcnt lgkmcnt(0)
	s_waitcnt_vscnt null, 0x0
	s_barrier
	buffer_gl0_inv
	s_cbranch_scc1 .LBB23_13
; %bb.12:
	s_load_b32 s4, s[0:1], 0xd0
	s_mov_b32 s5, 0
	s_waitcnt lgkmcnt(0)
	s_mul_i32 s4, s4, s94
	s_delay_alu instid0(SALU_CYCLE_1) | instskip(NEXT) | instid1(SALU_CYCLE_1)
	s_add_i32 s4, s4, s13
	s_lshl_b64 s[4:5], s[4:5], 2
	s_delay_alu instid0(SALU_CYCLE_1)
	s_add_u32 s4, s74, s4
	s_addc_u32 s5, s75, s5
	s_load_b32 s88, s[4:5], 0x0
.LBB23_13:
	v_dual_mov_b32 v26, 0xfeffffff :: v_dual_lshlrev_b32 v1, 5, v32
	v_dual_mov_b32 v94, 0 :: v_dual_lshlrev_b32 v15, 2, v33
	v_dual_mov_b32 v95, 0 :: v_dual_mov_b32 v96, 0
	s_delay_alu instid0(VALU_DEP_3)
	v_dual_mov_b32 v93, 0 :: v_dual_add_nc_u32 v14, v1, v33
	s_lshl_b32 s74, s14, 7
	s_mov_b32 s75, 0
	s_waitcnt lgkmcnt(0)
	s_cmp_ge_i32 s74, s88
	v_lshlrev_b32_e32 v3, 1, v14
	scratch_store_b32 off, v3, off offset:556 ; 4-byte Folded Spill
	s_cbranch_scc1 .LBB23_22
; %bb.14:
	s_clause 0x9
	scratch_store_b64 off, v[24:25], off offset:632
	scratch_store_b64 off, v[12:13], off offset:624
	scratch_store_b128 off, v[20:23], off offset:608
	scratch_store_b128 off, v[16:19], off offset:592
	scratch_store_b64 off, v[10:11], off offset:584
	scratch_store_b64 off, v[8:9], off offset:576
	;; [unrolled: 1-line block ×4, first 2 shown]
	scratch_store_b32 off, v14, off offset:668
	scratch_store_b32 off, v32, off offset:660
	s_clause 0x1
	s_load_b128 s[80:83], s[0:1], 0x98
	s_load_b64 s[92:93], s[0:1], 0x8c
	s_mul_i32 s17, s10, s15
	s_xor_b32 s8, s87, s3
	s_sub_i32 s16, s16, s17
	s_add_i32 s20, s10, 1
	s_clause 0x2
	s_load_b64 s[4:5], s[0:1], 0xa8
	s_load_b64 s[18:19], s[0:1], 0xc8
	s_load_b32 s21, s[0:1], 0xd4
	s_mul_i32 s11, s11, s12
	s_mul_i32 s7, s13, s7
	v_and_b32_e32 v3, 0x7e, v33
	v_cmp_eq_u32_e64 s3, 0, v2
	v_bfe_u32 v2, v33, 3, 27
	v_add_nc_u32_e32 v4, 0x80, v15
	scratch_store_b32 off, v15, off offset:672 ; 4-byte Folded Spill
	v_add_nc_u32_e32 v84, v1, v3
	s_mov_b32 s91, s75
	v_mul_hi_u32_u24_e32 v3, 20, v2
	v_lshrrev_b32_e32 v6, 5, v4
	v_and_b32_e32 v9, 12, v4
	v_lshlrev_b32_e32 v4, 1, v84
	s_waitcnt lgkmcnt(0)
	s_mul_i32 s17, s94, s81
	s_mul_hi_u32 s22, s94, s80
	s_mul_i32 s23, s6, s80
	s_add_i32 s89, s22, s17
	s_sub_i32 s17, s16, s15
	s_add_i32 s89, s89, s23
	s_cmp_ge_u32 s16, s15
	v_mul_u32_u24_e32 v2, 20, v2
	s_cselect_b32 s10, s20, s10
	s_cselect_b32 s16, s17, s16
	s_add_i32 s17, s10, 1
	s_cmp_ge_u32 s16, s15
	v_mul_lo_u32 v7, v1, s82
	s_cselect_b32 s10, s17, s10
	s_sub_i32 s9, s9, s11
	s_xor_b32 s10, s10, s8
	s_mul_i32 s5, s94, s5
	s_sub_i32 s95, s10, s8
	s_sub_i32 s8, s9, s12
	s_mul_i32 s93, s95, s93
	s_mul_i32 s95, s95, s83
	s_ashr_i32 s83, s93, 31
	s_ashr_i32 s96, s95, 31
	s_cmp_ge_u32 s9, s12
	v_ashrrev_i32_e32 v11, 31, v7
	s_cselect_b32 s8, s8, s9
	v_add_nc_u32_e32 v8, s82, v7
	s_sub_i32 s9, s8, s12
	s_cmp_ge_u32 s8, s12
	s_cselect_b32 s8, s9, s8
	s_delay_alu instid0(VALU_DEP_1)
	v_ashrrev_i32_e32 v12, 31, v8
	s_xor_b32 s8, s8, s6
	v_add_nc_u32_e32 v10, s82, v8
	s_sub_i32 s8, s8, s6
	s_mul_i32 s6, s6, s4
	s_mul_i32 s9, s8, s19
	s_mul_hi_u32 s10, s8, s18
	s_ashr_i32 s11, s8, 31
	s_add_i32 s9, s10, s9
	s_mul_i32 s11, s11, s18
	s_ashr_i32 s10, s7, 31
	s_add_i32 s11, s9, s11
	s_cmp_lg_u64 s[70:71], 0
	s_mul_i32 s12, s8, s18
	s_cselect_b32 s81, -1, 0
	s_lshl_b32 s90, s21, 7
	s_add_u32 s97, s66, s93
	s_addc_u32 s98, s67, s83
	s_lshl_b64 s[8:9], s[74:75], 1
	v_ashrrev_i32_e32 v13, 31, v10
	s_add_u32 s8, s12, s8
	s_addc_u32 s9, s11, s9
	s_add_u32 s7, s70, s7
	s_addc_u32 s10, s71, s10
	s_add_u32 s7, s7, s8
	s_addc_u32 s8, s10, s9
	v_add_co_u32 v14, s7, s7, v4
	v_mad_u64_u32 v[4:5], null, s94, s4, v[2:3]
	v_add_co_ci_u32_e64 v15, null, s8, 0, s7
	s_add_i32 s5, s5, s6
	v_mul_hi_u32_u24_e32 v3, 20, v6
	v_mul_u32_u24_e32 v2, 20, v6
	v_add_co_u32 v86, vcc_lo, v14, 2
	v_add_nc_u32_e32 v14, s5, v5
	v_add_co_ci_u32_e32 v87, vcc_lo, 0, v15, vcc_lo
	s_delay_alu instid0(VALU_DEP_4) | instskip(SKIP_1) | instid1(VALU_DEP_4)
	v_mad_u64_u32 v[5:6], null, s94, s4, v[2:3]
	v_add_co_u32 v92, vcc_lo, v4, v7
	v_add_co_ci_u32_e32 v146, vcc_lo, v14, v11, vcc_lo
	v_add_co_u32 v2, vcc_lo, v4, v9
	v_add_co_ci_u32_e32 v3, vcc_lo, 0, v14, vcc_lo
	v_add_nc_u32_e32 v6, s5, v6
	s_delay_alu instid0(VALU_DEP_3) | instskip(NEXT) | instid1(VALU_DEP_3)
	v_add_co_u32 v149, vcc_lo, v2, v7
	v_add_co_ci_u32_e32 v150, vcc_lo, v3, v11, vcc_lo
	v_add_co_u32 v9, vcc_lo, v5, v9
	s_delay_alu instid0(VALU_DEP_4)
	v_add_co_ci_u32_e32 v15, vcc_lo, 0, v6, vcc_lo
	v_add_co_u32 v16, vcc_lo, v5, v7
	v_add_nc_u32_e32 v17, s82, v10
	scratch_store_b32 off, v16, off offset:124 ; 4-byte Folded Spill
	v_add_co_ci_u32_e32 v16, vcc_lo, v6, v11, vcc_lo
	v_add_co_u32 v7, vcc_lo, v9, v7
	v_add_nc_u32_e32 v83, s82, v17
	scratch_store_b32 off, v16, off offset:128 ; 4-byte Folded Spill
	v_ashrrev_i32_e32 v152, 31, v17
	scratch_store_b32 off, v7, off offset:132 ; 4-byte Folded Spill
	v_add_co_ci_u32_e32 v7, vcc_lo, v15, v11, vcc_lo
	v_add_co_u32 v45, vcc_lo, v4, s95
	v_add_co_ci_u32_e32 v19, vcc_lo, s96, v14, vcc_lo
	v_add_co_u32 v50, vcc_lo, v2, s95
	v_add_co_ci_u32_e32 v29, vcc_lo, s96, v3, vcc_lo
	s_delay_alu instid0(VALU_DEP_4) | instskip(SKIP_1) | instid1(VALU_DEP_4)
	v_add_co_u32 v2, vcc_lo, v45, v8
	v_add_nc_u32_e32 v79, s82, v83
	v_add_co_u32 v101, s56, v50, v83
	scratch_store_b32 off, v2, off offset:156 ; 4-byte Folded Spill
	v_add_co_ci_u32_e32 v2, vcc_lo, v19, v12, vcc_lo
	v_add_nc_u32_e32 v75, s82, v79
	v_add_co_u32 v138, s52, v50, v79
	scratch_store_b32 off, v2, off offset:160 ; 4-byte Folded Spill
	v_add_co_u32 v2, vcc_lo, v50, v8
	scratch_store_b32 off, v7, off offset:136 ; 4-byte Folded Spill
	v_add_nc_u32_e32 v71, s82, v75
	v_ashrrev_i32_e32 v144, 31, v75
	scratch_store_b32 off, v2, off offset:140 ; 4-byte Folded Spill
	v_add_co_ci_u32_e32 v2, vcc_lo, v29, v12, vcc_lo
	v_add_co_u32 v60, vcc_lo, v5, s95
	v_add_co_ci_u32_e32 v36, vcc_lo, s96, v6, vcc_lo
	v_add_co_u32 v61, vcc_lo, v9, s95
	v_add_co_ci_u32_e32 v39, vcc_lo, s96, v15, vcc_lo
	scratch_store_b32 off, v2, off offset:144 ; 4-byte Folded Spill
	v_add_co_u32 v2, vcc_lo, v60, v8
	v_add_nc_u32_e32 v20, s82, v71
	v_add_co_u32 v85, s43, v60, v71
	scratch_store_b32 off, v2, off offset:148 ; 4-byte Folded Spill
	v_add_co_ci_u32_e32 v2, vcc_lo, v36, v12, vcc_lo
	v_add_co_u32 v3, vcc_lo, v61, v8
	v_add_nc_u32_e32 v14, s82, v20
	v_add_co_u32 v77, s39, v60, v20
	scratch_store_b32 off, v3, off offset:168 ; 4-byte Folded Spill
	v_add_co_ci_u32_e32 v3, vcc_lo, v39, v12, vcc_lo
	v_add_co_u32 v185, s35, v60, v14
	v_add_co_u32 v76, s36, v50, v14
	scratch_store_b32 off, v3, off offset:172 ; 4-byte Folded Spill
	v_add_co_u32 v3, vcc_lo, v45, v10
	scratch_store_b32 off, v2, off offset:152 ; 4-byte Folded Spill
	v_add_nc_u32_e32 v2, 31, v1
	v_add_co_u32 v166, s37, v45, v14
	scratch_store_b32 off, v3, off offset:164 ; 4-byte Folded Spill
	v_add_co_ci_u32_e32 v3, vcc_lo, v19, v13, vcc_lo
	v_mul_lo_u32 v2, s82, v2
	v_add_co_u32 v81, s40, v50, v20
	scratch_store_b32 off, v3, off offset:184 ; 4-byte Folded Spill
	v_add_co_u32 v3, vcc_lo, v50, v10
	v_add_co_u32 v82, s41, v45, v20
	v_ashrrev_i32_e32 v4, 31, v2
	scratch_store_b32 off, v3, off offset:188 ; 4-byte Folded Spill
	v_add_co_ci_u32_e32 v3, vcc_lo, v29, v13, vcc_lo
	v_add_co_u32 v162, s6, v61, v2
	s_delay_alu instid0(VALU_DEP_1)
	v_add_co_ci_u32_e64 v160, s6, v39, v4, s6
	scratch_store_b32 off, v3, off offset:192 ; 4-byte Folded Spill
	v_add_co_u32 v3, vcc_lo, v60, v10
	v_add_co_u32 v96, s44, v50, v71
	v_add_co_u32 v57, s45, v45, v71
	scratch_store_b32 off, v3, off offset:176 ; 4-byte Folded Spill
	v_add_co_ci_u32_e32 v3, vcc_lo, v36, v13, vcc_lo
	v_add_co_u32 v154, vcc_lo, v61, v10
	v_add_co_ci_u32_e32 v153, vcc_lo, v39, v13, vcc_lo
	v_add_co_u32 v5, vcc_lo, v60, v2
	v_add_co_ci_u32_e32 v157, vcc_lo, v36, v4, vcc_lo
	v_add_nc_u32_e32 v10, s82, v14
	scratch_store_b32 off, v5, off offset:200 ; 4-byte Folded Spill
	v_add_co_u32 v5, s4, v50, v2
	s_delay_alu instid0(VALU_DEP_1)
	v_add_co_ci_u32_e64 v158, vcc_lo, v29, v4, s4
	v_add_nc_u32_e32 v8, s82, v10
	scratch_store_b32 off, v5, off offset:208 ; 4-byte Folded Spill
	v_add_co_u32 v5, s5, v45, v2
	scratch_store_b32 off, v3, off offset:180 ; 4-byte Folded Spill
	v_add_nc_u32_e32 v3, 30, v1
	v_add_co_ci_u32_e64 v2, vcc_lo, v19, v4, s5
	scratch_store_b32 off, v5, off offset:196 ; 4-byte Folded Spill
	v_add_co_u32 v55, s26, v60, v8
	scratch_store_b32 off, v2, off offset:204 ; 4-byte Folded Spill
	v_mul_lo_u32 v3, s82, v3
	v_add_nc_u32_e32 v2, 29, v1
	v_add_co_u32 v159, s27, v50, v8
	v_add_co_u32 v12, s31, v50, v10
	s_delay_alu instid0(VALU_DEP_3)
	v_mul_lo_u32 v2, s82, v2
	v_add_co_u32 v13, s33, v45, v10
	v_ashrrev_i32_e32 v4, 31, v3
	v_add_co_u32 v164, vcc_lo, v60, v3
	v_add_co_u32 v165, s4, v50, v3
	v_add_co_u32 v161, s5, v45, v3
	v_add_co_u32 v173, s6, v61, v3
	v_add_nc_u32_e32 v3, 28, v1
	v_add_co_ci_u32_e64 v169, s6, v39, v4, s6
	v_add_co_ci_u32_e32 v255, vcc_lo, v36, v4, vcc_lo
	s_delay_alu instid0(VALU_DEP_3)
	v_mul_lo_u32 v3, s82, v3
	v_add_co_ci_u32_e64 v163, vcc_lo, v29, v4, s4
	v_add_co_ci_u32_e64 v47, vcc_lo, v19, v4, s5
	v_ashrrev_i32_e32 v4, 31, v2
	v_add_co_u32 v171, vcc_lo, v60, v2
	v_add_co_u32 v172, s4, v50, v2
	v_add_co_u32 v170, s5, v45, v2
	v_add_co_u32 v181, s6, v61, v2
	v_add_nc_u32_e32 v2, 27, v1
	v_add_co_ci_u32_e64 v182, s6, v39, v4, s6
	v_add_co_ci_u32_e32 v167, vcc_lo, v36, v4, vcc_lo
	v_add_co_ci_u32_e64 v177, vcc_lo, v29, v4, s4
	v_add_co_ci_u32_e64 v174, vcc_lo, v19, v4, s5
	v_mul_lo_u32 v2, s82, v2
	v_ashrrev_i32_e32 v4, 31, v3
	v_add_co_u32 v175, vcc_lo, v60, v3
	v_add_co_u32 v179, s4, v50, v3
	v_add_co_u32 v180, s5, v45, v3
	v_add_co_u32 v189, s6, v61, v3
	v_add_nc_u32_e32 v3, 26, v1
	v_add_co_ci_u32_e64 v168, s6, v39, v4, s6
	v_add_co_ci_u32_e32 v176, vcc_lo, v36, v4, vcc_lo
	s_delay_alu instid0(VALU_DEP_3)
	v_mul_lo_u32 v3, s82, v3
	v_add_co_ci_u32_e64 v73, vcc_lo, v29, v4, s4
	v_add_co_ci_u32_e64 v178, vcc_lo, v19, v4, s5
	v_ashrrev_i32_e32 v4, 31, v2
	v_add_co_u32 v188, vcc_lo, v60, v2
	v_add_co_u32 v183, s4, v50, v2
	v_add_co_u32 v186, s5, v45, v2
	v_add_co_u32 v184, s6, v61, v2
	v_add_nc_u32_e32 v2, 25, v1
	v_add_co_ci_u32_e64 v193, s6, v39, v4, s6
	v_add_co_ci_u32_e32 v190, vcc_lo, v36, v4, vcc_lo
	v_add_co_ci_u32_e64 v187, vcc_lo, v29, v4, s4
	v_add_co_ci_u32_e64 v142, vcc_lo, v19, v4, s5
	v_mul_lo_u32 v2, s82, v2
	;; [unrolled: 23-line block ×4, first 2 shown]
	v_ashrrev_i32_e32 v4, 31, v3
	v_add_co_u32 v236, vcc_lo, v60, v3
	v_add_co_u32 v211, s4, v50, v3
	v_add_co_u32 v234, s5, v45, v3
	;; [unrolled: 1-line block ×3, first 2 shown]
	v_add_nc_u32_e32 v3, 20, v1
	v_add_co_ci_u32_e64 v209, s6, v39, v4, s6
	v_add_co_ci_u32_e32 v237, vcc_lo, v36, v4, vcc_lo
	s_delay_alu instid0(VALU_DEP_3)
	v_mul_lo_u32 v3, s82, v3
	v_add_co_ci_u32_e64 v213, vcc_lo, v29, v4, s4
	v_add_co_ci_u32_e64 v235, vcc_lo, v19, v4, s5
	v_ashrrev_i32_e32 v4, 31, v2
	v_add_co_u32 v239, vcc_lo, v60, v2
	v_add_co_u32 v224, s4, v50, v2
	v_add_co_u32 v238, s5, v45, v2
	;; [unrolled: 1-line block ×3, first 2 shown]
	v_add_nc_u32_e32 v2, 19, v1
	v_add_co_ci_u32_e64 v221, s6, v39, v4, s6
	v_add_co_ci_u32_e32 v222, vcc_lo, v36, v4, vcc_lo
	v_add_co_ci_u32_e64 v228, vcc_lo, v29, v4, s4
	v_add_co_ci_u32_e64 v240, vcc_lo, v19, v4, s5
	v_ashrrev_i32_e32 v4, 31, v3
	v_mul_lo_u32 v2, s82, v2
	v_add_co_u32 v244, vcc_lo, v60, v3
	v_add_co_u32 v245, s4, v50, v3
	v_add_co_u32 v242, s5, v45, v3
	;; [unrolled: 1-line block ×3, first 2 shown]
	s_delay_alu instid0(VALU_DEP_1)
	v_add_co_ci_u32_e64 v253, s6, v39, v4, s6
	v_add_co_ci_u32_e32 v246, vcc_lo, v36, v4, vcc_lo
	v_add_co_ci_u32_e64 v250, vcc_lo, v29, v4, s4
	v_add_co_ci_u32_e64 v218, vcc_lo, v19, v4, s5
	v_add_nc_u32_e32 v4, s82, v8
	v_ashrrev_i32_e32 v3, 31, v2
	v_add_co_u32 v249, vcc_lo, v60, v2
	v_add_co_u32 v62, s4, v50, v2
	v_add_co_u32 v254, s5, v45, v2
	;; [unrolled: 1-line block ×3, first 2 shown]
	v_add_nc_u32_e32 v2, s82, v4
	v_ashrrev_i32_e32 v131, 31, v4
	v_add_co_u32 v48, s21, v61, v4
	v_add_co_u32 v51, s22, v60, v4
	;; [unrolled: 1-line block ×4, first 2 shown]
	scratch_load_b32 v4, off, off offset:132 ; 4-byte Folded Reload
	v_add_co_ci_u32_e64 v58, s6, v39, v3, s6
	v_add_co_ci_u32_e32 v247, vcc_lo, v36, v3, vcc_lo
	v_add_co_ci_u32_e64 v248, vcc_lo, v29, v3, s4
	v_add_co_ci_u32_e64 v251, vcc_lo, v19, v3, s5
	v_add_nc_u32_e32 v3, s82, v2
	v_add_co_u32 v43, s18, v60, v2
	v_add_co_u32 v46, s19, v50, v2
	s_delay_alu instid0(VALU_DEP_3) | instskip(SKIP_2) | instid1(VALU_DEP_3)
	v_add_nc_u32_e32 v5, s82, v3
	v_add_co_u32 v40, s12, v60, v3
	v_add_co_u32 v41, s15, v50, v3
	v_add_nc_u32_e32 v6, s82, v5
	v_ashrrev_i32_e32 v128, 31, v5
	v_add_co_u32 v32, s7, v61, v5
	v_add_co_u32 v34, s8, v60, v5
	s_delay_alu instid0(VALU_DEP_4) | instskip(SKIP_3) | instid1(VALU_DEP_4)
	v_add_nc_u32_e32 v126, s82, v6
	v_ashrrev_i32_e32 v127, 31, v6
	v_add_co_u32 v37, s9, v50, v5
	v_add_co_u32 v35, s10, v45, v5
	v_add_nc_u32_e32 v7, s82, v126
	v_ashrrev_i32_e32 v151, 31, v126
	v_add_co_u32 v42, s16, v45, v3
	v_add_co_u32 v49, s20, v45, v2
	s_delay_alu instid0(VALU_DEP_4) | instskip(SKIP_4) | instid1(VALU_DEP_1)
	v_ashrrev_i32_e32 v9, 31, v7
	v_add_co_u32 v66, vcc_lo, v60, v7
	v_add_co_u32 v68, s4, v50, v7
	v_add_co_u32 v67, s5, v45, v7
	;; [unrolled: 1-line block ×3, first 2 shown]
	v_add_co_ci_u32_e64 v65, s6, v39, v9, s6
	v_add_co_ci_u32_e32 v243, vcc_lo, v36, v9, vcc_lo
	v_add_co_ci_u32_e64 v70, vcc_lo, v29, v9, s4
	v_add_co_ci_u32_e64 v69, vcc_lo, v19, v9, s5
	v_add_co_u32 v63, vcc_lo, v61, v6
	v_add_co_u32 v26, s4, v60, v6
	v_add_co_u32 v31, s5, v50, v6
	;; [unrolled: 1-line block ×20, first 2 shown]
	v_ashrrev_i32_e32 v129, 31, v3
	v_add_co_u32 v38, s11, v61, v3
	v_ashrrev_i32_e32 v130, 31, v2
	v_add_co_u32 v44, s17, v61, v2
	;; [unrolled: 2-line block ×9, first 2 shown]
	v_add_co_u32 v114, s64, v61, v17
	v_add_co_ci_u32_e64 v61, s65, v39, v151, s65
	v_add_co_ci_u32_e64 v145, s58, v36, v151, s58
	v_add_co_ci_u32_e64 v219, s58, v29, v151, s60
	v_add_co_ci_u32_e64 v140, s58, v19, v151, s62
	v_add_co_ci_u32_e32 v133, vcc_lo, v39, v127, vcc_lo
	v_add_co_ci_u32_e64 v151, vcc_lo, v36, v127, s4
	v_add_co_ci_u32_e64 v137, vcc_lo, v29, v127, s5
	;; [unrolled: 1-line block ×3, first 2 shown]
	v_mbcnt_lo_u32_b32 v127, -1, 0
	v_add_co_ci_u32_e64 v118, vcc_lo, v29, v128, s9
	v_add_co_ci_u32_e64 v134, vcc_lo, v29, v129, s15
	;; [unrolled: 1-line block ×19, first 2 shown]
	v_and_b32_e32 v29, 30, v127
	v_add_co_ci_u32_e64 v117, vcc_lo, v36, v128, s8
	v_add_co_ci_u32_e64 v100, vcc_lo, v36, v129, s12
	;; [unrolled: 1-line block ×13, first 2 shown]
	v_add_nc_u32_e32 v29, 2, v29
	v_xor_b32_e32 v36, 1, v127
	v_add_co_ci_u32_e64 v123, vcc_lo, v39, v128, s7
	v_add_co_ci_u32_e64 v125, vcc_lo, v19, v128, s10
	;; [unrolled: 1-line block ×20, first 2 shown]
	v_cmp_lt_i32_e32 vcc_lo, v36, v29
	v_lshlrev_b32_e32 v1, 1, v1
	v_xor_b32_e32 v39, 8, v127
	v_xor_b32_e32 v126, 16, v127
	s_mul_i32 s10, s94, s80
	v_cndmask_b32_e32 v29, v127, v36, vcc_lo
	v_xor_b32_e32 v36, 4, v127
	scratch_store_b32 off, v1, off offset:656 ; 4-byte Folded Spill
	v_add_co_u32 v0, s4, s10, v0
	v_dual_mov_b32 v128, v33 :: v_dual_lshlrev_b32 v29, 2, v29
	s_mul_i32 s6, s74, s82
	s_mul_i32 s7, s74, s92
	;; [unrolled: 1-line block ×3, first 2 shown]
	scratch_store_b32 off, v29, off offset:120 ; 4-byte Folded Spill
	v_xor_b32_e32 v29, 2, v127
	s_mul_i32 s9, s90, s82
	scratch_store_b32 off, v128, off offset:664 ; 4-byte Folded Spill
	v_cmp_gt_i32_e32 vcc_lo, 32, v29
	v_cndmask_b32_e32 v29, v127, v29, vcc_lo
	v_cmp_gt_i32_e32 vcc_lo, 32, v36
	s_delay_alu instid0(VALU_DEP_2)
	v_dual_cndmask_b32 v36, v127, v36 :: v_dual_lshlrev_b32 v29, 2, v29
	v_cmp_gt_i32_e32 vcc_lo, 32, v39
	scratch_store_b32 off, v29, off offset:640 ; 4-byte Folded Spill
	v_lshlrev_b32_e32 v29, 2, v36
	v_cndmask_b32_e32 v39, v127, v39, vcc_lo
	v_cmp_gt_i32_e32 vcc_lo, 32, v126
	v_add_co_ci_u32_e64 v36, null, s89, 0, s4
	scratch_store_b32 off, v29, off offset:644 ; 4-byte Folded Spill
	v_dual_cndmask_b32 v126, v127, v126 :: v_dual_lshlrev_b32 v29, 2, v39
	v_mul_lo_u32 v127, v84, s92
	s_lshl_b64 s[4:5], s[90:91], 1
	s_add_u32 s11, s68, s95
	scratch_store_b32 off, v29, off offset:648 ; 4-byte Folded Spill
	v_lshlrev_b32_e32 v29, 2, v126
	s_addc_u32 s12, s69, s96
	v_add_nc_u32_e32 v1, s92, v127
	scratch_store_b32 off, v29, off offset:652 ; 4-byte Folded Spill
	v_ashrrev_i32_e32 v29, 31, v1
	v_add_co_u32 v39, vcc_lo, v0, v1
	s_delay_alu instid0(VALU_DEP_2) | instskip(NEXT) | instid1(VALU_DEP_2)
	v_add_co_ci_u32_e32 v126, vcc_lo, v36, v29, vcc_lo
	v_add_co_u32 v39, vcc_lo, s97, v39
	scratch_store_b32 off, v39, off         ; 4-byte Folded Spill
	v_add_co_ci_u32_e32 v39, vcc_lo, s98, v126, vcc_lo
	scratch_store_b32 off, v39, off offset:4 ; 4-byte Folded Spill
	v_add_co_u32 v39, vcc_lo, s11, v149
	v_add_co_ci_u32_e32 v126, vcc_lo, s12, v150, vcc_lo
	v_add_co_u32 v129, vcc_lo, s11, v92
	scratch_store_b32 off, v129, off offset:300 ; 4-byte Folded Spill
	v_add_co_ci_u32_e32 v129, vcc_lo, s12, v146, vcc_lo
	v_add_co_u32 v39, vcc_lo, v39, 4
	s_clause 0x1
	scratch_store_b32 off, v129, off offset:304
	scratch_store_b32 off, v39, off offset:308
	v_add_co_ci_u32_e32 v39, vcc_lo, 0, v126, vcc_lo
	scratch_store_b32 off, v39, off offset:312 ; 4-byte Folded Spill
	s_waitcnt vmcnt(0)
	v_add_co_u32 v39, vcc_lo, s11, v4
	scratch_load_b32 v4, off, off offset:136 ; 4-byte Folded Reload
	s_waitcnt vmcnt(0)
	v_add_co_ci_u32_e32 v126, vcc_lo, s12, v4, vcc_lo
	scratch_load_b32 v4, off, off offset:124 ; 4-byte Folded Reload
	s_waitcnt vmcnt(0)
	v_add_co_u32 v129, vcc_lo, s11, v4
	scratch_load_b32 v4, off, off offset:128 ; 4-byte Folded Reload
	s_add_u32 s11, s97, s10
	scratch_store_b32 off, v129, off offset:316 ; 4-byte Folded Spill
	s_waitcnt vmcnt(0)
	v_add_co_ci_u32_e32 v129, vcc_lo, s12, v4, vcc_lo
	scratch_load_b32 v4, off, off offset:156 ; 4-byte Folded Reload
	v_add_co_u32 v39, vcc_lo, v39, 4
	v_add_co_ci_u32_e32 v92, vcc_lo, 0, v126, vcc_lo
	s_addc_u32 s12, s98, s89
	scratch_store_b32 off, v39, off offset:324 ; 4-byte Folded Spill
	s_add_u32 s10, s10, s93
	s_waitcnt vmcnt(0)
	v_add_co_u32 v39, vcc_lo, s68, v4
	scratch_load_b32 v4, off, off offset:160 ; 4-byte Folded Reload
	s_clause 0x1
	scratch_store_b32 off, v129, off offset:320
	scratch_store_b32 off, v39, off offset:124
	s_waitcnt vmcnt(0)
	v_add_co_ci_u32_e32 v39, vcc_lo, s69, v4, vcc_lo
	scratch_load_b32 v4, off, off offset:140 ; 4-byte Folded Reload
	v_add_co_u32 v143, vcc_lo, s11, v1
	v_add_co_ci_u32_e32 v126, vcc_lo, s12, v29, vcc_lo
	v_add_co_u32 v0, vcc_lo, v0, s93
	v_add_co_ci_u32_e32 v1, vcc_lo, s83, v36, vcc_lo
	v_ashrrev_i32_e32 v29, 31, v127
	s_delay_alu instid0(VALU_DEP_3)
	v_add_co_u32 v0, vcc_lo, v0, v127
	scratch_store_b32 off, v39, off offset:128 ; 4-byte Folded Spill
	s_addc_u32 s11, s89, s83
	v_add_co_ci_u32_e32 v1, vcc_lo, v1, v29, vcc_lo
	s_add_u32 s10, s66, s10
	s_addc_u32 s11, s67, s11
	s_waitcnt vmcnt(0)
	v_add_co_u32 v36, vcc_lo, v4, s68
	scratch_load_b32 v4, off, off offset:144 ; 4-byte Folded Reload
	s_waitcnt vmcnt(0)
	v_add_co_ci_u32_e32 v39, vcc_lo, s69, v4, vcc_lo
	v_add_co_u32 v129, vcc_lo, s66, v0
	v_add_co_ci_u32_e32 v130, vcc_lo, s67, v1, vcc_lo
	v_add_co_u32 v0, vcc_lo, v36, 4
	s_clause 0x1
	scratch_load_b32 v1, off, off offset:172
	scratch_load_b32 v4, off, off offset:148
	scratch_store_b32 off, v0, off offset:132 ; 4-byte Folded Spill
	v_add_co_ci_u32_e32 v0, vcc_lo, 0, v39, vcc_lo
	scratch_store_b32 off, v0, off offset:136 ; 4-byte Folded Spill
	scratch_load_b32 v0, off, off offset:168 ; 4-byte Folded Reload
	s_waitcnt vmcnt(0)
	v_add_co_u32 v0, vcc_lo, v0, s68
	v_add_co_ci_u32_e32 v1, vcc_lo, s69, v1, vcc_lo
	v_add_co_u32 v36, vcc_lo, s68, v4
	scratch_load_b32 v4, off, off offset:152 ; 4-byte Folded Reload
	scratch_store_b32 off, v36, off offset:140 ; 4-byte Folded Spill
	s_waitcnt vmcnt(0)
	v_add_co_ci_u32_e32 v36, vcc_lo, s69, v4, vcc_lo
	v_add_co_u32 v147, vcc_lo, v0, 4
	scratch_load_b32 v0, off, off offset:188 ; 4-byte Folded Reload
	v_add_co_ci_u32_e32 v146, vcc_lo, 0, v1, vcc_lo
	s_clause 0x1
	scratch_load_b32 v1, off, off offset:192
	scratch_load_b32 v4, off, off offset:164
	scratch_store_b32 off, v36, off offset:144 ; 4-byte Folded Spill
	s_waitcnt vmcnt(2)
	v_add_co_u32 v0, vcc_lo, v0, s68
	s_waitcnt vmcnt(1)
	v_add_co_ci_u32_e32 v1, vcc_lo, s69, v1, vcc_lo
	s_waitcnt vmcnt(0)
	v_add_co_u32 v36, vcc_lo, s68, v4
	scratch_load_b32 v4, off, off offset:184 ; 4-byte Folded Reload
	scratch_store_b32 off, v36, off offset:148 ; 4-byte Folded Spill
	s_waitcnt vmcnt(0)
	v_add_co_ci_u32_e32 v36, vcc_lo, s69, v4, vcc_lo
	scratch_load_b32 v4, off, off offset:176 ; 4-byte Folded Reload
	v_add_co_u32 v149, vcc_lo, v0, 4
	v_add_co_ci_u32_e32 v152, vcc_lo, 0, v1, vcc_lo
	v_add_co_u32 v0, vcc_lo, v154, s68
	v_add_co_ci_u32_e32 v1, vcc_lo, s69, v153, vcc_lo
	scratch_store_b32 off, v36, off offset:152 ; 4-byte Folded Spill
	s_waitcnt vmcnt(0)
	v_add_co_u32 v36, vcc_lo, s68, v4
	scratch_load_b32 v4, off, off offset:180 ; 4-byte Folded Reload
	scratch_store_b32 off, v36, off offset:156 ; 4-byte Folded Spill
	s_waitcnt vmcnt(0)
	v_add_co_ci_u32_e32 v36, vcc_lo, s69, v4, vcc_lo
	v_add_co_u32 v153, vcc_lo, v0, 4
	v_add_co_ci_u32_e32 v154, vcc_lo, 0, v1, vcc_lo
	v_add_co_u32 v0, vcc_lo, s10, v127
	;; [unrolled: 2-line block ×3, first 2 shown]
	scratch_store_b32 off, v36, off offset:160 ; 4-byte Folded Spill
	v_add_co_ci_u32_e32 v36, vcc_lo, s69, v160, vcc_lo
	v_add_co_u32 v127, vcc_lo, 0x8c, v0
	v_add_co_ci_u32_e32 v131, vcc_lo, 0, v1, vcc_lo
	v_add_co_u32 v0, vcc_lo, v29, 4
	scratch_load_b32 v4, off, off offset:200 ; 4-byte Folded Reload
	scratch_store_b32 off, v0, off offset:352 ; 4-byte Folded Spill
	v_add_co_ci_u32_e32 v0, vcc_lo, 0, v36, vcc_lo
	scratch_store_b32 off, v0, off offset:356 ; 4-byte Folded Spill
	scratch_load_b32 v0, off, off offset:208 ; 4-byte Folded Reload
	s_waitcnt vmcnt(0)
	v_add_co_u32 v0, vcc_lo, v0, s68
	v_add_co_ci_u32_e32 v1, vcc_lo, s69, v158, vcc_lo
	v_add_co_u32 v29, vcc_lo, s68, v4
	scratch_load_b32 v4, off, off offset:196 ; 4-byte Folded Reload
	scratch_store_b32 off, v29, off offset:360 ; 4-byte Folded Spill
	v_add_co_ci_u32_e32 v29, vcc_lo, s69, v157, vcc_lo
	v_add_co_u32 v0, vcc_lo, v0, 4
	s_clause 0x1
	scratch_store_b32 off, v29, off offset:364
	scratch_store_b32 off, v0, off offset:368
	v_add_co_ci_u32_e32 v0, vcc_lo, 0, v1, vcc_lo
	scratch_store_b32 off, v0, off offset:372 ; 4-byte Folded Spill
	v_add_co_u32 v0, vcc_lo, v173, s68
	v_add_co_ci_u32_e32 v1, vcc_lo, s69, v169, vcc_lo
	s_waitcnt vmcnt(0)
	v_add_co_u32 v29, vcc_lo, s68, v4
	scratch_load_b32 v4, off, off offset:204 ; 4-byte Folded Reload
	scratch_store_b32 off, v29, off offset:376 ; 4-byte Folded Spill
	s_waitcnt vmcnt(0)
	v_add_co_ci_u32_e32 v29, vcc_lo, s69, v4, vcc_lo
	v_add_co_u32 v0, vcc_lo, v0, 4
	s_clause 0x1
	scratch_store_b32 off, v29, off offset:380
	scratch_store_b32 off, v0, off offset:384
	v_add_co_ci_u32_e32 v0, vcc_lo, 0, v1, vcc_lo
	scratch_store_b32 off, v0, off offset:388 ; 4-byte Folded Spill
	v_add_co_u32 v0, vcc_lo, v165, s68
	v_add_co_ci_u32_e32 v1, vcc_lo, s69, v163, vcc_lo
	v_add_co_u32 v29, vcc_lo, s68, v164
	scratch_store_b32 off, v29, off offset:392 ; 4-byte Folded Spill
	v_add_co_ci_u32_e32 v29, vcc_lo, s69, v255, vcc_lo
	v_add_co_u32 v0, vcc_lo, v0, 4
	s_clause 0x1
	scratch_store_b32 off, v29, off offset:396
	scratch_store_b32 off, v0, off offset:400
	v_add_co_ci_u32_e32 v0, vcc_lo, 0, v1, vcc_lo
	scratch_store_b32 off, v0, off offset:404 ; 4-byte Folded Spill
	v_add_co_u32 v0, vcc_lo, v181, s68
	v_add_co_ci_u32_e32 v1, vcc_lo, s69, v182, vcc_lo
	v_add_co_u32 v29, vcc_lo, s68, v161
	scratch_store_b32 off, v29, off offset:408 ; 4-byte Folded Spill
	;; [unrolled: 11-line block ×3, first 2 shown]
	v_add_co_ci_u32_e32 v29, vcc_lo, s69, v167, vcc_lo
	v_add_co_u32 v0, vcc_lo, v0, 4
	scratch_store_b32 off, v0, off offset:180 ; 4-byte Folded Spill
	v_add_co_ci_u32_e32 v0, vcc_lo, 0, v1, vcc_lo
	s_clause 0x1
	scratch_store_b32 off, v29, off offset:164
	scratch_store_b32 off, v0, off offset:176
	v_add_co_u32 v0, vcc_lo, v189, s68
	v_add_co_ci_u32_e32 v1, vcc_lo, s69, v168, vcc_lo
	v_add_co_u32 v29, vcc_lo, s68, v170
	scratch_store_b32 off, v29, off offset:168 ; 4-byte Folded Spill
	v_add_co_ci_u32_e32 v29, vcc_lo, s69, v174, vcc_lo
	v_add_co_u32 v0, vcc_lo, v0, 4
	scratch_store_b32 off, v0, off offset:204 ; 4-byte Folded Spill
	v_add_co_ci_u32_e32 v0, vcc_lo, 0, v1, vcc_lo
	s_clause 0x1
	scratch_store_b32 off, v29, off offset:172
	scratch_store_b32 off, v0, off offset:192
	v_add_co_u32 v0, vcc_lo, v179, s68
	v_add_co_ci_u32_e32 v1, vcc_lo, s69, v73, vcc_lo
	v_add_co_u32 v29, vcc_lo, s68, v175
	scratch_store_b32 off, v29, off offset:184 ; 4-byte Folded Spill
	v_add_co_ci_u32_e32 v29, vcc_lo, s69, v176, vcc_lo
	v_add_co_u32 v0, vcc_lo, v0, 4
	s_clause 0x1
	scratch_store_b32 off, v29, off offset:188
	scratch_store_b32 off, v0, off offset:208
	v_add_co_ci_u32_e32 v0, vcc_lo, 0, v1, vcc_lo
	scratch_store_b32 off, v0, off offset:212 ; 4-byte Folded Spill
	v_add_co_u32 v0, vcc_lo, v184, s68
	v_add_co_ci_u32_e32 v1, vcc_lo, s69, v193, vcc_lo
	v_add_co_u32 v29, vcc_lo, s68, v180
	scratch_store_b32 off, v29, off offset:196 ; 4-byte Folded Spill
	v_add_co_ci_u32_e32 v29, vcc_lo, s69, v178, vcc_lo
	v_add_co_u32 v158, vcc_lo, v0, 4
	v_add_co_ci_u32_e32 v168, vcc_lo, 0, v1, vcc_lo
	v_add_co_u32 v0, vcc_lo, v183, s68
	;; [unrolled: 2-line block ×3, first 2 shown]
	s_clause 0x1
	scratch_store_b32 off, v29, off offset:200
	scratch_store_b32 off, v4, off offset:216
	v_add_co_ci_u32_e32 v4, vcc_lo, s69, v190, vcc_lo
	v_add_co_u32 v0, vcc_lo, v0, 4
	s_clause 0x1
	scratch_store_b32 off, v4, off offset:220
	scratch_store_b32 off, v0, off offset:224
	v_add_co_ci_u32_e32 v0, vcc_lo, 0, v1, vcc_lo
	scratch_store_b32 off, v0, off offset:228 ; 4-byte Folded Spill
	v_add_co_u32 v0, vcc_lo, v210, s68
	v_add_co_ci_u32_e32 v1, vcc_lo, s69, v208, vcc_lo
	v_add_co_u32 v4, vcc_lo, s68, v186
	scratch_store_b32 off, v4, off offset:232 ; 4-byte Folded Spill
	v_add_co_ci_u32_e32 v4, vcc_lo, s69, v142, vcc_lo
	v_add_co_u32 v0, vcc_lo, v0, 4
	v_mov_b32_e32 v142, v126
	s_clause 0x1
	scratch_store_b32 off, v4, off offset:236
	scratch_store_b32 off, v0, off offset:244
	v_add_co_ci_u32_e32 v0, vcc_lo, 0, v1, vcc_lo
	scratch_store_b32 off, v0, off offset:248 ; 4-byte Folded Spill
	v_add_co_u32 v0, vcc_lo, v198, s68
	v_add_co_ci_u32_e32 v1, vcc_lo, s69, v199, vcc_lo
	v_add_co_u32 v4, vcc_lo, s68, v197
	scratch_store_b32 off, v4, off offset:240 ; 4-byte Folded Spill
	v_add_co_ci_u32_e32 v4, vcc_lo, s69, v202, vcc_lo
	v_add_co_u32 v0, vcc_lo, v0, 4
	s_clause 0x1
	scratch_store_b32 off, v4, off offset:252
	scratch_store_b32 off, v0, off offset:264
	v_add_co_ci_u32_e32 v0, vcc_lo, 0, v1, vcc_lo
	scratch_store_b32 off, v0, off offset:268 ; 4-byte Folded Spill
	v_add_co_u32 v0, vcc_lo, v216, s68
	v_add_co_ci_u32_e32 v1, vcc_lo, s69, v206, vcc_lo
	v_add_co_u32 v4, vcc_lo, s68, v194
	scratch_store_b32 off, v4, off offset:256 ; 4-byte Folded Spill
	v_add_co_ci_u32_e32 v4, vcc_lo, s69, v201, vcc_lo
	v_add_co_u32 v0, vcc_lo, v0, 4
	;; [unrolled: 11-line block ×3, first 2 shown]
	s_clause 0x1
	scratch_store_b32 off, v4, off offset:280
	scratch_store_b32 off, v0, off offset:288
	v_add_co_ci_u32_e32 v0, vcc_lo, 0, v1, vcc_lo
	scratch_store_b32 off, v0, off offset:292 ; 4-byte Folded Spill
	v_add_co_u32 v0, vcc_lo, v217, s68
	v_add_co_ci_u32_e32 v1, vcc_lo, s69, v226, vcc_lo
	v_add_co_u32 v4, vcc_lo, s68, v195
	v_add_co_ci_u32_e32 v183, vcc_lo, s69, v191, vcc_lo
	s_delay_alu instid0(VALU_DEP_4) | instskip(NEXT) | instid1(VALU_DEP_4)
	v_add_co_u32 v188, vcc_lo, v0, 4
	v_add_co_ci_u32_e32 v172, vcc_lo, 0, v1, vcc_lo
	v_add_co_u32 v0, vcc_lo, v207, s68
	v_add_co_ci_u32_e32 v1, vcc_lo, s69, v225, vcc_lo
	v_add_co_u32 v184, vcc_lo, s68, v200
	v_add_co_ci_u32_e32 v193, vcc_lo, s69, v223, vcc_lo
	s_delay_alu instid0(VALU_DEP_4) | instskip(NEXT) | instid1(VALU_DEP_4)
	v_add_co_u32 v197, vcc_lo, v0, 4
	v_add_co_ci_u32_e32 v198, vcc_lo, 0, v1, vcc_lo
	;; [unrolled: 7-line block ×30, first 2 shown]
	v_add_co_u32 v0, vcc_lo, v74, s68
	v_add_co_ci_u32_e32 v1, vcc_lo, s69, v122, vcc_lo
	scratch_store_b32 off, v4, off offset:296 ; 4-byte Folded Spill
	v_add_co_u32 v4, vcc_lo, s68, v13
	v_add_co_ci_u32_e32 v160, vcc_lo, s69, v135, vcc_lo
	v_add_co_u32 v162, vcc_lo, v0, 4
	v_add_co_ci_u32_e32 v167, vcc_lo, 0, v1, vcc_lo
	v_add_co_u32 v0, vcc_lo, v76, s68
	v_add_co_ci_u32_e32 v1, vcc_lo, s69, v139, vcc_lo
	v_add_co_u32 v5, vcc_lo, s68, v185
	v_add_co_ci_u32_e32 v163, vcc_lo, s69, v106, vcc_lo
	s_delay_alu instid0(VALU_DEP_4) | instskip(NEXT) | instid1(VALU_DEP_4)
	v_add_co_u32 v173, vcc_lo, v0, 4
	v_add_co_ci_u32_e32 v8, vcc_lo, 0, v1, vcc_lo
	v_add_co_u32 v0, vcc_lo, v78, s68
	v_add_co_ci_u32_e32 v1, vcc_lo, s69, v2, vcc_lo
	v_add_co_u32 v169, vcc_lo, s68, v166
	v_add_co_ci_u32_e32 v170, vcc_lo, s69, v3, vcc_lo
	s_delay_alu instid0(VALU_DEP_4) | instskip(NEXT) | instid1(VALU_DEP_4)
	v_add_co_u32 v171, vcc_lo, v0, 4
	v_add_co_ci_u32_e32 v175, vcc_lo, 0, v1, vcc_lo
	v_add_co_u32 v0, vcc_lo, v81, s68
	v_add_co_ci_u32_e32 v1, vcc_lo, s69, v136, vcc_lo
	v_add_co_u32 v9, vcc_lo, s68, v77
	v_add_co_ci_u32_e32 v174, vcc_lo, s69, v71, vcc_lo
	;; [unrolled: 7-line block ×12, first 2 shown]
	s_delay_alu instid0(VALU_DEP_4) | instskip(NEXT) | instid1(VALU_DEP_4)
	v_add_co_u32 v176, vcc_lo, v16, 4
	v_add_co_ci_u32_e32 v187, vcc_lo, 0, v17, vcc_lo
	v_add_co_u32 v186, vcc_lo, s68, v90
	v_add_co_ci_u32_e32 v155, vcc_lo, s69, v19, vcc_lo
	v_dual_mov_b32 v144, 0 :: v_dual_and_b32 v89, 4, v128
	v_mov_b32_e32 v18, 0xfeffffff
	v_dual_mov_b32 v16, 0 :: v_dual_mov_b32 v95, 0
	v_dual_mov_b32 v94, 0 :: v_dual_mov_b32 v93, 0
	scratch_store_b32 off, v16, off offset:504 ; 4-byte Folded Spill
.LBB23_15:                              ; =>This Inner Loop Header: Depth=1
	v_add_co_u32 v16, vcc_lo, v127, s7
	v_add_co_ci_u32_e32 v17, vcc_lo, 0, v131, vcc_lo
	s_clause 0x1
	scratch_store_b32 off, v127, off offset:344
	scratch_store_b32 off, v131, off offset:348
	s_clause 0x7
	global_load_b32 v19, v[16:17], off offset:-140
	global_load_b32 v20, v[16:17], off offset:-120
	;; [unrolled: 1-line block ×7, first 2 shown]
	global_load_b32 v96, v[16:17], off
	v_add_co_u32 v16, vcc_lo, v129, s7
	v_add_co_ci_u32_e32 v17, vcc_lo, 0, v130, vcc_lo
	s_clause 0x1
	scratch_store_b32 off, v129, off offset:336
	scratch_store_b32 off, v130, off offset:340
	s_clause 0x7
	global_load_b32 v98, v[16:17], off offset:4
	global_load_b32 v99, v[16:17], off offset:12
	;; [unrolled: 1-line block ×8, first 2 shown]
	s_clause 0x5
	scratch_load_b128 v[129:132], off, off offset:592
	scratch_load_b64 v[127:128], off, off offset:584
	scratch_load_b64 v[121:122], off, off offset:560
	;; [unrolled: 1-line block ×5, first 2 shown]
	s_and_b32 vcc_lo, exec_lo, s81
	s_waitcnt vmcnt(21)
	v_cvt_f32_f16_e32 v97, v19
	v_lshrrev_b32_e32 v19, 16, v19
	s_delay_alu instid0(VALU_DEP_1)
	v_cvt_f32_f16_e32 v19, v19
	s_waitcnt vmcnt(13)
	v_and_b32_e32 v106, 0xf0f0f0f, v98
	v_lshrrev_b32_e32 v98, 4, v98
	s_waitcnt vmcnt(12)
	v_lshrrev_b32_e32 v107, 4, v99
	s_waitcnt vmcnt(10)
	v_lshrrev_b32_e32 v108, 4, v101
	v_and_b32_e32 v99, 0xf0f0f0f, v99
	v_and_b32_e32 v101, 0xf0f0f0f, v101
	;; [unrolled: 1-line block ×3, first 2 shown]
	s_waitcnt vmcnt(8)
	v_lshrrev_b32_e32 v109, 4, v103
	s_waitcnt vmcnt(5)
	v_dual_mul_f32 v19, v130, v19 :: v_dual_and_b32 v108, 0xf0f0f0f, v108
	v_mul_f32_e32 v97, v129, v97
	s_waitcnt vmcnt(3)
	v_dot4_i32_iu8 v106, v106, v121, 0 neg_lo:[1,1,0]
	v_dot4_i32_iu8 v99, v99, v122, 0 neg_lo:[1,1,0]
	s_waitcnt vmcnt(2)
	v_dot4_i32_iu8 v98, v98, v123, 0 neg_lo:[1,1,0]
	v_dot4_i32_iu8 v108, v108, v128, 0 neg_lo:[1,1,0]
	v_mul_f32_e32 v19, 0x3e000000, v19
	v_cvt_f32_i32_e32 v106, v106
	v_cvt_f32_i32_e32 v99, v99
	;; [unrolled: 1-line block ×4, first 2 shown]
	v_and_b32_e32 v107, 0xf0f0f0f, v107
	v_fma_f32 v106, v97, v106, v19
	v_fma_f32 v99, v97, v99, v19
	v_fma_f32 v98, v97, v98, v19
	s_waitcnt vmcnt(1)
	v_dot4_i32_iu8 v101, v101, v126, 0 neg_lo:[1,1,0]
	v_dot4_i32_iu8 v107, v107, v124, 0 neg_lo:[1,1,0]
	v_and_b32_e32 v103, 0xf0f0f0f, v103
	v_and_b32_e32 v109, 0xf0f0f0f, v109
	s_delay_alu instid0(VALU_DEP_4) | instskip(NEXT) | instid1(VALU_DEP_4)
	v_cvt_f32_i32_e32 v101, v101
	v_cvt_f32_i32_e32 v107, v107
	s_waitcnt vmcnt(0)
	v_dot4_i32_iu8 v103, v103, v114, 0 neg_lo:[1,1,0]
	scratch_load_b64 v[114:115], off, off offset:56 ; 8-byte Folded Reload
	v_fmac_f32_e32 v19, v97, v107
	v_cvt_f32_f16_e32 v97, v20
	v_lshrrev_b32_e32 v20, 16, v20
	v_and_b32_e32 v107, 0xf0f0f0f, v100
	v_lshrrev_b32_e32 v100, 4, v100
	v_cvt_f32_i32_e32 v103, v103
	v_mul_f32_e32 v97, v131, v97
	v_cvt_f32_f16_e32 v20, v20
	v_dot4_i32_iu8 v107, v107, v125, 0 neg_lo:[1,1,0]
	v_and_b32_e32 v100, 0xf0f0f0f, v100
	s_delay_alu instid0(VALU_DEP_3) | instskip(NEXT) | instid1(VALU_DEP_3)
	v_mul_f32_e32 v20, v132, v20
	v_cvt_f32_i32_e32 v107, v107
	s_delay_alu instid0(VALU_DEP_3) | instskip(NEXT) | instid1(VALU_DEP_3)
	v_dot4_i32_iu8 v100, v100, v127, 0 neg_lo:[1,1,0]
	v_mul_f32_e32 v20, 0x3e000000, v20
	s_delay_alu instid0(VALU_DEP_2) | instskip(NEXT) | instid1(VALU_DEP_2)
	v_cvt_f32_i32_e32 v100, v100
	v_fma_f32 v107, v97, v107, v20
	v_fma_f32 v101, v97, v101, v20
	s_delay_alu instid0(VALU_DEP_3)
	v_fma_f32 v100, v97, v100, v20
	v_fmac_f32_e32 v20, v97, v108
	v_cvt_f32_f16_e32 v97, v21
	v_and_b32_e32 v108, 0xf0f0f0f, v102
	v_lshrrev_b32_e32 v21, 16, v21
	v_lshrrev_b32_e32 v102, 4, v102
	s_delay_alu instid0(VALU_DEP_3)
	v_dot4_i32_iu8 v108, v108, v113, 0 neg_lo:[1,1,0]
	scratch_load_b128 v[110:113], off, off offset:8 ; 16-byte Folded Reload
	v_cvt_f32_f16_e32 v21, v21
	v_and_b32_e32 v102, 0xf0f0f0f, v102
	v_cvt_f32_i32_e32 v108, v108
	s_waitcnt vmcnt(0)
	s_delay_alu instid0(VALU_DEP_3) | instskip(SKIP_3) | instid1(VALU_DEP_1)
	v_mul_f32_e32 v21, v111, v21
	v_mul_f32_e32 v97, v110, v97
	scratch_load_b64 v[110:111], off, off offset:48 ; 8-byte Folded Reload
	v_mul_f32_e32 v21, 0x3e000000, v21
	v_fma_f32 v108, v97, v108, v21
	v_fma_f32 v103, v97, v103, v21
	s_waitcnt vmcnt(0)
	v_dot4_i32_iu8 v102, v102, v110, 0 neg_lo:[1,1,0]
	v_dot4_i32_iu8 v109, v109, v111, 0 neg_lo:[1,1,0]
	v_lshrrev_b32_e32 v110, 4, v105
	v_and_b32_e32 v105, 0xf0f0f0f, v105
	s_delay_alu instid0(VALU_DEP_4) | instskip(NEXT) | instid1(VALU_DEP_4)
	v_cvt_f32_i32_e32 v102, v102
	v_cvt_f32_i32_e32 v109, v109
	s_delay_alu instid0(VALU_DEP_3) | instskip(NEXT) | instid1(VALU_DEP_3)
	v_dot4_i32_iu8 v105, v105, v115, 0 neg_lo:[1,1,0]
	v_fma_f32 v102, v97, v102, v21
	s_delay_alu instid0(VALU_DEP_3)
	v_fmac_f32_e32 v21, v97, v109
	v_cvt_f32_f16_e32 v97, v22
	v_and_b32_e32 v110, 0xf0f0f0f, v110
	v_lshrrev_b32_e32 v22, 16, v22
	v_and_b32_e32 v109, 0xf0f0f0f, v104
	v_lshrrev_b32_e32 v104, 4, v104
	v_mul_f32_e32 v97, v112, v97
	scratch_load_b64 v[111:112], off, off offset:64 ; 8-byte Folded Reload
	v_cvt_f32_f16_e32 v22, v22
	v_dot4_i32_iu8 v109, v109, v114, 0 neg_lo:[1,1,0]
	v_and_b32_e32 v104, 0xf0f0f0f, v104
	v_cvt_f32_i32_e32 v105, v105
	s_delay_alu instid0(VALU_DEP_4) | instskip(NEXT) | instid1(VALU_DEP_4)
	v_mul_f32_e32 v22, v113, v22
	v_cvt_f32_i32_e32 v109, v109
	s_delay_alu instid0(VALU_DEP_2) | instskip(NEXT) | instid1(VALU_DEP_1)
	v_mul_f32_e32 v22, 0x3e000000, v22
	v_fma_f32 v109, v97, v109, v22
	v_fma_f32 v105, v97, v105, v22
	s_waitcnt vmcnt(0)
	v_dot4_i32_iu8 v104, v104, v111, 0 neg_lo:[1,1,0]
	v_dot4_i32_iu8 v110, v110, v112, 0 neg_lo:[1,1,0]
	s_delay_alu instid0(VALU_DEP_2) | instskip(NEXT) | instid1(VALU_DEP_2)
	v_cvt_f32_i32_e32 v104, v104
	v_cvt_f32_i32_e32 v110, v110
	s_delay_alu instid0(VALU_DEP_2) | instskip(NEXT) | instid1(VALU_DEP_2)
	v_fma_f32 v104, v97, v104, v22
	v_fmac_f32_e32 v22, v97, v110
	s_clause 0x7
	global_load_b32 v97, v[16:17], off offset:84
	global_load_b32 v110, v[16:17], off offset:92
	;; [unrolled: 1-line block ×8, first 2 shown]
	s_clause 0x1
	scratch_load_b64 v[118:119], off, off offset:72
	scratch_load_b128 v[133:136], off, off offset:24
	v_cvt_f32_f16_e32 v17, v23
	v_lshrrev_b32_e32 v23, 16, v23
	s_clause 0x1
	scratch_load_b64 v[137:138], off, off offset:104
	scratch_load_b64 v[139:140], off, off offset:112
	v_cvt_f32_f16_e32 v23, v23
	s_waitcnt vmcnt(11)
	v_and_b32_e32 v116, 0xf0f0f0f, v97
	s_waitcnt vmcnt(10)
	v_lshrrev_b32_e32 v117, 4, v110
	v_and_b32_e32 v110, 0xf0f0f0f, v110
	v_lshrrev_b32_e32 v97, 4, v97
	s_delay_alu instid0(VALU_DEP_3) | instskip(NEXT) | instid1(VALU_DEP_2)
	v_and_b32_e32 v117, 0xf0f0f0f, v117
	v_and_b32_e32 v97, 0xf0f0f0f, v97
	s_waitcnt vmcnt(2)
	v_mul_f32_e32 v17, v133, v17
	v_mul_f32_e32 v23, v134, v23
	v_dot4_i32_iu8 v116, v116, v118, 0 neg_lo:[1,1,0]
	v_dot4_i32_iu8 v110, v110, v119, 0 neg_lo:[1,1,0]
	scratch_load_b64 v[118:119], off, off offset:80 ; 8-byte Folded Reload
	v_mul_f32_e32 v23, 0x3e000000, v23
	v_cvt_f32_i32_e32 v116, v116
	v_cvt_f32_i32_e32 v110, v110
	s_delay_alu instid0(VALU_DEP_2) | instskip(NEXT) | instid1(VALU_DEP_2)
	v_fma_f32 v116, v17, v116, v23
	v_fma_f32 v110, v17, v110, v23
	s_waitcnt vmcnt(0)
	v_dot4_i32_iu8 v117, v117, v119, 0 neg_lo:[1,1,0]
	scratch_load_b64 v[119:120], off, off offset:88 ; 8-byte Folded Reload
	v_dot4_i32_iu8 v97, v97, v118, 0 neg_lo:[1,1,0]
	v_lshrrev_b32_e32 v118, 4, v112
	v_and_b32_e32 v112, 0xf0f0f0f, v112
	v_cvt_f32_i32_e32 v117, v117
	s_delay_alu instid0(VALU_DEP_4) | instskip(NEXT) | instid1(VALU_DEP_1)
	v_cvt_f32_i32_e32 v97, v97
	v_fma_f32 v97, v17, v97, v23
	s_delay_alu instid0(VALU_DEP_3)
	v_fmac_f32_e32 v23, v17, v117
	v_and_b32_e32 v117, 0xf0f0f0f, v111
	v_cvt_f32_f16_e32 v17, v90
	v_lshrrev_b32_e32 v90, 16, v90
	v_and_b32_e32 v118, 0xf0f0f0f, v118
	v_lshrrev_b32_e32 v111, 4, v111
	s_delay_alu instid0(VALU_DEP_4) | instskip(NEXT) | instid1(VALU_DEP_4)
	v_mul_f32_e32 v17, v135, v17
	v_cvt_f32_f16_e32 v90, v90
	s_delay_alu instid0(VALU_DEP_1)
	v_dual_mul_f32 v90, v136, v90 :: v_dual_and_b32 v111, 0xf0f0f0f, v111
	scratch_load_b128 v[133:136], off, off offset:608 ; 16-byte Folded Reload
	v_mul_f32_e32 v90, 0x3e000000, v90
	s_waitcnt vmcnt(1)
	v_dot4_i32_iu8 v117, v117, v119, 0 neg_lo:[1,1,0]
	v_dot4_i32_iu8 v112, v112, v120, 0 neg_lo:[1,1,0]
	scratch_load_b64 v[119:120], off, off offset:96 ; 8-byte Folded Reload
	v_cvt_f32_i32_e32 v117, v117
	v_cvt_f32_i32_e32 v112, v112
	s_delay_alu instid0(VALU_DEP_2) | instskip(NEXT) | instid1(VALU_DEP_2)
	v_fma_f32 v117, v17, v117, v90
	v_fma_f32 v112, v17, v112, v90
	s_waitcnt vmcnt(0)
	v_dot4_i32_iu8 v111, v111, v119, 0 neg_lo:[1,1,0]
	v_dot4_i32_iu8 v118, v118, v120, 0 neg_lo:[1,1,0]
	v_lshrrev_b32_e32 v119, 4, v114
	v_lshrrev_b32_e32 v120, 4, v16
	v_and_b32_e32 v16, 0xf0f0f0f, v16
	v_cvt_f32_i32_e32 v111, v111
	v_cvt_f32_i32_e32 v118, v118
	v_and_b32_e32 v119, 0xf0f0f0f, v119
	s_delay_alu instid0(VALU_DEP_4) | instskip(NEXT) | instid1(VALU_DEP_4)
	v_dot4_i32_iu8 v16, v16, v140, 0 neg_lo:[1,1,0]
	v_fma_f32 v111, v17, v111, v90
	s_delay_alu instid0(VALU_DEP_4) | instskip(SKIP_4) | instid1(VALU_DEP_4)
	v_fmac_f32_e32 v90, v17, v118
	v_cvt_f32_f16_e32 v17, v91
	v_lshrrev_b32_e32 v91, 16, v91
	v_and_b32_e32 v114, 0xf0f0f0f, v114
	v_cvt_f32_i32_e32 v16, v16
	v_mul_f32_e32 v17, v133, v17
	s_delay_alu instid0(VALU_DEP_4) | instskip(SKIP_3) | instid1(VALU_DEP_4)
	v_cvt_f32_f16_e32 v91, v91
	v_and_b32_e32 v118, 0xf0f0f0f, v113
	v_dot4_i32_iu8 v114, v114, v138, 0 neg_lo:[1,1,0]
	v_lshrrev_b32_e32 v113, 4, v113
	v_mul_f32_e32 v91, v134, v91
	s_delay_alu instid0(VALU_DEP_4)
	v_dot4_i32_iu8 v118, v118, v137, 0 neg_lo:[1,1,0]
	scratch_load_b64 v[137:138], off, off offset:624 ; 8-byte Folded Reload
	v_and_b32_e32 v113, 0xf0f0f0f, v113
	v_cvt_f32_i32_e32 v114, v114
	v_mul_f32_e32 v91, 0x3e000000, v91
	v_cvt_f32_i32_e32 v118, v118
	s_delay_alu instid0(VALU_DEP_2) | instskip(NEXT) | instid1(VALU_DEP_2)
	v_fma_f32 v114, v17, v114, v91
	v_fma_f32 v118, v17, v118, v91
	s_waitcnt vmcnt(0)
	v_dot4_i32_iu8 v113, v113, v137, 0 neg_lo:[1,1,0]
	v_dot4_i32_iu8 v119, v119, v138, 0 neg_lo:[1,1,0]
	s_delay_alu instid0(VALU_DEP_2) | instskip(NEXT) | instid1(VALU_DEP_2)
	v_cvt_f32_i32_e32 v113, v113
	v_cvt_f32_i32_e32 v119, v119
	s_delay_alu instid0(VALU_DEP_2) | instskip(NEXT) | instid1(VALU_DEP_2)
	v_fma_f32 v113, v17, v113, v91
	v_fmac_f32_e32 v91, v17, v119
	v_and_b32_e32 v119, 0xf0f0f0f, v115
	v_cvt_f32_f16_e32 v17, v96
	v_lshrrev_b32_e32 v96, 16, v96
	v_lshrrev_b32_e32 v115, 4, v115
	v_and_b32_e32 v120, 0xf0f0f0f, v120
	v_dot4_i32_iu8 v119, v119, v139, 0 neg_lo:[1,1,0]
	v_mul_f32_e32 v17, v135, v17
	scratch_load_b64 v[139:140], off, off offset:632 ; 8-byte Folded Reload
	v_cvt_f32_f16_e32 v96, v96
	v_and_b32_e32 v115, 0xf0f0f0f, v115
	v_cvt_f32_i32_e32 v119, v119
	s_delay_alu instid0(VALU_DEP_3) | instskip(NEXT) | instid1(VALU_DEP_1)
	v_mul_f32_e32 v96, v136, v96
	v_mul_f32_e32 v96, 0x3e000000, v96
	s_delay_alu instid0(VALU_DEP_1) | instskip(SKIP_4) | instid1(VALU_DEP_2)
	v_fma_f32 v119, v17, v119, v96
	v_fma_f32 v16, v17, v16, v96
	s_waitcnt vmcnt(0)
	v_dot4_i32_iu8 v115, v115, v139, 0 neg_lo:[1,1,0]
	v_dot4_i32_iu8 v120, v120, v140, 0 neg_lo:[1,1,0]
	v_cvt_f32_i32_e32 v115, v115
	s_delay_alu instid0(VALU_DEP_2) | instskip(NEXT) | instid1(VALU_DEP_2)
	v_cvt_f32_i32_e32 v120, v120
	v_fma_f32 v115, v17, v115, v96
	s_delay_alu instid0(VALU_DEP_2) | instskip(NEXT) | instid1(VALU_DEP_1)
	v_dual_fmac_f32 v96, v17, v120 :: v_dual_add_f32 v17, 0, v106
	v_add_f32_e32 v17, v17, v99
	s_delay_alu instid0(VALU_DEP_1) | instskip(NEXT) | instid1(VALU_DEP_1)
	v_add_f32_e32 v17, v17, v98
	v_add_f32_e32 v17, v17, v19
	s_delay_alu instid0(VALU_DEP_1) | instskip(NEXT) | instid1(VALU_DEP_1)
	v_add_f32_e32 v17, v17, v107
	;; [unrolled: 3-line block ×14, first 2 shown]
	v_add_f32_e32 v16, v17, v16
	scratch_load_b32 v17, off, off offset:120 ; 4-byte Folded Reload
	v_add_f32_e32 v16, v16, v115
	s_delay_alu instid0(VALU_DEP_1)
	v_add_f32_e32 v16, v16, v96
	s_waitcnt vmcnt(0)
	ds_bpermute_b32 v17, v17, v16
	s_waitcnt lgkmcnt(0)
	v_add_f32_e32 v19, v16, v17
	s_cbranch_vccz .LBB23_17
; %bb.16:                               ;   in Loop: Header=BB23_15 Depth=1
	global_load_u16 v16, v[86:87], off offset:-2
	scratch_load_b32 v17, off, off offset:552 ; 4-byte Folded Reload
	s_waitcnt vmcnt(0)
	v_fma_mix_f32 v19, v17, v16, v19 op_sel_hi:[0,1,0]
.LBB23_17:                              ;   in Loop: Header=BB23_15 Depth=1
	v_add_co_u32 v16, vcc_lo, v143, s7
	v_add_co_ci_u32_e32 v17, vcc_lo, 0, v142, vcc_lo
	s_clause 0x7
	global_load_b32 v20, v[16:17], off
	global_load_b32 v21, v[16:17], off offset:20
	global_load_b32 v22, v[16:17], off offset:40
	;; [unrolled: 1-line block ×7, first 2 shown]
	s_clause 0x1
	scratch_load_b32 v16, off, off
	scratch_load_b32 v17, off, off offset:4
	s_waitcnt vmcnt(9)
	v_cvt_f32_f16_e32 v98, v20
	v_lshrrev_b32_e32 v20, 16, v20
	s_delay_alu instid0(VALU_DEP_2) | instskip(NEXT) | instid1(VALU_DEP_2)
	v_mul_f32_e32 v98, v129, v98
	v_cvt_f32_f16_e32 v20, v20
	s_waitcnt vmcnt(1)
	v_add_co_u32 v16, vcc_lo, v16, s7
	s_waitcnt vmcnt(0)
	v_add_co_ci_u32_e32 v17, vcc_lo, 0, v17, vcc_lo
	s_clause 0x7
	global_load_b32 v99, v[16:17], off offset:4
	global_load_b32 v100, v[16:17], off offset:12
	;; [unrolled: 1-line block ×8, first 2 shown]
	scratch_load_b64 v[114:115], off, off offset:40 ; 8-byte Folded Reload
	s_and_not1_b32 vcc_lo, exec_lo, s81
	v_mul_f32_e32 v20, v130, v20
	s_delay_alu instid0(VALU_DEP_1)
	v_mul_f32_e32 v20, 0x3e000000, v20
	s_waitcnt vmcnt(8)
	v_and_b32_e32 v107, 0xf0f0f0f, v99
	v_lshrrev_b32_e32 v99, 4, v99
	s_waitcnt vmcnt(7)
	v_lshrrev_b32_e32 v108, 4, v100
	s_waitcnt vmcnt(5)
	v_lshrrev_b32_e32 v109, 4, v102
	v_and_b32_e32 v100, 0xf0f0f0f, v100
	v_dot4_i32_iu8 v107, v107, v121, 0 neg_lo:[1,1,0]
	v_and_b32_e32 v99, 0xf0f0f0f, v99
	v_and_b32_e32 v102, 0xf0f0f0f, v102
	;; [unrolled: 1-line block ×3, first 2 shown]
	v_dot4_i32_iu8 v100, v100, v122, 0 neg_lo:[1,1,0]
	v_cvt_f32_i32_e32 v107, v107
	v_dot4_i32_iu8 v99, v99, v123, 0 neg_lo:[1,1,0]
	v_dot4_i32_iu8 v102, v102, v126, 0 neg_lo:[1,1,0]
	v_dot4_i32_iu8 v109, v109, v128, 0 neg_lo:[1,1,0]
	v_cvt_f32_i32_e32 v100, v100
	v_fma_f32 v107, v98, v107, v20
	v_cvt_f32_i32_e32 v99, v99
	v_cvt_f32_i32_e32 v102, v102
	;; [unrolled: 1-line block ×3, first 2 shown]
	v_and_b32_e32 v108, 0xf0f0f0f, v108
	v_fma_f32 v100, v98, v100, v20
	v_fma_f32 v99, v98, v99, v20
	s_waitcnt vmcnt(3)
	v_lshrrev_b32_e32 v110, 4, v104
	v_and_b32_e32 v104, 0xf0f0f0f, v104
	v_dot4_i32_iu8 v108, v108, v124, 0 neg_lo:[1,1,0]
	s_delay_alu instid0(VALU_DEP_3) | instskip(SKIP_1) | instid1(VALU_DEP_3)
	v_and_b32_e32 v110, 0xf0f0f0f, v110
	s_waitcnt vmcnt(0)
	v_dot4_i32_iu8 v104, v104, v115, 0 neg_lo:[1,1,0]
	s_delay_alu instid0(VALU_DEP_3)
	v_cvt_f32_i32_e32 v108, v108
	scratch_load_b64 v[115:116], off, off offset:56 ; 8-byte Folded Reload
	v_cvt_f32_i32_e32 v104, v104
	v_fmac_f32_e32 v20, v98, v108
	v_cvt_f32_f16_e32 v98, v21
	v_lshrrev_b32_e32 v21, 16, v21
	v_and_b32_e32 v108, 0xf0f0f0f, v101
	v_lshrrev_b32_e32 v101, 4, v101
	s_delay_alu instid0(VALU_DEP_4) | instskip(NEXT) | instid1(VALU_DEP_4)
	v_mul_f32_e32 v98, v131, v98
	v_cvt_f32_f16_e32 v21, v21
	s_delay_alu instid0(VALU_DEP_4) | instskip(NEXT) | instid1(VALU_DEP_4)
	v_dot4_i32_iu8 v108, v108, v125, 0 neg_lo:[1,1,0]
	v_and_b32_e32 v101, 0xf0f0f0f, v101
	s_delay_alu instid0(VALU_DEP_3) | instskip(NEXT) | instid1(VALU_DEP_3)
	v_mul_f32_e32 v21, v132, v21
	v_cvt_f32_i32_e32 v108, v108
	s_delay_alu instid0(VALU_DEP_3) | instskip(NEXT) | instid1(VALU_DEP_3)
	v_dot4_i32_iu8 v101, v101, v127, 0 neg_lo:[1,1,0]
	v_mul_f32_e32 v21, 0x3e000000, v21
	s_delay_alu instid0(VALU_DEP_2) | instskip(NEXT) | instid1(VALU_DEP_2)
	v_cvt_f32_i32_e32 v101, v101
	v_fma_f32 v108, v98, v108, v21
	v_fma_f32 v102, v98, v102, v21
	s_delay_alu instid0(VALU_DEP_3)
	v_fma_f32 v101, v98, v101, v21
	v_fmac_f32_e32 v21, v98, v109
	v_cvt_f32_f16_e32 v98, v22
	v_and_b32_e32 v109, 0xf0f0f0f, v103
	v_lshrrev_b32_e32 v22, 16, v22
	v_lshrrev_b32_e32 v103, 4, v103
	s_delay_alu instid0(VALU_DEP_3)
	v_dot4_i32_iu8 v109, v109, v114, 0 neg_lo:[1,1,0]
	scratch_load_b128 v[111:114], off, off offset:8 ; 16-byte Folded Reload
	v_cvt_f32_f16_e32 v22, v22
	v_and_b32_e32 v103, 0xf0f0f0f, v103
	v_cvt_f32_i32_e32 v109, v109
	s_waitcnt vmcnt(0)
	s_delay_alu instid0(VALU_DEP_3) | instskip(SKIP_3) | instid1(VALU_DEP_1)
	v_mul_f32_e32 v22, v112, v22
	v_mul_f32_e32 v98, v111, v98
	scratch_load_b64 v[111:112], off, off offset:48 ; 8-byte Folded Reload
	v_mul_f32_e32 v22, 0x3e000000, v22
	v_fma_f32 v109, v98, v109, v22
	v_fma_f32 v104, v98, v104, v22
	s_waitcnt vmcnt(0)
	v_dot4_i32_iu8 v103, v103, v111, 0 neg_lo:[1,1,0]
	v_dot4_i32_iu8 v110, v110, v112, 0 neg_lo:[1,1,0]
	v_lshrrev_b32_e32 v111, 4, v106
	v_and_b32_e32 v106, 0xf0f0f0f, v106
	s_delay_alu instid0(VALU_DEP_4) | instskip(NEXT) | instid1(VALU_DEP_4)
	v_cvt_f32_i32_e32 v103, v103
	v_cvt_f32_i32_e32 v110, v110
	s_delay_alu instid0(VALU_DEP_3) | instskip(NEXT) | instid1(VALU_DEP_3)
	v_dot4_i32_iu8 v106, v106, v116, 0 neg_lo:[1,1,0]
	v_fma_f32 v103, v98, v103, v22
	s_delay_alu instid0(VALU_DEP_3)
	v_fmac_f32_e32 v22, v98, v110
	v_cvt_f32_f16_e32 v98, v23
	v_and_b32_e32 v111, 0xf0f0f0f, v111
	v_lshrrev_b32_e32 v23, 16, v23
	v_and_b32_e32 v110, 0xf0f0f0f, v105
	v_lshrrev_b32_e32 v105, 4, v105
	v_mul_f32_e32 v98, v113, v98
	scratch_load_b64 v[112:113], off, off offset:64 ; 8-byte Folded Reload
	v_cvt_f32_f16_e32 v23, v23
	v_dot4_i32_iu8 v110, v110, v115, 0 neg_lo:[1,1,0]
	v_and_b32_e32 v105, 0xf0f0f0f, v105
	v_cvt_f32_i32_e32 v106, v106
	s_delay_alu instid0(VALU_DEP_4) | instskip(NEXT) | instid1(VALU_DEP_4)
	v_mul_f32_e32 v23, v114, v23
	v_cvt_f32_i32_e32 v110, v110
	s_delay_alu instid0(VALU_DEP_2) | instskip(NEXT) | instid1(VALU_DEP_1)
	v_mul_f32_e32 v23, 0x3e000000, v23
	v_fma_f32 v110, v98, v110, v23
	v_fma_f32 v106, v98, v106, v23
	s_waitcnt vmcnt(0)
	v_dot4_i32_iu8 v105, v105, v112, 0 neg_lo:[1,1,0]
	v_dot4_i32_iu8 v111, v111, v113, 0 neg_lo:[1,1,0]
	s_delay_alu instid0(VALU_DEP_2) | instskip(NEXT) | instid1(VALU_DEP_2)
	v_cvt_f32_i32_e32 v105, v105
	v_cvt_f32_i32_e32 v111, v111
	s_delay_alu instid0(VALU_DEP_2) | instskip(NEXT) | instid1(VALU_DEP_2)
	v_fma_f32 v105, v98, v105, v23
	v_fmac_f32_e32 v23, v98, v111
	s_clause 0x7
	global_load_b32 v98, v[16:17], off offset:84
	global_load_b32 v111, v[16:17], off offset:92
	;; [unrolled: 1-line block ×8, first 2 shown]
	scratch_load_b64 v[122:123], off, off offset:72 ; 8-byte Folded Reload
	v_cvt_f32_f16_e32 v17, v90
	v_lshrrev_b32_e32 v90, 16, v90
	s_delay_alu instid0(VALU_DEP_1)
	v_cvt_f32_f16_e32 v90, v90
	s_waitcnt vmcnt(8)
	v_and_b32_e32 v117, 0xf0f0f0f, v98
	s_waitcnt vmcnt(7)
	v_lshrrev_b32_e32 v118, 4, v111
	v_lshrrev_b32_e32 v98, 4, v98
	s_delay_alu instid0(VALU_DEP_2) | instskip(NEXT) | instid1(VALU_DEP_2)
	v_and_b32_e32 v118, 0xf0f0f0f, v118
	v_and_b32_e32 v98, 0xf0f0f0f, v98
	s_waitcnt vmcnt(0)
	v_dot4_i32_iu8 v117, v117, v122, 0 neg_lo:[1,1,0]
	scratch_load_b128 v[119:122], off, off offset:24 ; 16-byte Folded Reload
	v_and_b32_e32 v111, 0xf0f0f0f, v111
	v_cvt_f32_i32_e32 v117, v117
	s_delay_alu instid0(VALU_DEP_2)
	v_dot4_i32_iu8 v111, v111, v123, 0 neg_lo:[1,1,0]
	scratch_load_b64 v[123:124], off, off offset:88 ; 8-byte Folded Reload
	v_cvt_f32_i32_e32 v111, v111
	s_waitcnt vmcnt(1)
	v_dual_mul_f32 v90, v120, v90 :: v_dual_mul_f32 v17, v119, v17
	scratch_load_b64 v[119:120], off, off offset:80 ; 8-byte Folded Reload
	v_mul_f32_e32 v90, 0x3e000000, v90
	s_delay_alu instid0(VALU_DEP_1)
	v_fma_f32 v117, v17, v117, v90
	v_fma_f32 v111, v17, v111, v90
	s_waitcnt vmcnt(0)
	v_dot4_i32_iu8 v98, v98, v119, 0 neg_lo:[1,1,0]
	v_dot4_i32_iu8 v118, v118, v120, 0 neg_lo:[1,1,0]
	v_lshrrev_b32_e32 v119, 4, v113
	v_and_b32_e32 v113, 0xf0f0f0f, v113
	s_delay_alu instid0(VALU_DEP_4) | instskip(NEXT) | instid1(VALU_DEP_4)
	v_cvt_f32_i32_e32 v98, v98
	v_cvt_f32_i32_e32 v118, v118
	s_delay_alu instid0(VALU_DEP_3) | instskip(NEXT) | instid1(VALU_DEP_3)
	v_dot4_i32_iu8 v113, v113, v124, 0 neg_lo:[1,1,0]
	v_fma_f32 v98, v17, v98, v90
	s_delay_alu instid0(VALU_DEP_3)
	v_fmac_f32_e32 v90, v17, v118
	v_cvt_f32_f16_e32 v17, v91
	v_and_b32_e32 v118, 0xf0f0f0f, v112
	v_lshrrev_b32_e32 v112, 4, v112
	v_lshrrev_b32_e32 v91, 16, v91
	v_cvt_f32_i32_e32 v113, v113
	v_mul_f32_e32 v17, v121, v17
	scratch_load_b64 v[120:121], off, off offset:96 ; 8-byte Folded Reload
	v_and_b32_e32 v112, 0xf0f0f0f, v112
	v_cvt_f32_f16_e32 v91, v91
	v_dot4_i32_iu8 v118, v118, v123, 0 neg_lo:[1,1,0]
	s_delay_alu instid0(VALU_DEP_2) | instskip(NEXT) | instid1(VALU_DEP_2)
	v_mul_f32_e32 v91, v122, v91
	v_cvt_f32_i32_e32 v118, v118
	s_delay_alu instid0(VALU_DEP_2) | instskip(NEXT) | instid1(VALU_DEP_1)
	v_mul_f32_e32 v91, 0x3e000000, v91
	v_fma_f32 v118, v17, v118, v91
	v_fma_f32 v113, v17, v113, v91
	s_waitcnt vmcnt(0)
	v_dot4_i32_iu8 v112, v112, v120, 0 neg_lo:[1,1,0]
	v_lshrrev_b32_e32 v120, 4, v115
	v_and_b32_e32 v115, 0xf0f0f0f, v115
	s_delay_alu instid0(VALU_DEP_3) | instskip(NEXT) | instid1(VALU_DEP_3)
	v_cvt_f32_i32_e32 v112, v112
	v_and_b32_e32 v120, 0xf0f0f0f, v120
	s_delay_alu instid0(VALU_DEP_2) | instskip(NEXT) | instid1(VALU_DEP_2)
	v_fma_f32 v112, v17, v112, v91
	v_dot4_i32_iu8 v120, v120, v138, 0 neg_lo:[1,1,0]
	s_delay_alu instid0(VALU_DEP_1) | instskip(SKIP_1) | instid1(VALU_DEP_1)
	v_cvt_f32_i32_e32 v120, v120
	v_and_b32_e32 v119, 0xf0f0f0f, v119
	v_dot4_i32_iu8 v119, v119, v121, 0 neg_lo:[1,1,0]
	scratch_load_b64 v[121:122], off, off offset:104 ; 8-byte Folded Reload
	v_cvt_f32_i32_e32 v119, v119
	s_delay_alu instid0(VALU_DEP_1) | instskip(SKIP_4) | instid1(VALU_DEP_4)
	v_fmac_f32_e32 v91, v17, v119
	v_cvt_f32_f16_e32 v17, v96
	v_lshrrev_b32_e32 v96, 16, v96
	v_and_b32_e32 v119, 0xf0f0f0f, v114
	v_lshrrev_b32_e32 v114, 4, v114
	v_mul_f32_e32 v17, v133, v17
	s_delay_alu instid0(VALU_DEP_4) | instskip(NEXT) | instid1(VALU_DEP_3)
	v_cvt_f32_f16_e32 v96, v96
	v_and_b32_e32 v114, 0xf0f0f0f, v114
	s_delay_alu instid0(VALU_DEP_2) | instskip(NEXT) | instid1(VALU_DEP_2)
	v_mul_f32_e32 v96, v134, v96
	v_dot4_i32_iu8 v114, v114, v137, 0 neg_lo:[1,1,0]
	s_delay_alu instid0(VALU_DEP_2) | instskip(NEXT) | instid1(VALU_DEP_2)
	v_mul_f32_e32 v96, 0x3e000000, v96
	v_cvt_f32_i32_e32 v114, v114
	s_delay_alu instid0(VALU_DEP_1)
	v_fma_f32 v114, v17, v114, v96
	s_waitcnt vmcnt(0)
	v_dot4_i32_iu8 v115, v115, v122, 0 neg_lo:[1,1,0]
	scratch_load_b64 v[122:123], off, off offset:112 ; 8-byte Folded Reload
	v_dot4_i32_iu8 v119, v119, v121, 0 neg_lo:[1,1,0]
	v_lshrrev_b32_e32 v121, 4, v16
	v_and_b32_e32 v16, 0xf0f0f0f, v16
	v_cvt_f32_i32_e32 v115, v115
	s_delay_alu instid0(VALU_DEP_4) | instskip(NEXT) | instid1(VALU_DEP_4)
	v_cvt_f32_i32_e32 v119, v119
	v_and_b32_e32 v121, 0xf0f0f0f, v121
	s_delay_alu instid0(VALU_DEP_3) | instskip(NEXT) | instid1(VALU_DEP_3)
	v_fma_f32 v115, v17, v115, v96
	v_fma_f32 v119, v17, v119, v96
	v_fmac_f32_e32 v96, v17, v120
	v_cvt_f32_f16_e32 v17, v97
	v_lshrrev_b32_e32 v97, 16, v97
	v_and_b32_e32 v120, 0xf0f0f0f, v116
	v_lshrrev_b32_e32 v116, 4, v116
	v_dot4_i32_iu8 v121, v121, v140, 0 neg_lo:[1,1,0]
	v_mul_f32_e32 v17, v135, v17
	v_cvt_f32_f16_e32 v97, v97
	s_delay_alu instid0(VALU_DEP_4) | instskip(NEXT) | instid1(VALU_DEP_4)
	v_and_b32_e32 v116, 0xf0f0f0f, v116
	v_cvt_f32_i32_e32 v121, v121
	s_delay_alu instid0(VALU_DEP_3) | instskip(NEXT) | instid1(VALU_DEP_3)
	v_mul_f32_e32 v97, v136, v97
	v_dot4_i32_iu8 v116, v116, v139, 0 neg_lo:[1,1,0]
	s_delay_alu instid0(VALU_DEP_2) | instskip(NEXT) | instid1(VALU_DEP_2)
	v_mul_f32_e32 v97, 0x3e000000, v97
	v_cvt_f32_i32_e32 v116, v116
	s_delay_alu instid0(VALU_DEP_1) | instskip(SKIP_3) | instid1(VALU_DEP_2)
	v_fma_f32 v116, v17, v116, v97
	s_waitcnt vmcnt(0)
	v_dot4_i32_iu8 v120, v120, v122, 0 neg_lo:[1,1,0]
	v_dot4_i32_iu8 v16, v16, v123, 0 neg_lo:[1,1,0]
	v_cvt_f32_i32_e32 v120, v120
	s_delay_alu instid0(VALU_DEP_2) | instskip(NEXT) | instid1(VALU_DEP_2)
	v_cvt_f32_i32_e32 v16, v16
	v_fma_f32 v120, v17, v120, v97
	s_delay_alu instid0(VALU_DEP_2) | instskip(SKIP_2) | instid1(VALU_DEP_1)
	v_fma_f32 v16, v17, v16, v97
	v_fmac_f32_e32 v97, v17, v121
	v_add_f32_e32 v17, 0, v107
	v_add_f32_e32 v17, v17, v100
	s_delay_alu instid0(VALU_DEP_1) | instskip(NEXT) | instid1(VALU_DEP_1)
	v_add_f32_e32 v17, v17, v99
	v_add_f32_e32 v17, v17, v20
	s_delay_alu instid0(VALU_DEP_1) | instskip(NEXT) | instid1(VALU_DEP_1)
	;; [unrolled: 3-line block ×14, first 2 shown]
	v_add_f32_e32 v17, v17, v120
	v_add_f32_e32 v16, v17, v16
	scratch_load_b32 v17, off, off offset:120 ; 4-byte Folded Reload
	s_clause 0x1
	scratch_store_b32 off, v143, off offset:328
	scratch_store_b32 off, v142, off offset:332
	v_add_f32_e32 v16, v16, v116
	s_delay_alu instid0(VALU_DEP_1)
	v_add_f32_e32 v16, v16, v97
	s_waitcnt vmcnt(0)
	ds_bpermute_b32 v17, v17, v16
	s_waitcnt lgkmcnt(0)
	v_add_f32_e32 v16, v16, v17
	s_cbranch_vccnz .LBB23_19
; %bb.18:                               ;   in Loop: Header=BB23_15 Depth=1
	global_load_u16 v17, v[86:87], off
	scratch_load_b32 v20, off, off offset:552 ; 4-byte Folded Reload
	s_waitcnt vmcnt(0)
	v_fma_mix_f32 v16, v20, v17, v16 op_sel_hi:[0,1,0]
.LBB23_19:                              ;   in Loop: Header=BB23_15 Depth=1
	s_clause 0x6
	scratch_load_b32 v151, off, off offset:300
	scratch_load_b32 v156, off, off offset:304
	;; [unrolled: 1-line block ×7, first 2 shown]
	s_add_i32 s74, s74, s90
	v_add_f32_e32 v90, 0x40051340, v16
	v_cndmask_b32_e64 v16, v16, v19, s3
	s_cmp_ge_i32 s74, s88
	v_mov_b32_e32 v148, v146
	scratch_load_b32 v133, off, off offset:656 ; 4-byte Folded Reload
	s_waitcnt vmcnt(5)
	v_add_co_u32 v20, vcc_lo, v136, s6
	s_waitcnt vmcnt(4)
	v_add_co_ci_u32_e32 v21, vcc_lo, 0, v137, vcc_lo
	global_load_b32 v17, v[20:21], off
	s_waitcnt vmcnt(2)
	v_add_co_u32 v20, vcc_lo, v140, s6
	v_add_co_ci_u32_e32 v21, vcc_lo, 0, v92, vcc_lo
	global_load_b32 v22, v[20:21], off
	v_add_co_u32 v20, vcc_lo, v151, s6
	v_add_co_ci_u32_e32 v21, vcc_lo, 0, v156, vcc_lo
	global_load_b32 v23, v[20:21], off
	;; [unrolled: 3-line block ×3, first 2 shown]
	v_add_f32_e32 v21, 0x40051340, v19
	s_delay_alu instid0(VALU_DEP_1)
	v_max3_f32 v21, v18, v21, v90
	scratch_load_b32 v90, off, off offset:640 ; 4-byte Folded Reload
	s_waitcnt vmcnt(4)
	v_ashrrev_i32_e32 v17, v89, v17
	s_waitcnt vmcnt(3)
	v_ashrrev_i32_e32 v22, v89, v22
	s_waitcnt vmcnt(0)
	ds_bpermute_b32 v90, v90, v21
	s_waitcnt lgkmcnt(0)
	v_max_f32_e32 v90, v90, v90
	s_delay_alu instid0(VALU_DEP_1)
	v_max_f32_e32 v21, v21, v90
	scratch_load_b32 v90, off, off offset:644 ; 4-byte Folded Reload
	s_waitcnt vmcnt(0)
	ds_bpermute_b32 v90, v90, v21
	s_waitcnt lgkmcnt(0)
	v_max_f32_e32 v90, v90, v90
	s_delay_alu instid0(VALU_DEP_1)
	v_max_f32_e32 v21, v21, v90
	scratch_load_b32 v90, off, off offset:648 ; 4-byte Folded Reload
	;; [unrolled: 7-line block ×3, first 2 shown]
	s_waitcnt vmcnt(0)
	ds_bpermute_b32 v90, v90, v21
	s_waitcnt lgkmcnt(0)
	v_max_f32_e32 v90, v90, v90
	s_delay_alu instid0(VALU_DEP_1) | instskip(NEXT) | instid1(VALU_DEP_1)
	v_max_f32_e32 v91, v21, v90
	v_sub_f32_e32 v18, v18, v91
	s_delay_alu instid0(VALU_DEP_1) | instskip(NEXT) | instid1(VALU_DEP_1)
	v_dual_sub_f32 v16, v16, v91 :: v_dual_mul_f32 v19, 0x3fb8aa3b, v18
	v_cmp_ngt_f32_e32 vcc_lo, 0xc2ce8ed0, v16
	s_delay_alu instid0(VALU_DEP_2) | instskip(SKIP_1) | instid1(VALU_DEP_2)
	v_fma_f32 v21, 0x3fb8aa3b, v18, -v19
	v_rndne_f32_e32 v90, v19
	v_fmac_f32_e32 v21, 0x32a5705f, v18
	s_delay_alu instid0(VALU_DEP_2) | instskip(SKIP_1) | instid1(VALU_DEP_2)
	v_sub_f32_e32 v19, v19, v90
	v_cvt_i32_f32_e32 v90, v90
	v_add_f32_e32 v19, v19, v21
	v_mul_f32_e32 v21, 0x3fb8aa3b, v16
	s_delay_alu instid0(VALU_DEP_2) | instskip(NEXT) | instid1(VALU_DEP_1)
	v_exp_f32_e32 v19, v19
	v_fma_f32 v96, 0x3fb8aa3b, v16, -v21
	v_rndne_f32_e32 v97, v21
	s_delay_alu instid0(VALU_DEP_1)
	v_dual_fmac_f32 v96, 0x32a5705f, v16 :: v_dual_sub_f32 v21, v21, v97
	s_waitcnt_depctr 0xfff
	v_ldexp_f32 v19, v19, v90
	v_cvt_i32_f32_e32 v90, v97
	v_dual_add_f32 v21, v21, v96 :: v_dual_and_b32 v96, 15, v17
	v_and_b32_e32 v97, 15, v22
	s_clause 0x1
	scratch_store_b32 off, v92, off offset:512
	scratch_store_b32 off, v91, off offset:508
	v_exp_f32_e32 v21, v21
	v_cvt_f16_u16_e32 v96, v96
	v_cvt_f16_u16_e32 v97, v97
	s_waitcnt_depctr 0xfff
	v_ldexp_f32 v21, v21, v90
	v_lshrrev_b32_e32 v90, 8, v17
	s_delay_alu instid0(VALU_DEP_1) | instskip(SKIP_1) | instid1(VALU_DEP_2)
	v_dual_cndmask_b32 v21, 0, v21 :: v_dual_and_b32 v90, 15, v90
	v_cmp_nlt_f32_e32 vcc_lo, 0x42b17218, v16
	v_cvt_f16_u16_e32 v90, v90
	s_delay_alu instid0(VALU_DEP_1) | instskip(SKIP_2) | instid1(VALU_DEP_3)
	v_pack_b32_f16 v96, v96, v90
	v_lshrrev_b32_e32 v90, 16, v17
	v_bfe_u32 v17, v17, 24, 4
	v_pk_fma_f16 v99, v23, v96, v23 op_sel:[0,0,1] op_sel_hi:[0,1,1]
	s_delay_alu instid0(VALU_DEP_3) | instskip(NEXT) | instid1(VALU_DEP_3)
	v_and_b32_e32 v90, 15, v90
	v_cvt_f16_u16_e32 v17, v17
	s_delay_alu instid0(VALU_DEP_2) | instskip(NEXT) | instid1(VALU_DEP_1)
	v_cvt_f16_u16_e32 v90, v90
	v_pack_b32_f16 v17, v90, v17
	v_lshrrev_b32_e32 v90, 8, v22
	s_delay_alu instid0(VALU_DEP_2) | instskip(NEXT) | instid1(VALU_DEP_2)
	v_pk_fma_f16 v98, v23, v17, v23 op_sel:[0,0,1] op_sel_hi:[0,1,1]
	v_and_b32_e32 v90, 15, v90
	s_delay_alu instid0(VALU_DEP_1) | instskip(NEXT) | instid1(VALU_DEP_1)
	v_cvt_f16_u16_e32 v90, v90
	v_pack_b32_f16 v97, v97, v90
	v_lshrrev_b32_e32 v90, 16, v22
	v_bfe_u32 v22, v22, 24, 4
	s_delay_alu instid0(VALU_DEP_3) | instskip(NEXT) | instid1(VALU_DEP_3)
	v_pk_fma_f16 v97, v20, v97, v20 op_sel:[0,0,1] op_sel_hi:[0,1,1]
	v_and_b32_e32 v90, 15, v90
	s_delay_alu instid0(VALU_DEP_3) | instskip(NEXT) | instid1(VALU_DEP_2)
	v_cvt_f16_u16_e32 v22, v22
	v_cvt_f16_u16_e32 v90, v90
	s_delay_alu instid0(VALU_DEP_1)
	v_pack_b32_f16 v22, v90, v22
	v_cndmask_b32_e32 v90, 0x7f800000, v21, vcc_lo
	scratch_load_b32 v21, off, off offset:556 ; 4-byte Folded Reload
	v_cmp_ngt_f32_e32 vcc_lo, 0xc2ce8ed0, v18
	v_pk_fma_f16 v96, v20, v22, v20 op_sel:[0,0,1] op_sel_hi:[0,1,1]
	v_cvt_f16_f32_e32 v16, v90
	s_waitcnt vmcnt(0)
	ds_store_b16 v21, v16
	v_cndmask_b32_e32 v16, 0, v19, vcc_lo
	v_cmp_nlt_f32_e32 vcc_lo, 0x42b17218, v18
	s_delay_alu instid0(VALU_DEP_2)
	v_cndmask_b32_e32 v91, 0x7f800000, v16, vcc_lo
	scratch_store_b32 off, v91, off offset:548 ; 4-byte Folded Spill
	ds_load_b128 v[16:19], v133
	ds_load_b128 v[20:23], v133 offset:16
	v_cvt_f16_f32_e32 v100, v91
	scratch_store_b32 off, v149, off offset:544 ; 4-byte Folded Spill
	scratch_load_b32 v145, off, off offset:136 ; 4-byte Folded Reload
	v_mov_b32_e32 v91, v82
	v_mov_b32_e32 v82, v10
	s_waitcnt lgkmcnt(1)
	v_pk_mul_f16 v99, v16, v99 op_sel_hi:[0,1]
	v_pk_mul_f16 v92, v16, v98 op_sel_hi:[0,1]
	s_delay_alu instid0(VALU_DEP_2) | instskip(SKIP_3) | instid1(VALU_DEP_1)
	v_pk_fma_f16 v99, v100, v144, v99 op_sel_hi:[0,1,1]
	scratch_load_b32 v144, off, off offset:132 ; 4-byte Folded Reload
	v_pk_fma_f16 v95, v100, v95, v92 op_sel_hi:[0,1,1]
	v_pk_mul_f16 v92, v16, v97 op_sel_hi:[0,1]
	v_pk_fma_f16 v94, v100, v94, v92 op_sel_hi:[0,1,1]
	v_pk_mul_f16 v92, v16, v96 op_sel_hi:[0,1]
	s_delay_alu instid0(VALU_DEP_1)
	v_pk_fma_f16 v96, v100, v93, v92 op_sel_hi:[0,1,1]
	s_waitcnt vmcnt(0)
	v_add_co_u32 v92, vcc_lo, v144, s6
	v_add_co_ci_u32_e32 v93, vcc_lo, 0, v145, vcc_lo
	global_load_b32 v97, v[92:93], off
	v_add_co_u32 v92, vcc_lo, v147, s6
	v_add_co_ci_u32_e32 v93, vcc_lo, 0, v148, vcc_lo
	global_load_b32 v98, v[92:93], off
	;; [unrolled: 3-line block ×3, first 2 shown]
	s_clause 0x1
	scratch_load_b32 v142, off, off offset:124
	scratch_load_b32 v143, off, off offset:128
	s_clause 0x1
	scratch_store_b32 off, v153, off offset:540
	scratch_store_b32 off, v154, off offset:536
	s_waitcnt vmcnt(3)
	v_ashrrev_i32_e32 v98, v89, v98
	s_delay_alu instid0(VALU_DEP_1)
	v_and_b32_e32 v126, 15, v98
	s_waitcnt vmcnt(2)
	v_ashrrev_i32_e32 v100, v89, v100
	s_waitcnt vmcnt(1)
	v_add_co_u32 v92, vcc_lo, v142, s6
	s_waitcnt vmcnt(0)
	v_add_co_ci_u32_e32 v93, vcc_lo, 0, v143, vcc_lo
	v_and_b32_e32 v127, 15, v100
	global_load_b32 v101, v[92:93], off
	v_add_co_u32 v92, vcc_lo, v153, s6
	v_add_co_ci_u32_e32 v93, vcc_lo, 0, v154, vcc_lo
	global_load_b32 v102, v[92:93], off
	scratch_load_b32 v146, off, off offset:140 ; 4-byte Folded Reload
	scratch_store_b32 off, v147, off offset:300 ; 4-byte Folded Spill
	scratch_load_b32 v147, off, off offset:144 ; 4-byte Folded Reload
	s_waitcnt vmcnt(2)
	v_ashrrev_i32_e32 v102, v89, v102
	s_waitcnt vmcnt(1)
	v_add_co_u32 v92, vcc_lo, v146, s6
	s_waitcnt vmcnt(0)
	v_add_co_ci_u32_e32 v93, vcc_lo, 0, v147, vcc_lo
	global_load_b32 v103, v[92:93], off
	s_clause 0x1
	scratch_load_b32 v149, off, off offset:148
	scratch_load_b32 v150, off, off offset:152
	v_and_b32_e32 v128, 15, v102
	s_delay_alu instid0(VALU_DEP_1)
	v_cvt_f16_u16_e64 v128, v128
	s_waitcnt vmcnt(1)
	v_add_co_u32 v92, vcc_lo, v149, s6
	s_waitcnt vmcnt(0)
	v_add_co_ci_u32_e32 v93, vcc_lo, 0, v150, vcc_lo
	global_load_b32 v104, v[92:93], off
	s_clause 0x1
	scratch_load_b32 v153, off, off offset:156
	scratch_load_b32 v154, off, off offset:160
	s_clause 0x1d
	scratch_store_b32 off, v186, off offset:516
	scratch_store_b32 off, v181, off offset:520
	;; [unrolled: 1-line block ×30, first 2 shown]
	s_waitcnt vmcnt(1)
	v_add_co_u32 v92, vcc_lo, v153, s6
	s_waitcnt vmcnt(0)
	v_add_co_ci_u32_e32 v93, vcc_lo, 0, v154, vcc_lo
	global_load_b32 v105, v[92:93], off
	v_add_co_u32 v92, vcc_lo, v176, s6
	v_add_co_ci_u32_e32 v93, vcc_lo, 0, v187, vcc_lo
	v_dual_mov_b32 v187, v179 :: v_dual_mov_b32 v176, v57
	v_mov_b32_e32 v57, v13
	global_load_b32 v106, v[92:93], off
	v_add_co_u32 v92, vcc_lo, v186, s6
	v_add_co_ci_u32_e32 v93, vcc_lo, 0, v155, vcc_lo
	v_cvt_f16_u16_e32 v126, v126
	global_load_b32 v107, v[92:93], off
	v_add_co_u32 v92, vcc_lo, v181, s6
	v_add_co_ci_u32_e32 v93, vcc_lo, 0, v182, vcc_lo
	v_dual_mov_b32 v182, v79 :: v_dual_mov_b32 v79, v6
	global_load_b32 v108, v[92:93], off
	v_add_co_u32 v92, vcc_lo, v187, s6
	v_add_co_ci_u32_e32 v93, vcc_lo, 0, v191, vcc_lo
	global_load_b32 v109, v[92:93], off
	v_add_co_u32 v92, vcc_lo, v88, s6
	v_add_co_ci_u32_e32 v93, vcc_lo, 0, v141, vcc_lo
	v_dual_mov_b32 v141, v56 :: v_dual_mov_b32 v88, v85
	v_mov_b32_e32 v85, v81
	v_mov_b32_e32 v81, v78
	global_load_b32 v110, v[92:93], off
	v_add_co_u32 v92, vcc_lo, v83, s6
	v_add_co_ci_u32_e32 v93, vcc_lo, 0, v80, vcc_lo
	v_dual_mov_b32 v80, v77 :: v_dual_mov_b32 v77, v76
	v_mov_b32_e32 v78, v72
	global_load_b32 v111, v[92:93], off
	v_add_co_u32 v92, vcc_lo, v141, s6
	v_add_co_ci_u32_e32 v93, vcc_lo, 0, v176, vcc_lo
	v_dual_mov_b32 v76, v185 :: v_dual_mov_b32 v185, v166
	;; [unrolled: 5-line block ×4, first 2 shown]
	v_mov_b32_e32 v12, v8
	global_load_b32 v114, v[92:93], off
	v_add_co_u32 v92, vcc_lo, v91, s6
	v_add_co_ci_u32_e32 v93, vcc_lo, 0, v88, vcc_lo
	v_cvt_f16_u16_e32 v127, v127
	v_mov_b32_e32 v9, v5
	v_mov_b32_e32 v5, v4
	global_load_b32 v115, v[92:93], off
	v_add_co_u32 v92, vcc_lo, v10, s6
	v_add_co_ci_u32_e32 v93, vcc_lo, 0, v11, vcc_lo
	v_mov_b32_e32 v83, v11
	global_load_b32 v116, v[92:93], off
	v_add_co_u32 v92, vcc_lo, v84, s6
	v_add_co_ci_u32_e32 v93, vcc_lo, 0, v85, vcc_lo
	global_load_b32 v117, v[92:93], off
	v_add_co_u32 v92, vcc_lo, v6, s6
	v_add_co_ci_u32_e32 v93, vcc_lo, 0, v7, vcc_lo
	v_mov_b32_e32 v7, v55
	v_dual_mov_b32 v55, v54 :: v_dual_mov_b32 v54, v48
	global_load_b32 v118, v[92:93], off
	v_add_co_u32 v92, vcc_lo, v80, s6
	v_add_co_ci_u32_e32 v93, vcc_lo, 0, v81, vcc_lo
	v_dual_mov_b32 v48, v47 :: v_dual_mov_b32 v47, v45
	global_load_b32 v119, v[92:93], off
	v_add_co_u32 v92, vcc_lo, v2, s6
	v_add_co_ci_u32_e32 v93, vcc_lo, 0, v3, vcc_lo
	v_mov_b32_e32 v2, v161
	v_mov_b32_e32 v3, v53
	;; [unrolled: 1-line block ×3, first 2 shown]
	global_load_b32 v120, v[92:93], off
	v_add_co_u32 v92, vcc_lo, v77, s6
	v_add_co_ci_u32_e32 v93, vcc_lo, 0, v78, vcc_lo
	v_mov_b32_e32 v159, v157
	global_load_b32 v121, v[92:93], off
	v_add_co_u32 v92, vcc_lo, v0, s6
	v_add_co_ci_u32_e32 v93, vcc_lo, 0, v1, vcc_lo
	v_dual_mov_b32 v1, v52 :: v_dual_mov_b32 v52, v51
	v_mov_b32_e32 v51, v165
	global_load_b32 v122, v[92:93], off
	v_add_co_u32 v92, vcc_lo, v75, s6
	v_add_co_ci_u32_e32 v93, vcc_lo, 0, v76, vcc_lo
	v_mov_b32_e32 v0, v155
	global_load_b32 v123, v[92:93], off
	v_add_co_u32 v92, vcc_lo, v177, s6
	v_add_co_ci_u32_e32 v93, vcc_lo, 0, v72, vcc_lo
	;; [unrolled: 4-line block ×3, first 2 shown]
	global_load_b32 v92, v[92:93], off
	v_ashrrev_i32_e32 v93, v89, v97
	s_delay_alu instid0(VALU_DEP_1) | instskip(SKIP_1) | instid1(VALU_DEP_2)
	v_lshrrev_b32_e32 v97, 8, v93
	v_and_b32_e32 v125, 15, v93
	v_and_b32_e32 v97, 15, v97
	s_delay_alu instid0(VALU_DEP_2) | instskip(NEXT) | instid1(VALU_DEP_2)
	v_cvt_f16_u16_e32 v125, v125
	v_cvt_f16_u16_e32 v97, v97
	s_delay_alu instid0(VALU_DEP_1) | instskip(SKIP_2) | instid1(VALU_DEP_3)
	v_pack_b32_f16 v97, v125, v97
	v_lshrrev_b32_e32 v125, 16, v93
	v_bfe_u32 v93, v93, 24, 4
	v_pk_fma_f16 v97, v101, v97, v101 op_sel:[0,0,1] op_sel_hi:[0,1,1]
	s_delay_alu instid0(VALU_DEP_3) | instskip(NEXT) | instid1(VALU_DEP_3)
	v_and_b32_e32 v125, 15, v125
	v_cvt_f16_u16_e32 v93, v93
	s_delay_alu instid0(VALU_DEP_3) | instskip(NEXT) | instid1(VALU_DEP_3)
	v_pk_fma_f16 v97, v16, v97, v99 op_sel:[1,0,0]
	v_cvt_f16_u16_e32 v125, v125
	s_delay_alu instid0(VALU_DEP_1) | instskip(SKIP_1) | instid1(VALU_DEP_2)
	v_pack_b32_f16 v93, v125, v93
	v_lshrrev_b32_e32 v125, 8, v98
	v_pk_fma_f16 v93, v101, v93, v101 op_sel:[0,0,1] op_sel_hi:[0,1,1]
	s_delay_alu instid0(VALU_DEP_2) | instskip(NEXT) | instid1(VALU_DEP_2)
	v_and_b32_e32 v125, 15, v125
	v_pk_fma_f16 v93, v16, v93, v95 op_sel:[1,0,0]
	s_delay_alu instid0(VALU_DEP_2) | instskip(NEXT) | instid1(VALU_DEP_1)
	v_cvt_f16_u16_e32 v125, v125
	v_pack_b32_f16 v125, v126, v125
	v_lshrrev_b32_e32 v126, 16, v98
	v_bfe_u32 v98, v98, 24, 4
	s_delay_alu instid0(VALU_DEP_3) | instskip(NEXT) | instid1(VALU_DEP_3)
	v_pk_fma_f16 v101, v103, v125, v103 op_sel:[0,0,1] op_sel_hi:[0,1,1]
	v_and_b32_e32 v126, 15, v126
	s_delay_alu instid0(VALU_DEP_3) | instskip(NEXT) | instid1(VALU_DEP_3)
	v_cvt_f16_u16_e32 v98, v98
	v_pk_fma_f16 v94, v16, v101, v94 op_sel:[1,0,0]
	s_delay_alu instid0(VALU_DEP_3) | instskip(NEXT) | instid1(VALU_DEP_1)
	v_cvt_f16_u16_e32 v126, v126
	v_pack_b32_f16 v98, v126, v98
	v_lshrrev_b32_e32 v126, 8, v100
	s_delay_alu instid0(VALU_DEP_2) | instskip(NEXT) | instid1(VALU_DEP_2)
	v_pk_fma_f16 v98, v103, v98, v103 op_sel:[0,0,1] op_sel_hi:[0,1,1]
	v_and_b32_e32 v126, 15, v126
	s_delay_alu instid0(VALU_DEP_2) | instskip(NEXT) | instid1(VALU_DEP_2)
	v_pk_fma_f16 v16, v16, v98, v96 op_sel:[1,0,0]
	v_cvt_f16_u16_e32 v126, v126
	s_delay_alu instid0(VALU_DEP_1) | instskip(SKIP_2) | instid1(VALU_DEP_3)
	v_pack_b32_f16 v126, v127, v126
	v_lshrrev_b32_e32 v127, 16, v100
	v_bfe_u32 v100, v100, 24, 4
	v_pk_fma_f16 v103, v104, v126, v104 op_sel:[0,0,1] op_sel_hi:[0,1,1]
	s_delay_alu instid0(VALU_DEP_3) | instskip(NEXT) | instid1(VALU_DEP_3)
	v_and_b32_e32 v127, 15, v127
	v_cvt_f16_u16_e32 v100, v100
	s_delay_alu instid0(VALU_DEP_3) | instskip(NEXT) | instid1(VALU_DEP_3)
	v_pk_fma_f16 v97, v17, v103, v97 op_sel_hi:[0,1,1]
	v_cvt_f16_u16_e32 v127, v127
	s_delay_alu instid0(VALU_DEP_1) | instskip(SKIP_1) | instid1(VALU_DEP_2)
	v_pack_b32_f16 v100, v127, v100
	v_lshrrev_b32_e32 v127, 8, v102
	v_pk_fma_f16 v100, v104, v100, v104 op_sel:[0,0,1] op_sel_hi:[0,1,1]
	s_delay_alu instid0(VALU_DEP_2) | instskip(NEXT) | instid1(VALU_DEP_2)
	v_and_b32_e32 v127, 15, v127
	v_pk_fma_f16 v93, v17, v100, v93 op_sel_hi:[0,1,1]
	s_delay_alu instid0(VALU_DEP_2) | instskip(NEXT) | instid1(VALU_DEP_1)
	v_cvt_f16_u16_e32 v127, v127
	v_pack_b32_f16 v127, v128, v127
	v_lshrrev_b32_e32 v128, 16, v102
	v_bfe_u32 v102, v102, 24, 4
	s_delay_alu instid0(VALU_DEP_2) | instskip(NEXT) | instid1(VALU_DEP_2)
	v_and_b32_e32 v128, 15, v128
	v_cvt_f16_u16_e32 v102, v102
	s_delay_alu instid0(VALU_DEP_2) | instskip(NEXT) | instid1(VALU_DEP_1)
	v_cvt_f16_u16_e64 v128, v128
	v_pack_b32_f16 v102, v128, v102
	s_waitcnt vmcnt(20)
	v_pk_fma_f16 v104, v105, v127, v105 op_sel:[0,0,1] op_sel_hi:[0,1,1]
	s_delay_alu instid0(VALU_DEP_2) | instskip(NEXT) | instid1(VALU_DEP_2)
	v_pk_fma_f16 v102, v105, v102, v105 op_sel:[0,0,1] op_sel_hi:[0,1,1]
	v_pk_fma_f16 v94, v17, v104, v94 op_sel_hi:[0,1,1]
	s_delay_alu instid0(VALU_DEP_2) | instskip(SKIP_2) | instid1(VALU_DEP_1)
	v_pk_fma_f16 v16, v17, v102, v16 op_sel_hi:[0,1,1]
	s_waitcnt vmcnt(19)
	v_ashrrev_i32_e32 v106, v89, v106
	v_lshrrev_b32_e32 v128, 8, v106
	v_and_b32_e32 v129, 15, v106
	s_delay_alu instid0(VALU_DEP_2) | instskip(NEXT) | instid1(VALU_DEP_2)
	v_and_b32_e32 v128, 15, v128
	v_cvt_f16_u16_e64 v129, v129
	s_delay_alu instid0(VALU_DEP_2) | instskip(SKIP_2) | instid1(VALU_DEP_2)
	v_cvt_f16_u16_e64 v128, v128
	s_waitcnt vmcnt(17)
	v_ashrrev_i32_e32 v108, v89, v108
	v_pack_b32_f16 v128, v129, v128
	v_lshrrev_b32_e32 v129, 16, v106
	v_bfe_u32 v106, v106, 24, 4
	s_delay_alu instid0(VALU_DEP_4) | instskip(NEXT) | instid1(VALU_DEP_4)
	v_and_b32_e32 v130, 15, v108
	v_pk_fma_f16 v105, v107, v128, v107 op_sel:[0,0,1] op_sel_hi:[0,1,1]
	s_delay_alu instid0(VALU_DEP_4) | instskip(NEXT) | instid1(VALU_DEP_4)
	v_and_b32_e32 v129, 15, v129
	v_cvt_f16_u16_e32 v106, v106
	s_delay_alu instid0(VALU_DEP_4) | instskip(NEXT) | instid1(VALU_DEP_4)
	v_cvt_f16_u16_e64 v130, v130
	v_pk_fma_f16 v97, v17, v105, v97 op_sel:[1,0,0]
	s_delay_alu instid0(VALU_DEP_4) | instskip(SKIP_2) | instid1(VALU_DEP_2)
	v_cvt_f16_u16_e64 v129, v129
	s_waitcnt vmcnt(15)
	v_ashrrev_i32_e32 v110, v89, v110
	v_pack_b32_f16 v106, v129, v106
	v_lshrrev_b32_e32 v129, 8, v108
	s_delay_alu instid0(VALU_DEP_3) | instskip(NEXT) | instid1(VALU_DEP_3)
	v_and_b32_e32 v131, 15, v110
	v_pk_fma_f16 v106, v107, v106, v107 op_sel:[0,0,1] op_sel_hi:[0,1,1]
	s_delay_alu instid0(VALU_DEP_3) | instskip(NEXT) | instid1(VALU_DEP_3)
	v_and_b32_e32 v129, 15, v129
	v_cvt_f16_u16_e64 v131, v131
	s_delay_alu instid0(VALU_DEP_3) | instskip(NEXT) | instid1(VALU_DEP_3)
	v_pk_fma_f16 v93, v17, v106, v93 op_sel:[1,0,0]
	v_cvt_f16_u16_e64 v129, v129
	s_waitcnt vmcnt(13)
	v_ashrrev_i32_e32 v112, v89, v112
	s_delay_alu instid0(VALU_DEP_2) | instskip(SKIP_1) | instid1(VALU_DEP_3)
	v_pack_b32_f16 v129, v130, v129
	v_lshrrev_b32_e32 v130, 16, v108
	v_and_b32_e32 v132, 15, v112
	v_bfe_u32 v108, v108, 24, 4
	s_delay_alu instid0(VALU_DEP_4) | instskip(NEXT) | instid1(VALU_DEP_4)
	v_pk_fma_f16 v107, v109, v129, v109 op_sel:[0,0,1] op_sel_hi:[0,1,1]
	v_and_b32_e32 v130, 15, v130
	s_delay_alu instid0(VALU_DEP_4) | instskip(NEXT) | instid1(VALU_DEP_4)
	v_cvt_f16_u16_e64 v132, v132
	v_cvt_f16_u16_e32 v108, v108
	s_delay_alu instid0(VALU_DEP_4) | instskip(NEXT) | instid1(VALU_DEP_4)
	v_pk_fma_f16 v94, v17, v107, v94 op_sel:[1,0,0]
	v_cvt_f16_u16_e64 v130, v130
	s_delay_alu instid0(VALU_DEP_1) | instskip(SKIP_1) | instid1(VALU_DEP_2)
	v_pack_b32_f16 v108, v130, v108
	v_lshrrev_b32_e32 v130, 8, v110
	v_pk_fma_f16 v108, v109, v108, v109 op_sel:[0,0,1] op_sel_hi:[0,1,1]
	s_delay_alu instid0(VALU_DEP_2) | instskip(NEXT) | instid1(VALU_DEP_2)
	v_and_b32_e32 v130, 15, v130
	v_pk_fma_f16 v16, v17, v108, v16 op_sel:[1,0,0]
	s_delay_alu instid0(VALU_DEP_2) | instskip(NEXT) | instid1(VALU_DEP_1)
	v_cvt_f16_u16_e64 v130, v130
	v_pack_b32_f16 v130, v131, v130
	v_lshrrev_b32_e32 v131, 16, v110
	v_bfe_u32 v110, v110, 24, 4
	s_delay_alu instid0(VALU_DEP_3) | instskip(NEXT) | instid1(VALU_DEP_3)
	v_pk_fma_f16 v95, v111, v130, v111 op_sel:[0,0,1] op_sel_hi:[0,1,1]
	v_and_b32_e32 v131, 15, v131
	s_delay_alu instid0(VALU_DEP_3) | instskip(NEXT) | instid1(VALU_DEP_3)
	v_cvt_f16_u16_e32 v110, v110
	v_pk_fma_f16 v17, v18, v95, v97 op_sel_hi:[0,1,1]
	s_delay_alu instid0(VALU_DEP_3) | instskip(SKIP_2) | instid1(VALU_DEP_2)
	v_cvt_f16_u16_e64 v131, v131
	s_waitcnt vmcnt(11)
	v_ashrrev_i32_e32 v95, v89, v114
	v_pack_b32_f16 v110, v131, v110
	s_delay_alu instid0(VALU_DEP_2) | instskip(SKIP_1) | instid1(VALU_DEP_3)
	v_and_b32_e32 v97, 15, v95
	v_lshrrev_b32_e32 v131, 8, v112
	v_pk_fma_f16 v96, v111, v110, v111 op_sel:[0,0,1] op_sel_hi:[0,1,1]
	s_delay_alu instid0(VALU_DEP_3) | instskip(NEXT) | instid1(VALU_DEP_3)
	v_cvt_f16_u16_e32 v97, v97
	v_and_b32_e32 v131, 15, v131
	s_delay_alu instid0(VALU_DEP_3) | instskip(SKIP_1) | instid1(VALU_DEP_3)
	v_pk_fma_f16 v93, v18, v96, v93 op_sel_hi:[0,1,1]
	v_lshrrev_b32_e32 v96, 8, v95
	v_cvt_f16_u16_e64 v131, v131
	s_delay_alu instid0(VALU_DEP_2) | instskip(NEXT) | instid1(VALU_DEP_2)
	v_and_b32_e32 v96, 15, v96
	v_pack_b32_f16 v131, v132, v131
	v_lshrrev_b32_e32 v132, 16, v112
	v_bfe_u32 v112, v112, 24, 4
	s_delay_alu instid0(VALU_DEP_4) | instskip(NEXT) | instid1(VALU_DEP_4)
	v_cvt_f16_u16_e32 v96, v96
	v_pk_fma_f16 v98, v113, v131, v113 op_sel:[0,0,1] op_sel_hi:[0,1,1]
	s_delay_alu instid0(VALU_DEP_4) | instskip(NEXT) | instid1(VALU_DEP_4)
	v_and_b32_e32 v132, 15, v132
	v_cvt_f16_u16_e32 v112, v112
	s_delay_alu instid0(VALU_DEP_4)
	v_pack_b32_f16 v96, v97, v96
	v_lshrrev_b32_e32 v97, 16, v95
	v_bfe_u32 v95, v95, 24, 4
	v_pk_fma_f16 v94, v18, v98, v94 op_sel_hi:[0,1,1]
	v_cvt_f16_u16_e64 v132, v132
	s_waitcnt vmcnt(10)
	v_pk_fma_f16 v96, v115, v96, v115 op_sel:[0,0,1] op_sel_hi:[0,1,1]
	v_and_b32_e32 v97, 15, v97
	v_cvt_f16_u16_e32 v95, v95
	v_pack_b32_f16 v112, v132, v112
	s_delay_alu instid0(VALU_DEP_4) | instskip(NEXT) | instid1(VALU_DEP_4)
	v_pk_fma_f16 v17, v18, v96, v17 op_sel:[1,0,0]
	v_cvt_f16_u16_e32 v97, v97
	s_waitcnt vmcnt(9)
	v_ashrrev_i32_e32 v96, v89, v116
	v_pk_fma_f16 v99, v113, v112, v113 op_sel:[0,0,1] op_sel_hi:[0,1,1]
	s_delay_alu instid0(VALU_DEP_3) | instskip(NEXT) | instid1(VALU_DEP_3)
	v_pack_b32_f16 v95, v97, v95
	v_lshrrev_b32_e32 v97, 8, v96
	v_and_b32_e32 v98, 15, v96
	s_delay_alu instid0(VALU_DEP_4) | instskip(NEXT) | instid1(VALU_DEP_4)
	v_pk_fma_f16 v16, v18, v99, v16 op_sel_hi:[0,1,1]
	v_pk_fma_f16 v95, v115, v95, v115 op_sel:[0,0,1] op_sel_hi:[0,1,1]
	s_delay_alu instid0(VALU_DEP_4) | instskip(NEXT) | instid1(VALU_DEP_4)
	v_and_b32_e32 v97, 15, v97
	v_cvt_f16_u16_e32 v98, v98
	s_delay_alu instid0(VALU_DEP_3) | instskip(NEXT) | instid1(VALU_DEP_3)
	v_pk_fma_f16 v93, v18, v95, v93 op_sel:[1,0,0]
	v_cvt_f16_u16_e32 v97, v97
	s_delay_alu instid0(VALU_DEP_1) | instskip(SKIP_3) | instid1(VALU_DEP_3)
	v_pack_b32_f16 v97, v98, v97
	v_lshrrev_b32_e32 v98, 16, v96
	v_bfe_u32 v96, v96, 24, 4
	s_waitcnt vmcnt(8)
	v_pk_fma_f16 v95, v117, v97, v117 op_sel:[0,0,1] op_sel_hi:[0,1,1]
	s_delay_alu instid0(VALU_DEP_3) | instskip(NEXT) | instid1(VALU_DEP_3)
	v_and_b32_e32 v98, 15, v98
	v_cvt_f16_u16_e32 v96, v96
	s_delay_alu instid0(VALU_DEP_3) | instskip(NEXT) | instid1(VALU_DEP_3)
	v_pk_fma_f16 v94, v18, v95, v94 op_sel:[1,0,0]
	v_cvt_f16_u16_e32 v98, v98
	s_delay_alu instid0(VALU_DEP_1) | instskip(SKIP_2) | instid1(VALU_DEP_2)
	v_pack_b32_f16 v96, v98, v96
	s_waitcnt vmcnt(7)
	v_ashrrev_i32_e32 v98, v89, v118
	v_pk_fma_f16 v96, v117, v96, v117 op_sel:[0,0,1] op_sel_hi:[0,1,1]
	s_delay_alu instid0(VALU_DEP_2) | instskip(SKIP_1) | instid1(VALU_DEP_3)
	v_lshrrev_b32_e32 v99, 8, v98
	v_and_b32_e32 v100, 15, v98
	v_pk_fma_f16 v16, v18, v96, v16 op_sel:[1,0,0]
	s_delay_alu instid0(VALU_DEP_3) | instskip(NEXT) | instid1(VALU_DEP_3)
	v_and_b32_e32 v99, 15, v99
	v_cvt_f16_u16_e32 v100, v100
	s_delay_alu instid0(VALU_DEP_2) | instskip(NEXT) | instid1(VALU_DEP_1)
	v_cvt_f16_u16_e32 v99, v99
	v_pack_b32_f16 v99, v100, v99
	v_lshrrev_b32_e32 v100, 16, v98
	v_bfe_u32 v98, v98, 24, 4
	s_waitcnt vmcnt(6)
	s_delay_alu instid0(VALU_DEP_3) | instskip(NEXT) | instid1(VALU_DEP_3)
	v_pk_fma_f16 v97, v119, v99, v119 op_sel:[0,0,1] op_sel_hi:[0,1,1]
	v_and_b32_e32 v100, 15, v100
	s_delay_alu instid0(VALU_DEP_3) | instskip(NEXT) | instid1(VALU_DEP_3)
	v_cvt_f16_u16_e32 v98, v98
	v_pk_fma_f16 v17, v19, v97, v17 op_sel_hi:[0,1,1]
	s_delay_alu instid0(VALU_DEP_3) | instskip(NEXT) | instid1(VALU_DEP_1)
	v_cvt_f16_u16_e32 v100, v100
	v_pack_b32_f16 v98, v100, v98
	s_delay_alu instid0(VALU_DEP_1) | instskip(NEXT) | instid1(VALU_DEP_1)
	v_pk_fma_f16 v98, v119, v98, v119 op_sel:[0,0,1] op_sel_hi:[0,1,1]
	v_pk_fma_f16 v18, v19, v98, v93 op_sel_hi:[0,1,1]
	s_waitcnt vmcnt(5)
	v_ashrrev_i32_e32 v93, v89, v120
	s_delay_alu instid0(VALU_DEP_1) | instskip(SKIP_1) | instid1(VALU_DEP_2)
	v_lshrrev_b32_e32 v95, 8, v93
	v_and_b32_e32 v96, 15, v93
	v_and_b32_e32 v95, 15, v95
	s_delay_alu instid0(VALU_DEP_2) | instskip(NEXT) | instid1(VALU_DEP_2)
	v_cvt_f16_u16_e32 v96, v96
	v_cvt_f16_u16_e32 v95, v95
	s_delay_alu instid0(VALU_DEP_1) | instskip(SKIP_3) | instid1(VALU_DEP_3)
	v_pack_b32_f16 v95, v96, v95
	v_lshrrev_b32_e32 v96, 16, v93
	v_bfe_u32 v93, v93, 24, 4
	s_waitcnt vmcnt(4)
	v_pk_fma_f16 v95, v121, v95, v121 op_sel:[0,0,1] op_sel_hi:[0,1,1]
	s_delay_alu instid0(VALU_DEP_3) | instskip(NEXT) | instid1(VALU_DEP_3)
	v_and_b32_e32 v96, 15, v96
	v_cvt_f16_u16_e32 v93, v93
	s_delay_alu instid0(VALU_DEP_3) | instskip(NEXT) | instid1(VALU_DEP_3)
	v_pk_fma_f16 v94, v19, v95, v94 op_sel_hi:[0,1,1]
	v_cvt_f16_u16_e32 v96, v96
	s_waitcnt vmcnt(3)
	v_ashrrev_i32_e32 v95, v89, v122
	s_delay_alu instid0(VALU_DEP_2) | instskip(NEXT) | instid1(VALU_DEP_2)
	v_pack_b32_f16 v93, v96, v93
	v_lshrrev_b32_e32 v96, 8, v95
	v_and_b32_e32 v97, 15, v95
	s_delay_alu instid0(VALU_DEP_3) | instskip(NEXT) | instid1(VALU_DEP_3)
	v_pk_fma_f16 v93, v121, v93, v121 op_sel:[0,0,1] op_sel_hi:[0,1,1]
	v_and_b32_e32 v96, 15, v96
	s_delay_alu instid0(VALU_DEP_3) | instskip(NEXT) | instid1(VALU_DEP_3)
	v_cvt_f16_u16_e32 v97, v97
	v_pk_fma_f16 v16, v19, v93, v16 op_sel_hi:[0,1,1]
	s_delay_alu instid0(VALU_DEP_3) | instskip(NEXT) | instid1(VALU_DEP_1)
	v_cvt_f16_u16_e32 v96, v96
	v_pack_b32_f16 v96, v97, v96
	v_lshrrev_b32_e32 v97, 16, v95
	v_bfe_u32 v95, v95, 24, 4
	s_waitcnt vmcnt(2)
	s_delay_alu instid0(VALU_DEP_3) | instskip(NEXT) | instid1(VALU_DEP_3)
	v_pk_fma_f16 v93, v123, v96, v123 op_sel:[0,0,1] op_sel_hi:[0,1,1]
	v_and_b32_e32 v97, 15, v97
	s_delay_alu instid0(VALU_DEP_3) | instskip(NEXT) | instid1(VALU_DEP_3)
	v_cvt_f16_u16_e32 v95, v95
	v_pk_fma_f16 v93, v19, v93, v17 op_sel:[1,0,0]
	s_delay_alu instid0(VALU_DEP_3) | instskip(NEXT) | instid1(VALU_DEP_1)
	v_cvt_f16_u16_e32 v97, v97
	v_pack_b32_f16 v95, v97, v95
	s_waitcnt vmcnt(1)
	v_ashrrev_i32_e32 v97, v89, v124
	s_delay_alu instid0(VALU_DEP_2) | instskip(NEXT) | instid1(VALU_DEP_2)
	v_pk_fma_f16 v95, v123, v95, v123 op_sel:[0,0,1] op_sel_hi:[0,1,1]
	v_lshrrev_b32_e32 v98, 8, v97
	v_and_b32_e32 v99, 15, v97
	s_delay_alu instid0(VALU_DEP_3) | instskip(NEXT) | instid1(VALU_DEP_3)
	v_pk_fma_f16 v18, v19, v95, v18 op_sel:[1,0,0]
	v_and_b32_e32 v98, 15, v98
	s_delay_alu instid0(VALU_DEP_3) | instskip(NEXT) | instid1(VALU_DEP_2)
	v_cvt_f16_u16_e32 v99, v99
	v_cvt_f16_u16_e32 v98, v98
	s_delay_alu instid0(VALU_DEP_1) | instskip(SKIP_3) | instid1(VALU_DEP_3)
	v_pack_b32_f16 v98, v99, v98
	v_lshrrev_b32_e32 v99, 16, v97
	v_bfe_u32 v97, v97, 24, 4
	s_waitcnt vmcnt(0)
	v_pk_fma_f16 v96, v92, v98, v92 op_sel:[0,0,1] op_sel_hi:[0,1,1]
	s_delay_alu instid0(VALU_DEP_3) | instskip(NEXT) | instid1(VALU_DEP_3)
	v_and_b32_e32 v99, 15, v99
	v_cvt_f16_u16_e32 v97, v97
	s_delay_alu instid0(VALU_DEP_3) | instskip(NEXT) | instid1(VALU_DEP_3)
	v_pk_fma_f16 v94, v19, v96, v94 op_sel:[1,0,0]
	v_cvt_f16_u16_e32 v99, v99
	s_delay_alu instid0(VALU_DEP_1) | instskip(NEXT) | instid1(VALU_DEP_1)
	v_pack_b32_f16 v97, v99, v97
	v_pk_fma_f16 v92, v92, v97, v92 op_sel:[0,0,1] op_sel_hi:[0,1,1]
	s_delay_alu instid0(VALU_DEP_1)
	v_pk_fma_f16 v19, v19, v92, v16 op_sel:[1,0,0]
	v_add_co_u32 v16, vcc_lo, v178, s6
	v_add_co_ci_u32_e32 v17, vcc_lo, 0, v57, vcc_lo
	v_mov_b32_e32 v178, v174
	global_load_b32 v92, v[16:17], off
	v_add_co_u32 v16, vcc_lo, v15, s6
	v_add_co_ci_u32_e32 v17, vcc_lo, 0, v177, vcc_lo
	global_load_b32 v95, v[16:17], off
	v_add_co_u32 v16, vcc_lo, v171, s6
	v_add_co_ci_u32_e32 v17, vcc_lo, 0, v175, vcc_lo
	v_mov_b32_e32 v175, v169
	v_mov_b32_e32 v171, v170
	global_load_b32 v96, v[16:17], off
	v_add_co_u32 v16, vcc_lo, v14, s6
	v_add_co_ci_u32_e32 v17, vcc_lo, 0, v178, vcc_lo
	global_load_b32 v97, v[16:17], off
	v_add_co_u32 v16, vcc_lo, v173, s6
	v_add_co_ci_u32_e32 v17, vcc_lo, 0, v12, vcc_lo
	v_mov_b32_e32 v173, v163
	global_load_b32 v98, v[16:17], off
	v_add_co_u32 v16, vcc_lo, v162, s6
	v_add_co_ci_u32_e32 v17, vcc_lo, 0, v167, vcc_lo
	v_mov_b32_e32 v162, v164
	v_mov_b32_e32 v167, v160
	global_load_b32 v99, v[16:17], off
	v_add_co_u32 v16, vcc_lo, v175, s6
	v_add_co_ci_u32_e32 v17, vcc_lo, 0, v171, vcc_lo
	global_load_b32 v100, v[16:17], off
	v_add_co_u32 v16, vcc_lo, v9, s6
	v_add_co_ci_u32_e32 v17, vcc_lo, 0, v173, vcc_lo
	;; [unrolled: 3-line block ×4, first 2 shown]
	global_load_b32 v103, v[16:17], off
	s_waitcnt vmcnt(9)
	v_ashrrev_i32_e32 v16, v89, v92
	s_delay_alu instid0(VALU_DEP_1) | instskip(SKIP_1) | instid1(VALU_DEP_2)
	v_lshrrev_b32_e32 v17, 8, v16
	v_and_b32_e32 v92, 15, v16
	v_and_b32_e32 v17, 15, v17
	s_delay_alu instid0(VALU_DEP_2) | instskip(NEXT) | instid1(VALU_DEP_2)
	v_cvt_f16_u16_e32 v92, v92
	v_cvt_f16_u16_e32 v17, v17
	s_waitcnt vmcnt(7)
	v_ashrrev_i32_e32 v96, v89, v96
	s_delay_alu instid0(VALU_DEP_2) | instskip(SKIP_2) | instid1(VALU_DEP_3)
	v_pack_b32_f16 v17, v92, v17
	v_lshrrev_b32_e32 v92, 16, v16
	v_bfe_u32 v16, v16, 24, 4
	v_pk_fma_f16 v17, v95, v17, v95 op_sel:[0,0,1] op_sel_hi:[0,1,1]
	s_delay_alu instid0(VALU_DEP_3) | instskip(NEXT) | instid1(VALU_DEP_3)
	v_and_b32_e32 v92, 15, v92
	v_cvt_f16_u16_e32 v16, v16
	s_delay_alu instid0(VALU_DEP_2) | instskip(NEXT) | instid1(VALU_DEP_1)
	v_cvt_f16_u16_e32 v92, v92
	v_pack_b32_f16 v16, v92, v16
	s_waitcnt lgkmcnt(0)
	v_pk_fma_f16 v92, v20, v17, v93 op_sel_hi:[0,1,1]
	s_waitcnt vmcnt(4)
	v_ashrrev_i32_e32 v99, v89, v99
	v_pk_fma_f16 v16, v95, v16, v95 op_sel:[0,0,1] op_sel_hi:[0,1,1]
	s_delay_alu instid0(VALU_DEP_1)
	v_pk_fma_f16 v18, v20, v16, v18 op_sel_hi:[0,1,1]
	v_add_co_u32 v16, vcc_lo, v5, s6
	v_add_co_ci_u32_e32 v17, vcc_lo, 0, v167, vcc_lo
	global_load_b32 v93, v[16:17], off
	v_add_co_u32 v16, vcc_lo, v1, s6
	v_add_co_ci_u32_e32 v17, vcc_lo, 0, v2, vcc_lo
	global_load_b32 v95, v[16:17], off
	v_add_co_u32 v16, vcc_lo, v50, s6
	v_add_co_ci_u32_e32 v17, vcc_lo, 0, v52, vcc_lo
	v_mov_b32_e32 v50, v49
	global_load_b32 v104, v[16:17], off
	v_lshrrev_b32_e32 v16, 8, v96
	v_and_b32_e32 v17, 15, v96
	s_delay_alu instid0(VALU_DEP_2) | instskip(NEXT) | instid1(VALU_DEP_2)
	v_and_b32_e32 v16, 15, v16
	v_cvt_f16_u16_e32 v17, v17
	s_delay_alu instid0(VALU_DEP_2) | instskip(NEXT) | instid1(VALU_DEP_1)
	v_cvt_f16_u16_e32 v16, v16
	v_pack_b32_f16 v105, v17, v16
	v_add_co_u32 v16, vcc_lo, v53, s6
	v_add_co_ci_u32_e32 v17, vcc_lo, 0, v54, vcc_lo
	global_load_b32 v106, v[16:17], off
	v_lshrrev_b32_e32 v16, 16, v96
	v_bfe_u32 v17, v96, 24, 4
	s_delay_alu instid0(VALU_DEP_2) | instskip(NEXT) | instid1(VALU_DEP_2)
	v_and_b32_e32 v16, 15, v16
	v_cvt_f16_u16_e32 v17, v17
	s_delay_alu instid0(VALU_DEP_2) | instskip(NEXT) | instid1(VALU_DEP_1)
	v_cvt_f16_u16_e32 v16, v16
	v_pack_b32_f16 v16, v16, v17
	v_pk_fma_f16 v17, v97, v105, v97 op_sel:[0,0,1] op_sel_hi:[0,1,1]
	s_delay_alu instid0(VALU_DEP_2) | instskip(SKIP_1) | instid1(VALU_DEP_3)
	v_pk_fma_f16 v96, v97, v16, v97 op_sel:[0,0,1] op_sel_hi:[0,1,1]
	v_add_co_u32 v16, vcc_lo, v48, s6
	v_pk_fma_f16 v94, v20, v17, v94 op_sel_hi:[0,1,1]
	v_add_co_ci_u32_e32 v17, vcc_lo, 0, v159, vcc_lo
	global_load_b32 v97, v[16:17], off
	v_ashrrev_i32_e32 v16, v89, v98
	s_delay_alu instid0(VALU_DEP_1) | instskip(SKIP_1) | instid1(VALU_DEP_2)
	v_lshrrev_b32_e32 v17, 8, v16
	v_and_b32_e32 v98, 15, v16
	v_and_b32_e32 v17, 15, v17
	s_delay_alu instid0(VALU_DEP_2) | instskip(NEXT) | instid1(VALU_DEP_2)
	v_cvt_f16_u16_e32 v98, v98
	v_cvt_f16_u16_e32 v17, v17
	s_delay_alu instid0(VALU_DEP_1) | instskip(SKIP_2) | instid1(VALU_DEP_2)
	v_pack_b32_f16 v98, v98, v17
	v_lshrrev_b32_e32 v17, 16, v16
	v_bfe_u32 v16, v16, 24, 4
	v_and_b32_e32 v17, 15, v17
	s_delay_alu instid0(VALU_DEP_2) | instskip(NEXT) | instid1(VALU_DEP_2)
	v_cvt_f16_u16_e32 v16, v16
	v_cvt_f16_u16_e32 v17, v17
	s_delay_alu instid0(VALU_DEP_1) | instskip(SKIP_2) | instid1(VALU_DEP_2)
	v_pack_b32_f16 v105, v17, v16
	v_lshrrev_b32_e32 v16, 8, v99
	v_and_b32_e32 v17, 15, v99
	v_and_b32_e32 v16, 15, v16
	s_delay_alu instid0(VALU_DEP_2) | instskip(NEXT) | instid1(VALU_DEP_2)
	v_cvt_f16_u16_e32 v17, v17
	v_cvt_f16_u16_e32 v16, v16
	s_delay_alu instid0(VALU_DEP_1)
	v_pack_b32_f16 v107, v17, v16
	v_add_co_u32 v16, vcc_lo, v50, s6
	v_add_co_ci_u32_e32 v17, vcc_lo, 0, v51, vcc_lo
	global_load_b32 v108, v[16:17], off
	v_add_co_u32 v16, vcc_lo, v45, s6
	v_add_co_ci_u32_e32 v17, vcc_lo, 0, v46, vcc_lo
	v_mov_b32_e32 v45, v39
	global_load_b32 v109, v[16:17], off
	v_lshrrev_b32_e32 v16, 16, v99
	v_bfe_u32 v17, v99, 24, 4
	s_delay_alu instid0(VALU_DEP_2) | instskip(NEXT) | instid1(VALU_DEP_2)
	v_and_b32_e32 v16, 15, v16
	v_cvt_f16_u16_e32 v17, v17
	s_delay_alu instid0(VALU_DEP_2) | instskip(NEXT) | instid1(VALU_DEP_1)
	v_cvt_f16_u16_e32 v16, v16
	v_pack_b32_f16 v16, v16, v17
	v_pk_fma_f16 v17, v20, v96, v19 op_sel_hi:[0,1,1]
	s_waitcnt vmcnt(10)
	v_pk_fma_f16 v19, v100, v98, v100 op_sel:[0,0,1] op_sel_hi:[0,1,1]
	s_waitcnt vmcnt(9)
	v_pk_fma_f16 v98, v101, v107, v101 op_sel:[0,0,1] op_sel_hi:[0,1,1]
	v_pk_fma_f16 v96, v100, v105, v100 op_sel:[0,0,1] op_sel_hi:[0,1,1]
	;; [unrolled: 1-line block ×3, first 2 shown]
	v_pk_fma_f16 v19, v20, v19, v92 op_sel:[1,0,0]
	s_delay_alu instid0(VALU_DEP_4)
	v_pk_fma_f16 v92, v20, v98, v94 op_sel:[1,0,0]
	s_waitcnt vmcnt(8)
	v_ashrrev_i32_e32 v94, v89, v102
	v_pk_fma_f16 v18, v20, v96, v18 op_sel:[1,0,0]
	v_pk_fma_f16 v20, v20, v16, v17 op_sel:[1,0,0]
	s_waitcnt vmcnt(7)
	v_ashrrev_i32_e32 v102, v89, v103
	v_lshrrev_b32_e32 v16, 8, v94
	v_and_b32_e32 v17, 15, v94
	s_delay_alu instid0(VALU_DEP_2) | instskip(NEXT) | instid1(VALU_DEP_2)
	v_and_b32_e32 v16, 15, v16
	v_cvt_f16_u16_e32 v17, v17
	s_delay_alu instid0(VALU_DEP_2) | instskip(NEXT) | instid1(VALU_DEP_1)
	v_cvt_f16_u16_e32 v16, v16
	v_pack_b32_f16 v96, v17, v16
	v_add_co_u32 v16, vcc_lo, v41, s6
	v_add_co_ci_u32_e32 v17, vcc_lo, 0, v42, vcc_lo
	global_load_b32 v98, v[16:17], off
	v_lshrrev_b32_e32 v16, 16, v94
	v_bfe_u32 v17, v94, 24, 4
	s_delay_alu instid0(VALU_DEP_2) | instskip(NEXT) | instid1(VALU_DEP_2)
	v_and_b32_e32 v16, 15, v16
	v_cvt_f16_u16_e32 v17, v17
	s_delay_alu instid0(VALU_DEP_2) | instskip(NEXT) | instid1(VALU_DEP_1)
	v_cvt_f16_u16_e32 v16, v16
	v_pack_b32_f16 v94, v16, v17
	v_add_co_u32 v16, vcc_lo, v28, s6
	v_add_co_ci_u32_e32 v17, vcc_lo, 0, v27, vcc_lo
	v_dual_mov_b32 v27, v65 :: v_dual_mov_b32 v28, v63
	v_mov_b32_e32 v63, v68
	global_load_b32 v99, v[16:17], off
	v_add_co_u32 v16, vcc_lo, v43, s6
	v_add_co_ci_u32_e32 v17, vcc_lo, 0, v44, vcc_lo
	v_mov_b32_e32 v65, v67
	v_mov_b32_e32 v67, v59
	;; [unrolled: 1-line block ×3, first 2 shown]
	global_load_b32 v100, v[16:17], off
	v_add_co_u32 v16, vcc_lo, v38, s6
	v_add_co_ci_u32_e32 v17, vcc_lo, 0, v39, vcc_lo
	v_mov_b32_e32 v39, v36
	v_mov_b32_e32 v251, v249
	;; [unrolled: 1-line block ×3, first 2 shown]
	global_load_b32 v101, v[16:17], off
	v_lshrrev_b32_e32 v16, 8, v102
	v_dual_mov_b32 v68, v58 :: v_dual_and_b32 v17, 15, v102
	v_mov_b32_e32 v58, v254
	v_mov_b32_e32 v254, v250
	s_delay_alu instid0(VALU_DEP_4) | instskip(NEXT) | instid1(VALU_DEP_4)
	v_and_b32_e32 v16, 15, v16
	v_cvt_f16_u16_e32 v17, v17
	v_mov_b32_e32 v250, v246
	v_mov_b32_e32 v246, v242
	;; [unrolled: 1-line block ×3, first 2 shown]
	v_cvt_f16_u16_e32 v16, v16
	v_mov_b32_e32 v241, v158
	s_delay_alu instid0(VALU_DEP_2)
	v_pack_b32_f16 v103, v17, v16
	v_add_co_u32 v16, vcc_lo, v24, s6
	v_add_co_ci_u32_e32 v17, vcc_lo, 0, v40, vcc_lo
	v_mov_b32_e32 v24, v70
	v_dual_mov_b32 v70, v243 :: v_dual_mov_b32 v243, v222
	global_load_b32 v105, v[16:17], off
	v_add_co_u32 v16, vcc_lo, v34, s6
	v_add_co_ci_u32_e32 v17, vcc_lo, 0, v35, vcc_lo
	v_mov_b32_e32 v222, v220
	v_dual_mov_b32 v220, v203 :: v_dual_mov_b32 v203, v196
	global_load_b32 v107, v[16:17], off
	v_lshrrev_b32_e32 v16, 16, v102
	v_bfe_u32 v17, v102, 24, 4
	v_mov_b32_e32 v196, v184
	s_delay_alu instid0(VALU_DEP_3) | instskip(NEXT) | instid1(VALU_DEP_3)
	v_and_b32_e32 v16, 15, v16
	v_cvt_f16_u16_e32 v17, v17
	s_delay_alu instid0(VALU_DEP_2) | instskip(NEXT) | instid1(VALU_DEP_1)
	v_cvt_f16_u16_e32 v16, v16
	v_pack_b32_f16 v16, v16, v17
	s_waitcnt vmcnt(12)
	v_pk_fma_f16 v17, v93, v96, v93 op_sel:[0,0,1] op_sel_hi:[0,1,1]
	v_pk_fma_f16 v93, v93, v94, v93 op_sel:[0,0,1] op_sel_hi:[0,1,1]
	s_delay_alu instid0(VALU_DEP_2) | instskip(NEXT) | instid1(VALU_DEP_2)
	v_pk_fma_f16 v19, v21, v17, v19 op_sel_hi:[0,1,1]
	v_pk_fma_f16 v18, v21, v93, v18 op_sel_hi:[0,1,1]
	s_waitcnt vmcnt(11)
	v_pk_fma_f16 v94, v95, v103, v95 op_sel:[0,0,1] op_sel_hi:[0,1,1]
	v_pk_fma_f16 v95, v95, v16, v95 op_sel:[0,0,1] op_sel_hi:[0,1,1]
	v_add_co_u32 v16, vcc_lo, v30, s6
	v_add_co_ci_u32_e32 v17, vcc_lo, 0, v31, vcc_lo
	s_delay_alu instid0(VALU_DEP_4) | instskip(NEXT) | instid1(VALU_DEP_4)
	v_pk_fma_f16 v92, v21, v94, v92 op_sel_hi:[0,1,1]
	v_pk_fma_f16 v20, v21, v95, v20 op_sel_hi:[0,1,1]
	global_load_b32 v96, v[16:17], off
	s_waitcnt vmcnt(11)
	v_ashrrev_i32_e32 v16, v89, v104
	s_delay_alu instid0(VALU_DEP_1) | instskip(SKIP_1) | instid1(VALU_DEP_2)
	v_lshrrev_b32_e32 v17, 8, v16
	v_and_b32_e32 v102, 15, v16
	v_and_b32_e32 v17, 15, v17
	s_delay_alu instid0(VALU_DEP_2) | instskip(NEXT) | instid1(VALU_DEP_2)
	v_cvt_f16_u16_e32 v102, v102
	v_cvt_f16_u16_e32 v17, v17
	s_delay_alu instid0(VALU_DEP_1) | instskip(SKIP_3) | instid1(VALU_DEP_3)
	v_pack_b32_f16 v17, v102, v17
	v_lshrrev_b32_e32 v102, 16, v16
	v_bfe_u32 v16, v16, 24, 4
	s_waitcnt vmcnt(10)
	v_pk_fma_f16 v93, v106, v17, v106 op_sel:[0,0,1] op_sel_hi:[0,1,1]
	s_delay_alu instid0(VALU_DEP_3) | instskip(NEXT) | instid1(VALU_DEP_3)
	v_and_b32_e32 v102, 15, v102
	v_cvt_f16_u16_e32 v16, v16
	s_delay_alu instid0(VALU_DEP_3) | instskip(NEXT) | instid1(VALU_DEP_3)
	v_pk_fma_f16 v19, v21, v93, v19 op_sel:[1,0,0]
	v_cvt_f16_u16_e32 v102, v102
	s_delay_alu instid0(VALU_DEP_1) | instskip(NEXT) | instid1(VALU_DEP_1)
	v_pack_b32_f16 v16, v102, v16
	v_pk_fma_f16 v94, v106, v16, v106 op_sel:[0,0,1] op_sel_hi:[0,1,1]
	v_add_co_u32 v16, vcc_lo, v36, s6
	v_add_co_ci_u32_e32 v17, vcc_lo, 0, v37, vcc_lo
	s_delay_alu instid0(VALU_DEP_3)
	v_pk_fma_f16 v18, v21, v94, v18 op_sel:[1,0,0]
	v_mov_b32_e32 v36, v29
	global_load_b32 v95, v[16:17], off
	v_add_co_u32 v16, vcc_lo, v32, s6
	v_add_co_ci_u32_e32 v17, vcc_lo, 0, v33, vcc_lo
	s_waitcnt vmcnt(10)
	v_ashrrev_i32_e32 v93, v89, v97
	global_load_b32 v102, v[16:17], off
	v_add_co_u32 v16, vcc_lo, v27, s6
	v_add_co_ci_u32_e32 v17, vcc_lo, 0, v28, vcc_lo
	global_load_b32 v103, v[16:17], off
	v_lshrrev_b32_e32 v16, 8, v93
	v_and_b32_e32 v17, 15, v93
	s_delay_alu instid0(VALU_DEP_2) | instskip(NEXT) | instid1(VALU_DEP_2)
	v_and_b32_e32 v16, 15, v16
	v_cvt_f16_u16_e32 v17, v17
	s_delay_alu instid0(VALU_DEP_2) | instskip(NEXT) | instid1(VALU_DEP_1)
	v_cvt_f16_u16_e32 v16, v16
	v_pack_b32_f16 v94, v17, v16
	v_add_co_u32 v16, vcc_lo, v26, s6
	v_add_co_ci_u32_e32 v17, vcc_lo, 0, v29, vcc_lo
	v_mov_b32_e32 v29, v64
	global_load_b32 v97, v[16:17], off
	v_add_co_u32 v16, vcc_lo, v61, s6
	v_add_co_ci_u32_e32 v17, vcc_lo, 0, v24, vcc_lo
	v_mov_b32_e32 v61, v69
	v_dual_mov_b32 v69, v66 :: v_dual_mov_b32 v66, v248
	global_load_b32 v104, v[16:17], off
	v_lshrrev_b32_e32 v16, 16, v93
	v_bfe_u32 v17, v93, 24, 4
	v_mov_b32_e32 v248, v244
	v_mov_b32_e32 v244, v228
	v_dual_mov_b32 v228, v217 :: v_dual_mov_b32 v217, v208
	v_and_b32_e32 v16, 15, v16
	v_cvt_f16_u16_e32 v17, v17
	v_mov_b32_e32 v208, v204
	v_mov_b32_e32 v204, v190
	s_delay_alu instid0(VALU_DEP_4) | instskip(NEXT) | instid1(VALU_DEP_1)
	v_cvt_f16_u16_e32 v16, v16
	v_pack_b32_f16 v16, v16, v17
	s_waitcnt vmcnt(13)
	v_pk_fma_f16 v17, v108, v94, v108 op_sel:[0,0,1] op_sel_hi:[0,1,1]
	s_delay_alu instid0(VALU_DEP_2) | instskip(SKIP_1) | instid1(VALU_DEP_3)
	v_pk_fma_f16 v93, v108, v16, v108 op_sel:[0,0,1] op_sel_hi:[0,1,1]
	v_add_co_u32 v16, vcc_lo, v63, s6
	v_pk_fma_f16 v92, v21, v17, v92 op_sel:[1,0,0]
	v_add_co_ci_u32_e32 v17, vcc_lo, 0, v65, vcc_lo
	s_waitcnt vmcnt(12)
	v_ashrrev_i32_e32 v106, v89, v109
	v_pk_fma_f16 v20, v21, v93, v20 op_sel:[1,0,0]
	global_load_b32 v94, v[16:17], off
	v_lshrrev_b32_e32 v16, 8, v106
	v_and_b32_e32 v17, 15, v106
	s_delay_alu instid0(VALU_DEP_2) | instskip(NEXT) | instid1(VALU_DEP_2)
	v_and_b32_e32 v16, 15, v16
	v_cvt_f16_u16_e32 v17, v17
	s_delay_alu instid0(VALU_DEP_2) | instskip(NEXT) | instid1(VALU_DEP_1)
	v_cvt_f16_u16_e32 v16, v16
	v_pack_b32_f16 v108, v17, v16
	v_add_co_u32 v16, vcc_lo, v64, s6
	v_add_co_ci_u32_e32 v17, vcc_lo, 0, v25, vcc_lo
	v_mov_b32_e32 v64, v219
	global_load_b32 v109, v[16:17], off
	v_add_co_u32 v16, vcc_lo, v61, s6
	v_add_co_ci_u32_e32 v17, vcc_lo, 0, v70, vcc_lo
	global_load_b32 v16, v[16:17], off
	v_lshrrev_b32_e32 v17, 16, v106
	v_bfe_u32 v106, v106, 24, 4
	s_delay_alu instid0(VALU_DEP_2) | instskip(NEXT) | instid1(VALU_DEP_2)
	v_and_b32_e32 v17, 15, v17
	v_cvt_f16_u16_e32 v106, v106
	s_delay_alu instid0(VALU_DEP_2) | instskip(SKIP_2) | instid1(VALU_DEP_2)
	v_cvt_f16_u16_e32 v17, v17
	s_waitcnt vmcnt(14)
	v_ashrrev_i32_e32 v98, v89, v98
	v_pack_b32_f16 v17, v17, v106
	s_delay_alu instid0(VALU_DEP_2) | instskip(SKIP_1) | instid1(VALU_DEP_2)
	v_lshrrev_b32_e32 v106, 8, v98
	v_and_b32_e32 v110, 15, v98
	v_and_b32_e32 v106, 15, v106
	s_delay_alu instid0(VALU_DEP_2) | instskip(NEXT) | instid1(VALU_DEP_2)
	v_cvt_f16_u16_e32 v110, v110
	v_cvt_f16_u16_e32 v106, v106
	s_delay_alu instid0(VALU_DEP_1)
	v_pack_b32_f16 v106, v110, v106
	v_lshrrev_b32_e32 v110, 16, v98
	v_bfe_u32 v98, v98, 24, 4
	s_waitcnt vmcnt(13)
	v_pk_fma_f16 v21, v99, v108, v99 op_sel:[0,0,1] op_sel_hi:[0,1,1]
	v_pk_fma_f16 v17, v99, v17, v99 op_sel:[0,0,1] op_sel_hi:[0,1,1]
	v_and_b32_e32 v110, 15, v110
	v_cvt_f16_u16_e32 v98, v98
	s_delay_alu instid0(VALU_DEP_4) | instskip(NEXT) | instid1(VALU_DEP_4)
	v_pk_fma_f16 v19, v22, v21, v19 op_sel_hi:[0,1,1]
	v_pk_fma_f16 v17, v22, v17, v18 op_sel_hi:[0,1,1]
	s_delay_alu instid0(VALU_DEP_4) | instskip(SKIP_2) | instid1(VALU_DEP_2)
	v_cvt_f16_u16_e32 v110, v110
	s_waitcnt vmcnt(12)
	v_pk_fma_f16 v93, v100, v106, v100 op_sel:[0,0,1] op_sel_hi:[0,1,1]
	v_pack_b32_f16 v98, v110, v98
	s_delay_alu instid0(VALU_DEP_2) | instskip(SKIP_2) | instid1(VALU_DEP_3)
	v_pk_fma_f16 v18, v22, v93, v92 op_sel_hi:[0,1,1]
	s_waitcnt vmcnt(11)
	v_ashrrev_i32_e32 v21, v89, v101
	v_pk_fma_f16 v98, v100, v98, v100 op_sel:[0,0,1] op_sel_hi:[0,1,1]
	s_delay_alu instid0(VALU_DEP_2) | instskip(SKIP_1) | instid1(VALU_DEP_3)
	v_lshrrev_b32_e32 v92, 8, v21
	v_and_b32_e32 v93, 15, v21
	v_pk_fma_f16 v20, v22, v98, v20 op_sel_hi:[0,1,1]
	s_delay_alu instid0(VALU_DEP_3) | instskip(NEXT) | instid1(VALU_DEP_3)
	v_and_b32_e32 v92, 15, v92
	v_cvt_f16_u16_e32 v93, v93
	s_delay_alu instid0(VALU_DEP_2) | instskip(NEXT) | instid1(VALU_DEP_1)
	v_cvt_f16_u16_e32 v92, v92
	v_pack_b32_f16 v92, v93, v92
	v_lshrrev_b32_e32 v93, 16, v21
	v_bfe_u32 v21, v21, 24, 4
	s_waitcnt vmcnt(10)
	s_delay_alu instid0(VALU_DEP_3) | instskip(NEXT) | instid1(VALU_DEP_3)
	v_pk_fma_f16 v92, v105, v92, v105 op_sel:[0,0,1] op_sel_hi:[0,1,1]
	v_and_b32_e32 v93, 15, v93
	s_delay_alu instid0(VALU_DEP_3) | instskip(NEXT) | instid1(VALU_DEP_3)
	v_cvt_f16_u16_e32 v21, v21
	v_pk_fma_f16 v19, v22, v92, v19 op_sel:[1,0,0]
	s_delay_alu instid0(VALU_DEP_3) | instskip(SKIP_2) | instid1(VALU_DEP_2)
	v_cvt_f16_u16_e32 v93, v93
	s_waitcnt vmcnt(9)
	v_ashrrev_i32_e32 v92, v89, v107
	v_pack_b32_f16 v21, v93, v21
	s_delay_alu instid0(VALU_DEP_2) | instskip(SKIP_1) | instid1(VALU_DEP_3)
	v_lshrrev_b32_e32 v93, 8, v92
	v_and_b32_e32 v98, 15, v92
	v_pk_fma_f16 v21, v105, v21, v105 op_sel:[0,0,1] op_sel_hi:[0,1,1]
	s_delay_alu instid0(VALU_DEP_3) | instskip(NEXT) | instid1(VALU_DEP_3)
	v_and_b32_e32 v93, 15, v93
	v_cvt_f16_u16_e32 v98, v98
	s_delay_alu instid0(VALU_DEP_3) | instskip(NEXT) | instid1(VALU_DEP_3)
	v_pk_fma_f16 v17, v22, v21, v17 op_sel:[1,0,0]
	v_cvt_f16_u16_e32 v93, v93
	s_delay_alu instid0(VALU_DEP_1) | instskip(SKIP_2) | instid1(VALU_DEP_2)
	v_pack_b32_f16 v93, v98, v93
	v_lshrrev_b32_e32 v98, 16, v92
	v_bfe_u32 v92, v92, 24, 4
	v_and_b32_e32 v98, 15, v98
	s_delay_alu instid0(VALU_DEP_2) | instskip(NEXT) | instid1(VALU_DEP_2)
	v_cvt_f16_u16_e32 v92, v92
	v_cvt_f16_u16_e32 v98, v98
	s_delay_alu instid0(VALU_DEP_1) | instskip(SKIP_2) | instid1(VALU_DEP_1)
	v_pack_b32_f16 v92, v98, v92
	s_waitcnt vmcnt(8)
	v_ashrrev_i32_e32 v96, v89, v96
	v_lshrrev_b32_e32 v98, 8, v96
	v_and_b32_e32 v99, 15, v96
	s_delay_alu instid0(VALU_DEP_2) | instskip(NEXT) | instid1(VALU_DEP_2)
	v_and_b32_e32 v98, 15, v98
	v_cvt_f16_u16_e32 v99, v99
	s_delay_alu instid0(VALU_DEP_2) | instskip(NEXT) | instid1(VALU_DEP_1)
	v_cvt_f16_u16_e32 v98, v98
	v_pack_b32_f16 v98, v99, v98
	v_lshrrev_b32_e32 v99, 16, v96
	v_bfe_u32 v96, v96, 24, 4
	s_delay_alu instid0(VALU_DEP_2) | instskip(NEXT) | instid1(VALU_DEP_2)
	v_and_b32_e32 v99, 15, v99
	v_cvt_f16_u16_e32 v96, v96
	s_delay_alu instid0(VALU_DEP_2) | instskip(NEXT) | instid1(VALU_DEP_1)
	v_cvt_f16_u16_e32 v99, v99
	v_pack_b32_f16 v96, v99, v96
	s_waitcnt vmcnt(7)
	v_pk_fma_f16 v21, v95, v93, v95 op_sel:[0,0,1] op_sel_hi:[0,1,1]
	v_pk_fma_f16 v92, v95, v92, v95 op_sel:[0,0,1] op_sel_hi:[0,1,1]
	s_delay_alu instid0(VALU_DEP_2) | instskip(NEXT) | instid1(VALU_DEP_2)
	v_pk_fma_f16 v18, v22, v21, v18 op_sel:[1,0,0]
	v_pk_fma_f16 v20, v22, v92, v20 op_sel:[1,0,0]
	s_waitcnt vmcnt(6)
	v_pk_fma_f16 v93, v102, v98, v102 op_sel:[0,0,1] op_sel_hi:[0,1,1]
	v_pk_fma_f16 v95, v102, v96, v102 op_sel:[0,0,1] op_sel_hi:[0,1,1]
	s_delay_alu instid0(VALU_DEP_2) | instskip(NEXT) | instid1(VALU_DEP_2)
	v_pk_fma_f16 v19, v23, v93, v19 op_sel_hi:[0,1,1]
	v_pk_fma_f16 v17, v23, v95, v17 op_sel_hi:[0,1,1]
	s_waitcnt vmcnt(5)
	v_ashrrev_i32_e32 v21, v89, v103
	s_delay_alu instid0(VALU_DEP_1) | instskip(SKIP_1) | instid1(VALU_DEP_2)
	v_lshrrev_b32_e32 v22, 8, v21
	v_and_b32_e32 v92, 15, v21
	v_and_b32_e32 v22, 15, v22
	s_delay_alu instid0(VALU_DEP_2) | instskip(NEXT) | instid1(VALU_DEP_2)
	v_cvt_f16_u16_e32 v92, v92
	v_cvt_f16_u16_e32 v22, v22
	s_delay_alu instid0(VALU_DEP_1) | instskip(SKIP_3) | instid1(VALU_DEP_3)
	v_pack_b32_f16 v22, v92, v22
	v_lshrrev_b32_e32 v92, 16, v21
	v_bfe_u32 v21, v21, 24, 4
	s_waitcnt vmcnt(4)
	v_pk_fma_f16 v22, v97, v22, v97 op_sel:[0,0,1] op_sel_hi:[0,1,1]
	s_delay_alu instid0(VALU_DEP_3) | instskip(NEXT) | instid1(VALU_DEP_3)
	v_and_b32_e32 v92, 15, v92
	v_cvt_f16_u16_e32 v21, v21
	s_delay_alu instid0(VALU_DEP_3) | instskip(NEXT) | instid1(VALU_DEP_3)
	v_pk_fma_f16 v18, v23, v22, v18 op_sel_hi:[0,1,1]
	v_cvt_f16_u16_e32 v92, v92
	s_waitcnt vmcnt(3)
	v_ashrrev_i32_e32 v22, v89, v104
	s_delay_alu instid0(VALU_DEP_2) | instskip(NEXT) | instid1(VALU_DEP_2)
	v_pack_b32_f16 v21, v92, v21
	v_lshrrev_b32_e32 v92, 8, v22
	v_and_b32_e32 v93, 15, v22
	s_delay_alu instid0(VALU_DEP_3) | instskip(NEXT) | instid1(VALU_DEP_3)
	v_pk_fma_f16 v21, v97, v21, v97 op_sel:[0,0,1] op_sel_hi:[0,1,1]
	v_and_b32_e32 v92, 15, v92
	s_delay_alu instid0(VALU_DEP_3) | instskip(NEXT) | instid1(VALU_DEP_3)
	v_cvt_f16_u16_e32 v93, v93
	v_pk_fma_f16 v20, v23, v21, v20 op_sel_hi:[0,1,1]
	s_delay_alu instid0(VALU_DEP_3) | instskip(NEXT) | instid1(VALU_DEP_1)
	v_cvt_f16_u16_e32 v92, v92
	v_pack_b32_f16 v92, v93, v92
	v_lshrrev_b32_e32 v93, 16, v22
	v_bfe_u32 v22, v22, 24, 4
	s_delay_alu instid0(VALU_DEP_2) | instskip(NEXT) | instid1(VALU_DEP_2)
	v_and_b32_e32 v93, 15, v93
	v_cvt_f16_u16_e32 v22, v22
	s_delay_alu instid0(VALU_DEP_2) | instskip(NEXT) | instid1(VALU_DEP_1)
	v_cvt_f16_u16_e32 v93, v93
	v_pack_b32_f16 v22, v93, v22
	s_waitcnt vmcnt(2)
	v_ashrrev_i32_e32 v93, v89, v94
	s_delay_alu instid0(VALU_DEP_1) | instskip(SKIP_1) | instid1(VALU_DEP_2)
	v_lshrrev_b32_e32 v94, 8, v93
	v_and_b32_e32 v95, 15, v93
	v_and_b32_e32 v94, 15, v94
	s_delay_alu instid0(VALU_DEP_2) | instskip(NEXT) | instid1(VALU_DEP_2)
	v_cvt_f16_u16_e32 v95, v95
	v_cvt_f16_u16_e32 v94, v94
	s_waitcnt vmcnt(1)
	v_pk_fma_f16 v21, v109, v92, v109 op_sel:[0,0,1] op_sel_hi:[0,1,1]
	s_delay_alu instid0(VALU_DEP_2) | instskip(SKIP_3) | instid1(VALU_DEP_3)
	v_pack_b32_f16 v94, v95, v94
	v_lshrrev_b32_e32 v95, 16, v93
	v_bfe_u32 v93, v93, 24, 4
	v_pk_fma_f16 v22, v109, v22, v109 op_sel:[0,0,1] op_sel_hi:[0,1,1]
	v_and_b32_e32 v95, 15, v95
	s_delay_alu instid0(VALU_DEP_3) | instskip(SKIP_4) | instid1(VALU_DEP_1)
	v_cvt_f16_u16_e32 v93, v93
	s_waitcnt vmcnt(0)
	v_pk_fma_f16 v92, v16, v94, v16 op_sel:[0,0,1] op_sel_hi:[0,1,1]
	v_pk_fma_f16 v94, v23, v21, v19 op_sel:[1,0,0]
	v_cvt_f16_u16_e32 v95, v95
	v_pack_b32_f16 v93, v95, v93
	v_pk_fma_f16 v95, v23, v22, v17 op_sel:[1,0,0]
	s_delay_alu instid0(VALU_DEP_2) | instskip(SKIP_1) | instid1(VALU_DEP_2)
	v_pk_fma_f16 v16, v16, v93, v16 op_sel:[0,0,1] op_sel_hi:[0,1,1]
	v_pk_fma_f16 v93, v23, v92, v18 op_sel:[1,0,0]
	v_pk_fma_f16 v92, v23, v16, v20 op_sel:[1,0,0]
	v_add_co_u32 v16, vcc_lo, v60, s6
	v_add_co_ci_u32_e32 v17, vcc_lo, 0, v67, vcc_lo
	v_dual_mov_b32 v60, v247 :: v_dual_mov_b32 v247, v245
	v_mov_b32_e32 v245, v221
	global_load_b32 v18, v[16:17], off
	v_add_co_u32 v16, vcc_lo, v68, s6
	v_add_co_ci_u32_e32 v17, vcc_lo, 0, v69, vcc_lo
	v_dual_mov_b32 v221, v200 :: v_dual_mov_b32 v200, v194
	v_mov_b32_e32 v194, v188
	global_load_b32 v19, v[16:17], off
	v_add_co_u32 v16, vcc_lo, v58, s6
	v_add_co_ci_u32_e32 v17, vcc_lo, 0, v59, vcc_lo
	global_load_b32 v97, v[16:17], off
	v_add_co_u32 v16, vcc_lo, v60, s6
	v_add_co_ci_u32_e32 v17, vcc_lo, 0, v66, vcc_lo
	;; [unrolled: 3-line block ×6, first 2 shown]
	v_mov_b32_e32 v219, v206
	v_mov_b32_e32 v206, v202
	;; [unrolled: 1-line block ×3, first 2 shown]
	global_load_b32 v100, v[16:17], off
	v_add_co_u32 v16, vcc_lo, v246, s6
	v_add_co_ci_u32_e32 v17, vcc_lo, 0, v247, vcc_lo
	v_mov_b32_e32 v201, v195
	v_mov_b32_e32 v195, v172
	global_load_b32 v102, v[16:17], off
	s_waitcnt vmcnt(8)
	v_ashrrev_i32_e32 v18, v89, v18
	s_delay_alu instid0(VALU_DEP_1) | instskip(SKIP_1) | instid1(VALU_DEP_2)
	v_lshrrev_b32_e32 v16, 8, v18
	v_and_b32_e32 v17, 15, v18
	v_and_b32_e32 v16, 15, v16
	s_delay_alu instid0(VALU_DEP_2) | instskip(NEXT) | instid1(VALU_DEP_2)
	v_cvt_f16_u16_e32 v17, v17
	v_cvt_f16_u16_e32 v16, v16
	s_waitcnt vmcnt(6)
	v_ashrrev_i32_e32 v97, v89, v97
	s_delay_alu instid0(VALU_DEP_2) | instskip(SKIP_2) | instid1(VALU_DEP_3)
	v_pack_b32_f16 v20, v17, v16
	v_add_co_u32 v16, vcc_lo, v242, s6
	v_add_co_ci_u32_e32 v17, vcc_lo, 0, v243, vcc_lo
	v_pk_fma_f16 v104, v19, v20, v19 op_sel:[0,0,1] op_sel_hi:[0,1,1]
	global_load_b32 v103, v[16:17], off
	v_lshrrev_b32_e32 v16, 16, v18
	v_bfe_u32 v17, v18, 24, 4
	s_delay_alu instid0(VALU_DEP_2) | instskip(NEXT) | instid1(VALU_DEP_2)
	v_and_b32_e32 v16, 15, v16
	v_cvt_f16_u16_e32 v17, v17
	s_delay_alu instid0(VALU_DEP_2) | instskip(SKIP_2) | instid1(VALU_DEP_2)
	v_cvt_f16_u16_e32 v16, v16
	s_waitcnt vmcnt(4)
	v_ashrrev_i32_e32 v101, v89, v101
	v_pack_b32_f16 v16, v16, v17
	s_delay_alu instid0(VALU_DEP_1)
	v_pk_fma_f16 v105, v19, v16, v19 op_sel:[0,0,1] op_sel_hi:[0,1,1]
	ds_load_b128 v[16:19], v133 offset:32
	ds_load_b128 v[20:23], v133 offset:48
	s_waitcnt lgkmcnt(1)
	v_pk_fma_f16 v104, v16, v104, v94 op_sel_hi:[0,1,1]
	v_add_co_u32 v94, vcc_lo, v248, s6
	v_pk_fma_f16 v105, v16, v105, v95 op_sel_hi:[0,1,1]
	v_add_co_ci_u32_e32 v95, vcc_lo, 0, v218, vcc_lo
	global_load_b32 v106, v[94:95], off
	v_add_co_u32 v94, vcc_lo, v244, s6
	v_add_co_ci_u32_e32 v95, vcc_lo, 0, v245, vcc_lo
	global_load_b32 v107, v[94:95], off
	v_add_co_u32 v94, vcc_lo, v237, s6
	v_add_co_ci_u32_e32 v95, vcc_lo, 0, v238, vcc_lo
	global_load_b32 v108, v[94:95], off
	v_lshrrev_b32_e32 v94, 8, v97
	v_and_b32_e32 v95, 15, v97
	s_delay_alu instid0(VALU_DEP_2) | instskip(NEXT) | instid1(VALU_DEP_2)
	v_and_b32_e32 v94, 15, v94
	v_cvt_f16_u16_e32 v95, v95
	s_delay_alu instid0(VALU_DEP_2) | instskip(NEXT) | instid1(VALU_DEP_1)
	v_cvt_f16_u16_e32 v94, v94
	v_pack_b32_f16 v109, v95, v94
	v_add_co_u32 v94, vcc_lo, v239, s6
	v_add_co_ci_u32_e32 v95, vcc_lo, 0, v240, vcc_lo
	global_load_b32 v95, v[94:95], off
	v_lshrrev_b32_e32 v94, 16, v97
	v_bfe_u32 v97, v97, 24, 4
	s_delay_alu instid0(VALU_DEP_2) | instskip(NEXT) | instid1(VALU_DEP_2)
	v_and_b32_e32 v94, 15, v94
	v_cvt_f16_u16_e32 v97, v97
	s_delay_alu instid0(VALU_DEP_2) | instskip(NEXT) | instid1(VALU_DEP_1)
	v_cvt_f16_u16_e32 v94, v94
	v_pack_b32_f16 v94, v94, v97
	v_pk_fma_f16 v97, v96, v109, v96 op_sel:[0,0,1] op_sel_hi:[0,1,1]
	s_delay_alu instid0(VALU_DEP_2) | instskip(NEXT) | instid1(VALU_DEP_2)
	v_pk_fma_f16 v96, v96, v94, v96 op_sel:[0,0,1] op_sel_hi:[0,1,1]
	v_pk_fma_f16 v97, v16, v97, v93 op_sel_hi:[0,1,1]
	v_add_co_u32 v93, vcc_lo, v233, s6
	v_add_co_ci_u32_e32 v94, vcc_lo, 0, v234, vcc_lo
	s_delay_alu instid0(VALU_DEP_4) | instskip(SKIP_2) | instid1(VALU_DEP_1)
	v_pk_fma_f16 v92, v16, v96, v92 op_sel_hi:[0,1,1]
	global_load_b32 v109, v[93:94], off
	v_ashrrev_i32_e32 v93, v89, v99
	v_lshrrev_b32_e32 v94, 8, v93
	v_and_b32_e32 v99, 15, v93
	s_delay_alu instid0(VALU_DEP_2) | instskip(NEXT) | instid1(VALU_DEP_2)
	v_and_b32_e32 v94, 15, v94
	v_cvt_f16_u16_e32 v99, v99
	s_delay_alu instid0(VALU_DEP_2) | instskip(NEXT) | instid1(VALU_DEP_1)
	v_cvt_f16_u16_e32 v94, v94
	v_pack_b32_f16 v99, v99, v94
	v_lshrrev_b32_e32 v94, 16, v93
	v_bfe_u32 v93, v93, 24, 4
	s_waitcnt vmcnt(8)
	s_delay_alu instid0(VALU_DEP_3) | instskip(NEXT) | instid1(VALU_DEP_3)
	v_pk_fma_f16 v96, v98, v99, v98 op_sel:[0,0,1] op_sel_hi:[0,1,1]
	v_and_b32_e32 v94, 15, v94
	s_delay_alu instid0(VALU_DEP_3) | instskip(NEXT) | instid1(VALU_DEP_3)
	v_cvt_f16_u16_e32 v93, v93
	v_pk_fma_f16 v96, v16, v96, v104 op_sel:[1,0,0]
	s_delay_alu instid0(VALU_DEP_3) | instskip(NEXT) | instid1(VALU_DEP_1)
	v_cvt_f16_u16_e32 v94, v94
	v_pack_b32_f16 v110, v94, v93
	v_lshrrev_b32_e32 v93, 8, v101
	v_and_b32_e32 v94, 15, v101
	s_delay_alu instid0(VALU_DEP_3) | instskip(NEXT) | instid1(VALU_DEP_3)
	v_pk_fma_f16 v98, v98, v110, v98 op_sel:[0,0,1] op_sel_hi:[0,1,1]
	v_and_b32_e32 v93, 15, v93
	s_delay_alu instid0(VALU_DEP_3) | instskip(NEXT) | instid1(VALU_DEP_3)
	v_cvt_f16_u16_e32 v94, v94
	v_pk_fma_f16 v98, v16, v98, v105 op_sel:[1,0,0]
	s_delay_alu instid0(VALU_DEP_3) | instskip(NEXT) | instid1(VALU_DEP_1)
	v_cvt_f16_u16_e32 v93, v93
	v_pack_b32_f16 v111, v94, v93
	v_add_co_u32 v93, vcc_lo, v235, s6
	v_add_co_ci_u32_e32 v94, vcc_lo, 0, v236, vcc_lo
	s_waitcnt vmcnt(7)
	s_delay_alu instid0(VALU_DEP_3)
	v_pk_fma_f16 v99, v100, v111, v100 op_sel:[0,0,1] op_sel_hi:[0,1,1]
	global_load_b32 v112, v[93:94], off
	v_add_co_u32 v93, vcc_lo, v229, s6
	v_add_co_ci_u32_e32 v94, vcc_lo, 0, v230, vcc_lo
	v_pk_fma_f16 v97, v16, v99, v97 op_sel:[1,0,0]
	s_waitcnt vmcnt(7)
	v_ashrrev_i32_e32 v99, v89, v102
	global_load_b32 v94, v[93:94], off
	v_lshrrev_b32_e32 v93, 16, v101
	v_bfe_u32 v101, v101, 24, 4
	s_delay_alu instid0(VALU_DEP_2) | instskip(NEXT) | instid1(VALU_DEP_2)
	v_and_b32_e32 v93, 15, v93
	v_cvt_f16_u16_e32 v101, v101
	s_delay_alu instid0(VALU_DEP_2) | instskip(NEXT) | instid1(VALU_DEP_1)
	v_cvt_f16_u16_e32 v93, v93
	v_pack_b32_f16 v93, v93, v101
	s_delay_alu instid0(VALU_DEP_1) | instskip(NEXT) | instid1(VALU_DEP_1)
	v_pk_fma_f16 v93, v100, v93, v100 op_sel:[0,0,1] op_sel_hi:[0,1,1]
	v_pk_fma_f16 v16, v16, v93, v92 op_sel:[1,0,0]
	v_lshrrev_b32_e32 v92, 8, v99
	v_and_b32_e32 v93, 15, v99
	s_delay_alu instid0(VALU_DEP_2) | instskip(NEXT) | instid1(VALU_DEP_2)
	v_and_b32_e32 v92, 15, v92
	v_cvt_f16_u16_e32 v93, v93
	s_delay_alu instid0(VALU_DEP_2) | instskip(NEXT) | instid1(VALU_DEP_1)
	v_cvt_f16_u16_e32 v92, v92
	v_pack_b32_f16 v100, v93, v92
	v_add_co_u32 v92, vcc_lo, v225, s6
	v_add_co_ci_u32_e32 v93, vcc_lo, 0, v226, vcc_lo
	global_load_b32 v101, v[92:93], off
	v_lshrrev_b32_e32 v92, 16, v99
	v_bfe_u32 v93, v99, 24, 4
	s_delay_alu instid0(VALU_DEP_2) | instskip(NEXT) | instid1(VALU_DEP_2)
	v_and_b32_e32 v92, 15, v92
	v_cvt_f16_u16_e32 v93, v93
	s_delay_alu instid0(VALU_DEP_2) | instskip(NEXT) | instid1(VALU_DEP_1)
	v_cvt_f16_u16_e32 v92, v92
	v_pack_b32_f16 v99, v92, v93
	v_add_co_u32 v92, vcc_lo, v231, s6
	v_add_co_ci_u32_e32 v93, vcc_lo, 0, v232, vcc_lo
	global_load_b32 v102, v[92:93], off
	v_add_co_u32 v92, vcc_lo, v228, s6
	v_add_co_ci_u32_e32 v93, vcc_lo, 0, v227, vcc_lo
	global_load_b32 v104, v[92:93], off
	;; [unrolled: 3-line block ×3, first 2 shown]
	s_waitcnt vmcnt(11)
	v_ashrrev_i32_e32 v103, v89, v103
	s_delay_alu instid0(VALU_DEP_1) | instskip(SKIP_1) | instid1(VALU_DEP_2)
	v_lshrrev_b32_e32 v92, 8, v103
	v_and_b32_e32 v93, 15, v103
	v_and_b32_e32 v92, 15, v92
	s_delay_alu instid0(VALU_DEP_2) | instskip(NEXT) | instid1(VALU_DEP_2)
	v_cvt_f16_u16_e32 v93, v93
	v_cvt_f16_u16_e32 v92, v92
	s_delay_alu instid0(VALU_DEP_1)
	v_pack_b32_f16 v110, v93, v92
	v_add_co_u32 v92, vcc_lo, v223, s6
	v_add_co_ci_u32_e32 v93, vcc_lo, 0, v224, vcc_lo
	global_load_b32 v111, v[92:93], off
	v_add_co_u32 v92, vcc_lo, v216, s6
	v_add_co_ci_u32_e32 v93, vcc_lo, 0, v219, vcc_lo
	global_load_b32 v113, v[92:93], off
	v_lshrrev_b32_e32 v92, 16, v103
	v_bfe_u32 v93, v103, 24, 4
	s_delay_alu instid0(VALU_DEP_2) | instskip(NEXT) | instid1(VALU_DEP_2)
	v_and_b32_e32 v92, 15, v92
	v_cvt_f16_u16_e32 v93, v93
	s_delay_alu instid0(VALU_DEP_2) | instskip(SKIP_2) | instid1(VALU_DEP_2)
	v_cvt_f16_u16_e32 v92, v92
	s_waitcnt vmcnt(12)
	v_pk_fma_f16 v99, v106, v99, v106 op_sel:[0,0,1] op_sel_hi:[0,1,1]
	v_pack_b32_f16 v92, v92, v93
	v_pk_fma_f16 v93, v106, v100, v106 op_sel:[0,0,1] op_sel_hi:[0,1,1]
	s_delay_alu instid0(VALU_DEP_3) | instskip(SKIP_1) | instid1(VALU_DEP_3)
	v_pk_fma_f16 v98, v17, v99, v98 op_sel_hi:[0,1,1]
	s_waitcnt vmcnt(11)
	v_pk_fma_f16 v103, v107, v92, v107 op_sel:[0,0,1] op_sel_hi:[0,1,1]
	v_add_co_u32 v92, vcc_lo, v213, s6
	v_pk_fma_f16 v96, v17, v93, v96 op_sel_hi:[0,1,1]
	v_add_co_ci_u32_e32 v93, vcc_lo, 0, v214, vcc_lo
	v_pk_fma_f16 v100, v107, v110, v107 op_sel:[0,0,1] op_sel_hi:[0,1,1]
	v_pk_fma_f16 v16, v17, v103, v16 op_sel_hi:[0,1,1]
	global_load_b32 v106, v[92:93], off
	s_waitcnt vmcnt(11)
	v_ashrrev_i32_e32 v92, v89, v108
	v_pk_fma_f16 v97, v17, v100, v97 op_sel_hi:[0,1,1]
	s_delay_alu instid0(VALU_DEP_2) | instskip(SKIP_1) | instid1(VALU_DEP_2)
	v_lshrrev_b32_e32 v93, 8, v92
	v_and_b32_e32 v107, 15, v92
	v_and_b32_e32 v93, 15, v93
	s_delay_alu instid0(VALU_DEP_2) | instskip(NEXT) | instid1(VALU_DEP_2)
	v_cvt_f16_u16_e32 v107, v107
	v_cvt_f16_u16_e32 v93, v93
	s_delay_alu instid0(VALU_DEP_1) | instskip(SKIP_3) | instid1(VALU_DEP_3)
	v_pack_b32_f16 v93, v107, v93
	v_lshrrev_b32_e32 v107, 16, v92
	v_bfe_u32 v92, v92, 24, 4
	s_waitcnt vmcnt(10)
	v_pk_fma_f16 v99, v95, v93, v95 op_sel:[0,0,1] op_sel_hi:[0,1,1]
	s_delay_alu instid0(VALU_DEP_3) | instskip(NEXT) | instid1(VALU_DEP_3)
	v_and_b32_e32 v107, 15, v107
	v_cvt_f16_u16_e32 v92, v92
	s_delay_alu instid0(VALU_DEP_3) | instskip(NEXT) | instid1(VALU_DEP_3)
	v_pk_fma_f16 v96, v17, v99, v96 op_sel:[1,0,0]
	v_cvt_f16_u16_e32 v107, v107
	s_delay_alu instid0(VALU_DEP_1) | instskip(NEXT) | instid1(VALU_DEP_1)
	v_pack_b32_f16 v92, v107, v92
	v_pk_fma_f16 v95, v95, v92, v95 op_sel:[0,0,1] op_sel_hi:[0,1,1]
	v_add_co_u32 v92, vcc_lo, v220, s6
	v_add_co_ci_u32_e32 v93, vcc_lo, 0, v221, vcc_lo
	s_delay_alu instid0(VALU_DEP_3)
	v_pk_fma_f16 v95, v17, v95, v98 op_sel:[1,0,0]
	global_load_b32 v100, v[92:93], off
	v_add_co_u32 v92, vcc_lo, v215, s6
	v_add_co_ci_u32_e32 v93, vcc_lo, 0, v217, vcc_lo
	s_waitcnt vmcnt(10)
	v_ashrrev_i32_e32 v98, v89, v109
	v_dual_mov_b32 v215, v214 :: v_dual_mov_b32 v214, v213
	global_load_b32 v103, v[92:93], off
	v_add_co_u32 v92, vcc_lo, v209, s6
	v_add_co_ci_u32_e32 v93, vcc_lo, 0, v210, vcc_lo
	v_mov_b32_e32 v213, v212
	global_load_b32 v107, v[92:93], off
	v_lshrrev_b32_e32 v92, 8, v98
	v_and_b32_e32 v93, 15, v98
	s_delay_alu instid0(VALU_DEP_2) | instskip(NEXT) | instid1(VALU_DEP_2)
	v_and_b32_e32 v92, 15, v92
	v_cvt_f16_u16_e32 v93, v93
	s_delay_alu instid0(VALU_DEP_2) | instskip(NEXT) | instid1(VALU_DEP_1)
	v_cvt_f16_u16_e32 v92, v92
	v_pack_b32_f16 v99, v93, v92
	v_add_co_u32 v92, vcc_lo, v211, s6
	v_add_co_ci_u32_e32 v93, vcc_lo, 0, v212, vcc_lo
	v_dual_mov_b32 v212, v211 :: v_dual_mov_b32 v211, v209
	v_mov_b32_e32 v209, v168
	global_load_b32 v108, v[92:93], off
	v_add_co_u32 v92, vcc_lo, v206, s6
	v_add_co_ci_u32_e32 v93, vcc_lo, 0, v205, vcc_lo
	global_load_b32 v109, v[92:93], off
	v_lshrrev_b32_e32 v92, 16, v98
	v_bfe_u32 v93, v98, 24, 4
	s_delay_alu instid0(VALU_DEP_2) | instskip(NEXT) | instid1(VALU_DEP_2)
	v_and_b32_e32 v92, 15, v92
	v_cvt_f16_u16_e32 v93, v93
	s_delay_alu instid0(VALU_DEP_2) | instskip(NEXT) | instid1(VALU_DEP_1)
	v_cvt_f16_u16_e32 v92, v92
	v_pack_b32_f16 v92, v92, v93
	s_waitcnt vmcnt(13)
	v_pk_fma_f16 v93, v112, v99, v112 op_sel:[0,0,1] op_sel_hi:[0,1,1]
	s_delay_alu instid0(VALU_DEP_2) | instskip(SKIP_1) | instid1(VALU_DEP_3)
	v_pk_fma_f16 v98, v112, v92, v112 op_sel:[0,0,1] op_sel_hi:[0,1,1]
	v_add_co_u32 v92, vcc_lo, v202, s6
	v_pk_fma_f16 v97, v17, v93, v97 op_sel:[1,0,0]
	v_add_co_ci_u32_e32 v93, vcc_lo, 0, v203, vcc_lo
	s_waitcnt vmcnt(12)
	v_ashrrev_i32_e32 v94, v89, v94
	v_pk_fma_f16 v16, v17, v98, v16 op_sel:[1,0,0]
	global_load_b32 v99, v[92:93], off
	v_lshrrev_b32_e32 v92, 8, v94
	v_and_b32_e32 v93, 15, v94
	s_delay_alu instid0(VALU_DEP_2) | instskip(NEXT) | instid1(VALU_DEP_2)
	v_and_b32_e32 v92, 15, v92
	v_cvt_f16_u16_e32 v93, v93
	s_delay_alu instid0(VALU_DEP_2) | instskip(NEXT) | instid1(VALU_DEP_1)
	v_cvt_f16_u16_e32 v92, v92
	v_pack_b32_f16 v110, v93, v92
	v_add_co_u32 v92, vcc_lo, v208, s6
	v_add_co_ci_u32_e32 v93, vcc_lo, 0, v199, vcc_lo
	global_load_b32 v112, v[92:93], off
	v_add_co_u32 v92, vcc_lo, v204, s6
	v_add_co_ci_u32_e32 v93, vcc_lo, 0, v192, vcc_lo
	global_load_b32 v92, v[92:93], off
	v_lshrrev_b32_e32 v93, 16, v94
	v_bfe_u32 v94, v94, 24, 4
	s_delay_alu instid0(VALU_DEP_2) | instskip(NEXT) | instid1(VALU_DEP_2)
	v_and_b32_e32 v93, 15, v93
	v_cvt_f16_u16_e32 v94, v94
	s_delay_alu instid0(VALU_DEP_2) | instskip(NEXT) | instid1(VALU_DEP_1)
	v_cvt_f16_u16_e32 v93, v93
	v_pack_b32_f16 v93, v93, v94
	s_waitcnt vmcnt(14)
	v_ashrrev_i32_e32 v94, v89, v101
	s_delay_alu instid0(VALU_DEP_1) | instskip(SKIP_1) | instid1(VALU_DEP_2)
	v_lshrrev_b32_e32 v101, 8, v94
	v_and_b32_e32 v114, 15, v94
	v_and_b32_e32 v101, 15, v101
	s_delay_alu instid0(VALU_DEP_2) | instskip(NEXT) | instid1(VALU_DEP_2)
	v_cvt_f16_u16_e32 v114, v114
	v_cvt_f16_u16_e32 v101, v101
	s_waitcnt vmcnt(13)
	v_pk_fma_f16 v17, v102, v110, v102 op_sel:[0,0,1] op_sel_hi:[0,1,1]
	v_pk_fma_f16 v93, v102, v93, v102 op_sel:[0,0,1] op_sel_hi:[0,1,1]
	s_delay_alu instid0(VALU_DEP_3) | instskip(SKIP_4) | instid1(VALU_DEP_4)
	v_pack_b32_f16 v101, v114, v101
	v_lshrrev_b32_e32 v114, 16, v94
	v_bfe_u32 v94, v94, 24, 4
	v_pk_fma_f16 v17, v18, v17, v96 op_sel_hi:[0,1,1]
	v_pk_fma_f16 v93, v18, v93, v95 op_sel_hi:[0,1,1]
	v_and_b32_e32 v114, 15, v114
	s_delay_alu instid0(VALU_DEP_4) | instskip(SKIP_2) | instid1(VALU_DEP_3)
	v_cvt_f16_u16_e32 v94, v94
	s_waitcnt vmcnt(12)
	v_pk_fma_f16 v98, v104, v101, v104 op_sel:[0,0,1] op_sel_hi:[0,1,1]
	v_cvt_f16_u16_e32 v114, v114
	s_delay_alu instid0(VALU_DEP_2) | instskip(NEXT) | instid1(VALU_DEP_2)
	v_pk_fma_f16 v95, v18, v98, v97 op_sel_hi:[0,1,1]
	v_pack_b32_f16 v94, v114, v94
	s_delay_alu instid0(VALU_DEP_1) | instskip(NEXT) | instid1(VALU_DEP_1)
	v_pk_fma_f16 v94, v104, v94, v104 op_sel:[0,0,1] op_sel_hi:[0,1,1]
	v_pk_fma_f16 v16, v18, v94, v16 op_sel_hi:[0,1,1]
	s_waitcnt vmcnt(11)
	v_ashrrev_i32_e32 v94, v89, v105
	s_delay_alu instid0(VALU_DEP_1) | instskip(SKIP_1) | instid1(VALU_DEP_2)
	v_lshrrev_b32_e32 v96, 8, v94
	v_and_b32_e32 v97, 15, v94
	v_and_b32_e32 v96, 15, v96
	s_delay_alu instid0(VALU_DEP_2) | instskip(NEXT) | instid1(VALU_DEP_2)
	v_cvt_f16_u16_e32 v97, v97
	v_cvt_f16_u16_e32 v96, v96
	s_delay_alu instid0(VALU_DEP_1) | instskip(SKIP_2) | instid1(VALU_DEP_2)
	v_pack_b32_f16 v96, v97, v96
	v_lshrrev_b32_e32 v97, 16, v94
	v_bfe_u32 v94, v94, 24, 4
	v_and_b32_e32 v97, 15, v97
	s_delay_alu instid0(VALU_DEP_2) | instskip(NEXT) | instid1(VALU_DEP_2)
	v_cvt_f16_u16_e32 v94, v94
	v_cvt_f16_u16_e32 v97, v97
	s_delay_alu instid0(VALU_DEP_1) | instskip(SKIP_2) | instid1(VALU_DEP_2)
	v_pack_b32_f16 v94, v97, v94
	s_waitcnt vmcnt(10)
	v_pk_fma_f16 v96, v111, v96, v111 op_sel:[0,0,1] op_sel_hi:[0,1,1]
	v_pk_fma_f16 v94, v111, v94, v111 op_sel:[0,0,1] op_sel_hi:[0,1,1]
	s_delay_alu instid0(VALU_DEP_2) | instskip(NEXT) | instid1(VALU_DEP_2)
	v_pk_fma_f16 v17, v18, v96, v17 op_sel:[1,0,0]
	v_pk_fma_f16 v93, v18, v94, v93 op_sel:[1,0,0]
	s_waitcnt vmcnt(9)
	v_ashrrev_i32_e32 v96, v89, v113
	s_delay_alu instid0(VALU_DEP_1) | instskip(SKIP_1) | instid1(VALU_DEP_2)
	v_lshrrev_b32_e32 v97, 8, v96
	v_and_b32_e32 v98, 15, v96
	v_and_b32_e32 v97, 15, v97
	s_delay_alu instid0(VALU_DEP_2) | instskip(NEXT) | instid1(VALU_DEP_2)
	v_cvt_f16_u16_e32 v98, v98
	v_cvt_f16_u16_e32 v97, v97
	s_delay_alu instid0(VALU_DEP_1) | instskip(SKIP_2) | instid1(VALU_DEP_2)
	v_pack_b32_f16 v97, v98, v97
	v_lshrrev_b32_e32 v98, 16, v96
	v_bfe_u32 v96, v96, 24, 4
	v_and_b32_e32 v98, 15, v98
	s_delay_alu instid0(VALU_DEP_2) | instskip(NEXT) | instid1(VALU_DEP_2)
	v_cvt_f16_u16_e32 v96, v96
	v_cvt_f16_u16_e32 v98, v98
	s_delay_alu instid0(VALU_DEP_1) | instskip(SKIP_2) | instid1(VALU_DEP_1)
	v_pack_b32_f16 v96, v98, v96
	s_waitcnt vmcnt(8)
	v_ashrrev_i32_e32 v98, v89, v106
	v_lshrrev_b32_e32 v101, 8, v98
	v_and_b32_e32 v102, 15, v98
	s_delay_alu instid0(VALU_DEP_2) | instskip(NEXT) | instid1(VALU_DEP_2)
	v_and_b32_e32 v101, 15, v101
	v_cvt_f16_u16_e32 v102, v102
	s_delay_alu instid0(VALU_DEP_2) | instskip(NEXT) | instid1(VALU_DEP_1)
	v_cvt_f16_u16_e32 v101, v101
	v_pack_b32_f16 v101, v102, v101
	v_lshrrev_b32_e32 v102, 16, v98
	v_bfe_u32 v98, v98, 24, 4
	s_delay_alu instid0(VALU_DEP_2) | instskip(NEXT) | instid1(VALU_DEP_2)
	v_and_b32_e32 v102, 15, v102
	v_cvt_f16_u16_e32 v98, v98
	s_delay_alu instid0(VALU_DEP_2) | instskip(NEXT) | instid1(VALU_DEP_1)
	v_cvt_f16_u16_e32 v102, v102
	v_pack_b32_f16 v98, v102, v98
	s_waitcnt vmcnt(7)
	v_pk_fma_f16 v94, v100, v97, v100 op_sel:[0,0,1] op_sel_hi:[0,1,1]
	v_pk_fma_f16 v96, v100, v96, v100 op_sel:[0,0,1] op_sel_hi:[0,1,1]
	s_delay_alu instid0(VALU_DEP_2) | instskip(NEXT) | instid1(VALU_DEP_2)
	v_pk_fma_f16 v94, v18, v94, v95 op_sel:[1,0,0]
	v_pk_fma_f16 v16, v18, v96, v16 op_sel:[1,0,0]
	s_waitcnt vmcnt(6)
	v_pk_fma_f16 v98, v103, v98, v103 op_sel:[0,0,1] op_sel_hi:[0,1,1]
	v_pk_fma_f16 v97, v103, v101, v103 op_sel:[0,0,1] op_sel_hi:[0,1,1]
	s_delay_alu instid0(VALU_DEP_2) | instskip(NEXT) | instid1(VALU_DEP_2)
	v_pk_fma_f16 v18, v19, v98, v93 op_sel_hi:[0,1,1]
	v_pk_fma_f16 v17, v19, v97, v17 op_sel_hi:[0,1,1]
	s_waitcnt vmcnt(5)
	v_ashrrev_i32_e32 v93, v89, v107
	s_delay_alu instid0(VALU_DEP_1) | instskip(SKIP_1) | instid1(VALU_DEP_2)
	v_lshrrev_b32_e32 v95, 8, v93
	v_and_b32_e32 v96, 15, v93
	v_and_b32_e32 v95, 15, v95
	s_delay_alu instid0(VALU_DEP_2) | instskip(NEXT) | instid1(VALU_DEP_2)
	v_cvt_f16_u16_e32 v96, v96
	v_cvt_f16_u16_e32 v95, v95
	s_delay_alu instid0(VALU_DEP_1) | instskip(SKIP_3) | instid1(VALU_DEP_3)
	v_pack_b32_f16 v95, v96, v95
	v_lshrrev_b32_e32 v96, 16, v93
	v_bfe_u32 v93, v93, 24, 4
	s_waitcnt vmcnt(4)
	v_pk_fma_f16 v95, v108, v95, v108 op_sel:[0,0,1] op_sel_hi:[0,1,1]
	s_delay_alu instid0(VALU_DEP_3) | instskip(NEXT) | instid1(VALU_DEP_3)
	v_and_b32_e32 v96, 15, v96
	v_cvt_f16_u16_e32 v93, v93
	s_delay_alu instid0(VALU_DEP_3) | instskip(NEXT) | instid1(VALU_DEP_3)
	v_pk_fma_f16 v94, v19, v95, v94 op_sel_hi:[0,1,1]
	v_cvt_f16_u16_e32 v96, v96
	s_waitcnt vmcnt(3)
	v_ashrrev_i32_e32 v95, v89, v109
	s_delay_alu instid0(VALU_DEP_2) | instskip(NEXT) | instid1(VALU_DEP_2)
	v_pack_b32_f16 v93, v96, v93
	v_lshrrev_b32_e32 v96, 8, v95
	v_and_b32_e32 v97, 15, v95
	s_delay_alu instid0(VALU_DEP_3) | instskip(NEXT) | instid1(VALU_DEP_3)
	v_pk_fma_f16 v93, v108, v93, v108 op_sel:[0,0,1] op_sel_hi:[0,1,1]
	v_and_b32_e32 v96, 15, v96
	s_delay_alu instid0(VALU_DEP_3) | instskip(NEXT) | instid1(VALU_DEP_3)
	v_cvt_f16_u16_e32 v97, v97
	v_pk_fma_f16 v16, v19, v93, v16 op_sel_hi:[0,1,1]
	s_delay_alu instid0(VALU_DEP_3) | instskip(NEXT) | instid1(VALU_DEP_1)
	v_cvt_f16_u16_e32 v96, v96
	v_pack_b32_f16 v96, v97, v96
	v_lshrrev_b32_e32 v97, 16, v95
	v_bfe_u32 v95, v95, 24, 4
	s_delay_alu instid0(VALU_DEP_2) | instskip(NEXT) | instid1(VALU_DEP_2)
	v_and_b32_e32 v97, 15, v97
	v_cvt_f16_u16_e32 v95, v95
	s_delay_alu instid0(VALU_DEP_2) | instskip(NEXT) | instid1(VALU_DEP_1)
	v_cvt_f16_u16_e32 v97, v97
	v_pack_b32_f16 v95, v97, v95
	s_waitcnt vmcnt(2)
	v_ashrrev_i32_e32 v97, v89, v99
	s_delay_alu instid0(VALU_DEP_1) | instskip(SKIP_1) | instid1(VALU_DEP_2)
	v_lshrrev_b32_e32 v98, 8, v97
	v_and_b32_e32 v99, 15, v97
	v_and_b32_e32 v98, 15, v98
	s_delay_alu instid0(VALU_DEP_2) | instskip(NEXT) | instid1(VALU_DEP_2)
	v_cvt_f16_u16_e32 v99, v99
	v_cvt_f16_u16_e32 v98, v98
	s_waitcnt vmcnt(1)
	v_pk_fma_f16 v93, v112, v96, v112 op_sel:[0,0,1] op_sel_hi:[0,1,1]
	v_pk_fma_f16 v95, v112, v95, v112 op_sel:[0,0,1] op_sel_hi:[0,1,1]
	s_delay_alu instid0(VALU_DEP_3) | instskip(SKIP_4) | instid1(VALU_DEP_4)
	v_pack_b32_f16 v98, v99, v98
	v_lshrrev_b32_e32 v99, 16, v97
	v_bfe_u32 v97, v97, 24, 4
	v_pk_fma_f16 v93, v19, v93, v17 op_sel:[1,0,0]
	v_pk_fma_f16 v18, v19, v95, v18 op_sel:[1,0,0]
	v_and_b32_e32 v99, 15, v99
	s_delay_alu instid0(VALU_DEP_4) | instskip(SKIP_2) | instid1(VALU_DEP_3)
	v_cvt_f16_u16_e32 v97, v97
	s_waitcnt vmcnt(0)
	v_pk_fma_f16 v96, v92, v98, v92 op_sel:[0,0,1] op_sel_hi:[0,1,1]
	v_cvt_f16_u16_e32 v99, v99
	s_delay_alu instid0(VALU_DEP_2) | instskip(NEXT) | instid1(VALU_DEP_2)
	v_pk_fma_f16 v94, v19, v96, v94 op_sel:[1,0,0]
	v_pack_b32_f16 v97, v99, v97
	s_delay_alu instid0(VALU_DEP_1) | instskip(NEXT) | instid1(VALU_DEP_1)
	v_pk_fma_f16 v92, v92, v97, v92 op_sel:[0,0,1] op_sel_hi:[0,1,1]
	v_pk_fma_f16 v19, v19, v92, v16 op_sel:[1,0,0]
	v_add_co_u32 v16, vcc_lo, v197, s6
	v_add_co_ci_u32_e32 v17, vcc_lo, 0, v198, vcc_lo
	global_load_b32 v92, v[16:17], off
	v_add_co_u32 v16, vcc_lo, v200, s6
	v_add_co_ci_u32_e32 v17, vcc_lo, 0, v201, vcc_lo
	global_load_b32 v95, v[16:17], off
	;; [unrolled: 3-line block ×4, first 2 shown]
	s_clause 0x1
	scratch_load_b32 v190, off, off offset:288
	scratch_load_b32 v188, off, off offset:292
	s_waitcnt vmcnt(3)
	v_ashrrev_i32_e32 v96, v89, v96
	s_waitcnt vmcnt(1)
	v_add_co_u32 v16, vcc_lo, v190, s6
	s_waitcnt vmcnt(0)
	v_add_co_ci_u32_e32 v17, vcc_lo, 0, v188, vcc_lo
	global_load_b32 v98, v[16:17], off
	s_clause 0x2
	scratch_load_b32 v186, off, off offset:272
	scratch_load_b32 v189, off, off offset:276
	;; [unrolled: 1-line block ×3, first 2 shown]
	s_waitcnt vmcnt(2)
	v_add_co_u32 v16, vcc_lo, v186, s6
	s_waitcnt vmcnt(1)
	v_add_co_ci_u32_e32 v17, vcc_lo, 0, v189, vcc_lo
	global_load_b32 v99, v[16:17], off
	s_waitcnt vmcnt(1)
	v_add_co_u32 v16, vcc_lo, v155, s6
	v_add_co_ci_u32_e32 v17, vcc_lo, 0, v183, vcc_lo
	global_load_b32 v100, v[16:17], off
	s_clause 0x1
	scratch_load_b32 v135, off, off offset:284
	scratch_load_b32 v134, off, off offset:280
	s_waitcnt vmcnt(3)
	v_ashrrev_i32_e32 v99, v89, v99
	s_waitcnt vmcnt(1)
	v_add_co_u32 v16, vcc_lo, v135, s6
	s_waitcnt vmcnt(0)
	v_add_co_ci_u32_e32 v17, vcc_lo, 0, v134, vcc_lo
	global_load_b32 v101, v[16:17], off
	s_clause 0x1
	scratch_load_b32 v181, off, off offset:264
	scratch_load_b32 v56, off, off offset:268
	s_waitcnt vmcnt(1)
	v_add_co_u32 v16, vcc_lo, v181, s6
	s_waitcnt vmcnt(0)
	v_add_co_ci_u32_e32 v17, vcc_lo, 0, v56, vcc_lo
	global_load_b32 v102, v[16:17], off
	s_clause 0x3
	scratch_load_b32 v179, off, off offset:244
	scratch_load_b32 v13, off, off offset:248
	;; [unrolled: 1-line block ×4, first 2 shown]
	s_waitcnt vmcnt(3)
	v_add_co_u32 v16, vcc_lo, v179, s6
	s_waitcnt vmcnt(2)
	v_add_co_ci_u32_e32 v17, vcc_lo, 0, v13, vcc_lo
	global_load_b32 v103, v[16:17], off
	v_ashrrev_i32_e32 v16, v89, v92
	s_delay_alu instid0(VALU_DEP_1) | instskip(SKIP_1) | instid1(VALU_DEP_2)
	v_lshrrev_b32_e32 v17, 8, v16
	v_and_b32_e32 v92, 15, v16
	v_and_b32_e32 v17, 15, v17
	s_delay_alu instid0(VALU_DEP_2) | instskip(NEXT) | instid1(VALU_DEP_2)
	v_cvt_f16_u16_e32 v92, v92
	v_cvt_f16_u16_e32 v17, v17
	s_delay_alu instid0(VALU_DEP_1) | instskip(SKIP_2) | instid1(VALU_DEP_3)
	v_pack_b32_f16 v17, v92, v17
	v_lshrrev_b32_e32 v92, 16, v16
	v_bfe_u32 v16, v16, 24, 4
	v_pk_fma_f16 v17, v95, v17, v95 op_sel:[0,0,1] op_sel_hi:[0,1,1]
	s_delay_alu instid0(VALU_DEP_3) | instskip(NEXT) | instid1(VALU_DEP_3)
	v_and_b32_e32 v92, 15, v92
	v_cvt_f16_u16_e32 v16, v16
	s_delay_alu instid0(VALU_DEP_2) | instskip(NEXT) | instid1(VALU_DEP_1)
	v_cvt_f16_u16_e32 v92, v92
	v_pack_b32_f16 v16, v92, v16
	s_waitcnt lgkmcnt(0)
	v_pk_fma_f16 v92, v20, v17, v93 op_sel_hi:[0,1,1]
	s_delay_alu instid0(VALU_DEP_2) | instskip(NEXT) | instid1(VALU_DEP_1)
	v_pk_fma_f16 v16, v95, v16, v95 op_sel:[0,0,1] op_sel_hi:[0,1,1]
	v_pk_fma_f16 v18, v20, v16, v18 op_sel_hi:[0,1,1]
	s_waitcnt vmcnt(2)
	v_add_co_u32 v16, vcc_lo, v184, s6
	s_waitcnt vmcnt(1)
	v_add_co_ci_u32_e32 v17, vcc_lo, 0, v73, vcc_lo
	global_load_b32 v93, v[16:17], off
	s_clause 0x1
	scratch_load_b32 v180, off, off offset:240
	scratch_load_b32 v71, off, off offset:252
	s_waitcnt vmcnt(1)
	v_add_co_u32 v16, vcc_lo, v180, s6
	s_waitcnt vmcnt(0)
	v_add_co_ci_u32_e32 v17, vcc_lo, 0, v71, vcc_lo
	global_load_b32 v95, v[16:17], off
	s_clause 0x5
	scratch_load_b32 v174, off, off offset:224
	scratch_load_b32 v170, off, off offset:228
	;; [unrolled: 1-line block ×6, first 2 shown]
	s_waitcnt vmcnt(5)
	v_add_co_u32 v16, vcc_lo, v174, s6
	s_waitcnt vmcnt(4)
	v_add_co_ci_u32_e32 v17, vcc_lo, 0, v170, vcc_lo
	global_load_b32 v104, v[16:17], off
	v_lshrrev_b32_e32 v16, 8, v96
	v_and_b32_e32 v17, 15, v96
	s_delay_alu instid0(VALU_DEP_2) | instskip(NEXT) | instid1(VALU_DEP_2)
	v_and_b32_e32 v16, 15, v16
	v_cvt_f16_u16_e32 v17, v17
	s_delay_alu instid0(VALU_DEP_2) | instskip(NEXT) | instid1(VALU_DEP_1)
	v_cvt_f16_u16_e32 v16, v16
	v_pack_b32_f16 v105, v17, v16
	s_waitcnt vmcnt(4)
	v_add_co_u32 v16, vcc_lo, v10, s6
	s_waitcnt vmcnt(3)
	v_add_co_ci_u32_e32 v17, vcc_lo, 0, v11, vcc_lo
	global_load_b32 v106, v[16:17], off
	v_lshrrev_b32_e32 v16, 16, v96
	v_bfe_u32 v17, v96, 24, 4
	s_delay_alu instid0(VALU_DEP_2) | instskip(NEXT) | instid1(VALU_DEP_2)
	v_and_b32_e32 v16, 15, v16
	v_cvt_f16_u16_e32 v17, v17
	s_delay_alu instid0(VALU_DEP_2) | instskip(NEXT) | instid1(VALU_DEP_1)
	v_cvt_f16_u16_e32 v16, v16
	v_pack_b32_f16 v16, v16, v17
	v_pk_fma_f16 v17, v97, v105, v97 op_sel:[0,0,1] op_sel_hi:[0,1,1]
	s_delay_alu instid0(VALU_DEP_2) | instskip(SKIP_1) | instid1(VALU_DEP_3)
	v_pk_fma_f16 v96, v97, v16, v97 op_sel:[0,0,1] op_sel_hi:[0,1,1]
	v_add_co_u32 v16, vcc_lo, v158, s6
	v_pk_fma_f16 v94, v20, v17, v94 op_sel_hi:[0,1,1]
	v_add_co_ci_u32_e32 v17, vcc_lo, 0, v168, vcc_lo
	global_load_b32 v97, v[16:17], off
	v_ashrrev_i32_e32 v16, v89, v98
	s_delay_alu instid0(VALU_DEP_1) | instskip(SKIP_1) | instid1(VALU_DEP_2)
	v_lshrrev_b32_e32 v17, 8, v16
	v_and_b32_e32 v98, 15, v16
	v_and_b32_e32 v17, 15, v17
	s_delay_alu instid0(VALU_DEP_2) | instskip(NEXT) | instid1(VALU_DEP_2)
	v_cvt_f16_u16_e32 v98, v98
	v_cvt_f16_u16_e32 v17, v17
	s_delay_alu instid0(VALU_DEP_1) | instskip(SKIP_2) | instid1(VALU_DEP_2)
	v_pack_b32_f16 v98, v98, v17
	v_lshrrev_b32_e32 v17, 16, v16
	v_bfe_u32 v16, v16, 24, 4
	v_and_b32_e32 v17, 15, v17
	s_delay_alu instid0(VALU_DEP_2) | instskip(NEXT) | instid1(VALU_DEP_2)
	v_cvt_f16_u16_e32 v16, v16
	v_cvt_f16_u16_e32 v17, v17
	s_delay_alu instid0(VALU_DEP_1) | instskip(SKIP_2) | instid1(VALU_DEP_2)
	v_pack_b32_f16 v105, v17, v16
	v_lshrrev_b32_e32 v16, 8, v99
	v_and_b32_e32 v17, 15, v99
	v_and_b32_e32 v16, 15, v16
	s_delay_alu instid0(VALU_DEP_2) | instskip(NEXT) | instid1(VALU_DEP_2)
	v_cvt_f16_u16_e32 v17, v17
	v_cvt_f16_u16_e32 v16, v16
	s_delay_alu instid0(VALU_DEP_1)
	v_pack_b32_f16 v107, v17, v16
	s_waitcnt vmcnt(4)
	v_add_co_u32 v16, vcc_lo, v172, s6
	s_waitcnt vmcnt(3)
	v_add_co_ci_u32_e32 v17, vcc_lo, 0, v8, vcc_lo
	global_load_b32 v108, v[16:17], off
	s_clause 0x5
	scratch_load_b32 v166, off, off offset:208
	scratch_load_b32 v6, off, off offset:212
	;; [unrolled: 1-line block ×6, first 2 shown]
	s_waitcnt vmcnt(5)
	v_add_co_u32 v16, vcc_lo, v166, s6
	s_waitcnt vmcnt(4)
	v_add_co_ci_u32_e32 v17, vcc_lo, 0, v6, vcc_lo
	global_load_b32 v109, v[16:17], off
	v_lshrrev_b32_e32 v16, 16, v99
	v_bfe_u32 v17, v99, 24, 4
	s_delay_alu instid0(VALU_DEP_2) | instskip(NEXT) | instid1(VALU_DEP_2)
	v_and_b32_e32 v16, 15, v16
	v_cvt_f16_u16_e32 v17, v17
	s_delay_alu instid0(VALU_DEP_2) | instskip(NEXT) | instid1(VALU_DEP_1)
	v_cvt_f16_u16_e32 v16, v16
	v_pack_b32_f16 v16, v16, v17
	v_pk_fma_f16 v17, v20, v96, v19 op_sel_hi:[0,1,1]
	v_pk_fma_f16 v19, v100, v98, v100 op_sel:[0,0,1] op_sel_hi:[0,1,1]
	v_pk_fma_f16 v98, v101, v107, v101 op_sel:[0,0,1] op_sel_hi:[0,1,1]
	;; [unrolled: 1-line block ×4, first 2 shown]
	s_delay_alu instid0(VALU_DEP_4) | instskip(NEXT) | instid1(VALU_DEP_4)
	v_pk_fma_f16 v19, v20, v19, v92 op_sel:[1,0,0]
	v_pk_fma_f16 v92, v20, v98, v94 op_sel:[1,0,0]
	v_ashrrev_i32_e32 v94, v89, v102
	v_pk_fma_f16 v18, v20, v96, v18 op_sel:[1,0,0]
	v_pk_fma_f16 v20, v20, v16, v17 op_sel:[1,0,0]
	v_ashrrev_i32_e32 v102, v89, v103
	s_delay_alu instid0(VALU_DEP_4) | instskip(SKIP_1) | instid1(VALU_DEP_2)
	v_lshrrev_b32_e32 v16, 8, v94
	v_and_b32_e32 v17, 15, v94
	v_and_b32_e32 v16, 15, v16
	s_delay_alu instid0(VALU_DEP_2) | instskip(NEXT) | instid1(VALU_DEP_2)
	v_cvt_f16_u16_e32 v17, v17
	v_cvt_f16_u16_e32 v16, v16
	s_delay_alu instid0(VALU_DEP_1)
	v_pack_b32_f16 v96, v17, v16
	s_waitcnt vmcnt(4)
	v_add_co_u32 v16, vcc_lo, v4, s6
	s_waitcnt vmcnt(2)
	v_add_co_ci_u32_e32 v17, vcc_lo, 0, v163, vcc_lo
	global_load_b32 v98, v[16:17], off
	v_lshrrev_b32_e32 v16, 16, v94
	v_bfe_u32 v17, v94, 24, 4
	s_delay_alu instid0(VALU_DEP_2) | instskip(NEXT) | instid1(VALU_DEP_2)
	v_and_b32_e32 v16, 15, v16
	v_cvt_f16_u16_e32 v17, v17
	s_delay_alu instid0(VALU_DEP_2) | instskip(NEXT) | instid1(VALU_DEP_1)
	v_cvt_f16_u16_e32 v16, v16
	v_pack_b32_f16 v94, v16, v17
	s_waitcnt vmcnt(2)
	v_add_co_u32 v16, vcc_lo, v168, s6
	v_add_co_ci_u32_e32 v17, vcc_lo, 0, v158, vcc_lo
	global_load_b32 v99, v[16:17], off
	s_clause 0x1
	scratch_load_b32 v164, off, off offset:184
	scratch_load_b32 v49, off, off offset:188
	s_waitcnt vmcnt(3)
	v_ashrrev_i32_e32 v98, v89, v98
	s_delay_alu instid0(VALU_DEP_1) | instskip(NEXT) | instid1(VALU_DEP_1)
	v_and_b32_e32 v110, 15, v98
	v_cvt_f16_u16_e32 v110, v110
	s_waitcnt vmcnt(1)
	v_add_co_u32 v16, vcc_lo, v164, s6
	s_waitcnt vmcnt(0)
	v_add_co_ci_u32_e32 v17, vcc_lo, 0, v49, vcc_lo
	global_load_b32 v100, v[16:17], off
	s_clause 0x3
	scratch_load_b32 v169, off, off offset:180
	scratch_load_b32 v165, off, off offset:176
	;; [unrolled: 1-line block ×4, first 2 shown]
	s_waitcnt vmcnt(3)
	v_add_co_u32 v16, vcc_lo, v169, s6
	s_waitcnt vmcnt(2)
	v_add_co_ci_u32_e32 v17, vcc_lo, 0, v165, vcc_lo
	global_load_b32 v101, v[16:17], off
	v_lshrrev_b32_e32 v16, 8, v102
	v_and_b32_e32 v17, 15, v102
	s_delay_alu instid0(VALU_DEP_2) | instskip(NEXT) | instid1(VALU_DEP_2)
	v_and_b32_e32 v16, 15, v16
	v_cvt_f16_u16_e32 v17, v17
	s_delay_alu instid0(VALU_DEP_2) | instskip(NEXT) | instid1(VALU_DEP_1)
	v_cvt_f16_u16_e32 v16, v16
	v_pack_b32_f16 v103, v17, v16
	s_waitcnt vmcnt(1)
	v_add_co_u32 v16, vcc_lo, v160, s6
	v_add_co_ci_u32_e32 v17, vcc_lo, 0, v161, vcc_lo
	global_load_b32 v105, v[16:17], off
	s_clause 0x5
	scratch_load_b32 v128, off, off offset:416
	scratch_load_b32 v132, off, off offset:420
	;; [unrolled: 1-line block ×6, first 2 shown]
	s_waitcnt vmcnt(5)
	v_add_co_u32 v16, vcc_lo, v128, s6
	s_waitcnt vmcnt(4)
	v_add_co_ci_u32_e32 v17, vcc_lo, 0, v132, vcc_lo
	global_load_b32 v107, v[16:17], off
	v_lshrrev_b32_e32 v16, 16, v102
	v_bfe_u32 v17, v102, 24, 4
	s_delay_alu instid0(VALU_DEP_2) | instskip(NEXT) | instid1(VALU_DEP_2)
	v_and_b32_e32 v16, 15, v16
	v_cvt_f16_u16_e32 v17, v17
	s_delay_alu instid0(VALU_DEP_2) | instskip(NEXT) | instid1(VALU_DEP_1)
	v_cvt_f16_u16_e32 v16, v16
	v_pack_b32_f16 v16, v16, v17
	v_pk_fma_f16 v17, v93, v96, v93 op_sel:[0,0,1] op_sel_hi:[0,1,1]
	v_pk_fma_f16 v93, v93, v94, v93 op_sel:[0,0,1] op_sel_hi:[0,1,1]
	;; [unrolled: 1-line block ×3, first 2 shown]
	s_delay_alu instid0(VALU_DEP_4)
	v_pk_fma_f16 v95, v95, v16, v95 op_sel:[0,0,1] op_sel_hi:[0,1,1]
	s_waitcnt vmcnt(3)
	v_add_co_u32 v16, vcc_lo, v123, s6
	v_pk_fma_f16 v19, v21, v17, v19 op_sel_hi:[0,1,1]
	s_waitcnt vmcnt(2)
	v_add_co_ci_u32_e32 v17, vcc_lo, 0, v124, vcc_lo
	v_pk_fma_f16 v92, v21, v94, v92 op_sel_hi:[0,1,1]
	v_pk_fma_f16 v18, v21, v93, v18 op_sel_hi:[0,1,1]
	;; [unrolled: 1-line block ×3, first 2 shown]
	global_load_b32 v96, v[16:17], off
	v_ashrrev_i32_e32 v16, v89, v104
	s_delay_alu instid0(VALU_DEP_1) | instskip(SKIP_1) | instid1(VALU_DEP_2)
	v_lshrrev_b32_e32 v17, 8, v16
	v_and_b32_e32 v102, 15, v16
	v_and_b32_e32 v17, 15, v17
	s_delay_alu instid0(VALU_DEP_2) | instskip(NEXT) | instid1(VALU_DEP_2)
	v_cvt_f16_u16_e32 v102, v102
	v_cvt_f16_u16_e32 v17, v17
	s_delay_alu instid0(VALU_DEP_1) | instskip(SKIP_2) | instid1(VALU_DEP_3)
	v_pack_b32_f16 v17, v102, v17
	v_lshrrev_b32_e32 v102, 16, v16
	v_bfe_u32 v16, v16, 24, 4
	v_pk_fma_f16 v93, v106, v17, v106 op_sel:[0,0,1] op_sel_hi:[0,1,1]
	s_delay_alu instid0(VALU_DEP_3) | instskip(NEXT) | instid1(VALU_DEP_3)
	v_and_b32_e32 v102, 15, v102
	v_cvt_f16_u16_e32 v16, v16
	s_delay_alu instid0(VALU_DEP_3) | instskip(NEXT) | instid1(VALU_DEP_3)
	v_pk_fma_f16 v19, v21, v93, v19 op_sel:[1,0,0]
	v_cvt_f16_u16_e32 v102, v102
	v_ashrrev_i32_e32 v93, v89, v97
	s_delay_alu instid0(VALU_DEP_2) | instskip(NEXT) | instid1(VALU_DEP_1)
	v_pack_b32_f16 v16, v102, v16
	v_pk_fma_f16 v94, v106, v16, v106 op_sel:[0,0,1] op_sel_hi:[0,1,1]
	v_add_co_u32 v16, vcc_lo, v133, s6
	s_waitcnt vmcnt(2)
	v_add_co_ci_u32_e32 v17, vcc_lo, 0, v157, vcc_lo
	global_load_b32 v95, v[16:17], off
	s_clause 0x1
	scratch_load_b32 v125, off, off offset:408
	scratch_load_b32 v126, off, off offset:412
	v_pk_fma_f16 v18, v21, v94, v18 op_sel:[1,0,0]
	v_ashrrev_i32_e32 v106, v89, v109
	s_waitcnt vmcnt(3)
	v_ashrrev_i32_e32 v96, v89, v96
	s_waitcnt vmcnt(1)
	v_add_co_u32 v16, vcc_lo, v125, s6
	s_waitcnt vmcnt(0)
	v_add_co_ci_u32_e32 v17, vcc_lo, 0, v126, vcc_lo
	global_load_b32 v102, v[16:17], off
	s_clause 0x3
	scratch_load_b32 v119, off, off offset:384
	scratch_load_b32 v120, off, off offset:388
	;; [unrolled: 1-line block ×4, first 2 shown]
	s_waitcnt vmcnt(3)
	v_add_co_u32 v16, vcc_lo, v119, s6
	s_waitcnt vmcnt(2)
	v_add_co_ci_u32_e32 v17, vcc_lo, 0, v120, vcc_lo
	global_load_b32 v103, v[16:17], off
	v_lshrrev_b32_e32 v16, 8, v93
	v_and_b32_e32 v17, 15, v93
	s_delay_alu instid0(VALU_DEP_2) | instskip(NEXT) | instid1(VALU_DEP_2)
	v_and_b32_e32 v16, 15, v16
	v_cvt_f16_u16_e32 v17, v17
	s_delay_alu instid0(VALU_DEP_2) | instskip(NEXT) | instid1(VALU_DEP_1)
	v_cvt_f16_u16_e32 v16, v16
	v_pack_b32_f16 v94, v17, v16
	s_waitcnt vmcnt(2)
	v_add_co_u32 v16, vcc_lo, v121, s6
	s_waitcnt vmcnt(1)
	v_add_co_ci_u32_e32 v17, vcc_lo, 0, v122, vcc_lo
	global_load_b32 v97, v[16:17], off
	s_clause 0x5
	scratch_load_b32 v115, off, off offset:368
	scratch_load_b32 v116, off, off offset:372
	;; [unrolled: 1-line block ×6, first 2 shown]
	s_waitcnt vmcnt(5)
	v_add_co_u32 v16, vcc_lo, v115, s6
	s_waitcnt vmcnt(4)
	v_add_co_ci_u32_e32 v17, vcc_lo, 0, v116, vcc_lo
	global_load_b32 v104, v[16:17], off
	v_lshrrev_b32_e32 v16, 16, v93
	v_bfe_u32 v17, v93, 24, 4
	s_delay_alu instid0(VALU_DEP_2) | instskip(NEXT) | instid1(VALU_DEP_2)
	v_and_b32_e32 v16, 15, v16
	v_cvt_f16_u16_e32 v17, v17
	s_delay_alu instid0(VALU_DEP_2) | instskip(NEXT) | instid1(VALU_DEP_1)
	v_cvt_f16_u16_e32 v16, v16
	v_pack_b32_f16 v16, v16, v17
	v_pk_fma_f16 v17, v108, v94, v108 op_sel:[0,0,1] op_sel_hi:[0,1,1]
	s_delay_alu instid0(VALU_DEP_2) | instskip(SKIP_2) | instid1(VALU_DEP_3)
	v_pk_fma_f16 v93, v108, v16, v108 op_sel:[0,0,1] op_sel_hi:[0,1,1]
	s_waitcnt vmcnt(2)
	v_add_co_u32 v16, vcc_lo, v111, s6
	v_pk_fma_f16 v92, v21, v17, v92 op_sel:[1,0,0]
	s_waitcnt vmcnt(1)
	v_add_co_ci_u32_e32 v17, vcc_lo, 0, v112, vcc_lo
	v_pk_fma_f16 v20, v21, v93, v20 op_sel:[1,0,0]
	global_load_b32 v94, v[16:17], off
	v_lshrrev_b32_e32 v16, 8, v106
	v_and_b32_e32 v17, 15, v106
	s_delay_alu instid0(VALU_DEP_2) | instskip(NEXT) | instid1(VALU_DEP_2)
	v_and_b32_e32 v16, 15, v16
	v_cvt_f16_u16_e32 v17, v17
	s_delay_alu instid0(VALU_DEP_2) | instskip(NEXT) | instid1(VALU_DEP_1)
	v_cvt_f16_u16_e32 v16, v16
	v_pack_b32_f16 v108, v17, v16
	v_add_co_u32 v16, vcc_lo, v117, s6
	v_add_co_ci_u32_e32 v17, vcc_lo, 0, v118, vcc_lo
	global_load_b32 v109, v[16:17], off
	s_clause 0x1
	scratch_load_b32 v113, off, off offset:360
	scratch_load_b32 v114, off, off offset:364
	v_pk_fma_f16 v21, v99, v108, v99 op_sel:[0,0,1] op_sel_hi:[0,1,1]
	s_delay_alu instid0(VALU_DEP_1)
	v_pk_fma_f16 v19, v22, v21, v19 op_sel_hi:[0,1,1]
	v_ashrrev_i32_e32 v21, v89, v101
	s_waitcnt vmcnt(1)
	v_add_co_u32 v16, vcc_lo, v113, s6
	s_waitcnt vmcnt(0)
	v_add_co_ci_u32_e32 v17, vcc_lo, 0, v114, vcc_lo
	global_load_b32 v16, v[16:17], off
	v_lshrrev_b32_e32 v17, 16, v106
	v_bfe_u32 v106, v106, 24, 4
	s_delay_alu instid0(VALU_DEP_2) | instskip(NEXT) | instid1(VALU_DEP_2)
	v_and_b32_e32 v17, 15, v17
	v_cvt_f16_u16_e32 v106, v106
	s_delay_alu instid0(VALU_DEP_2) | instskip(NEXT) | instid1(VALU_DEP_1)
	v_cvt_f16_u16_e32 v17, v17
	v_pack_b32_f16 v17, v17, v106
	v_lshrrev_b32_e32 v106, 8, v98
	s_delay_alu instid0(VALU_DEP_2) | instskip(NEXT) | instid1(VALU_DEP_2)
	v_pk_fma_f16 v17, v99, v17, v99 op_sel:[0,0,1] op_sel_hi:[0,1,1]
	v_and_b32_e32 v106, 15, v106
	v_and_b32_e32 v99, 15, v96
	s_delay_alu instid0(VALU_DEP_3) | instskip(NEXT) | instid1(VALU_DEP_3)
	v_pk_fma_f16 v17, v22, v17, v18 op_sel_hi:[0,1,1]
	v_cvt_f16_u16_e32 v106, v106
	s_delay_alu instid0(VALU_DEP_3) | instskip(NEXT) | instid1(VALU_DEP_2)
	v_cvt_f16_u16_e32 v99, v99
	v_pack_b32_f16 v106, v110, v106
	v_lshrrev_b32_e32 v110, 16, v98
	v_bfe_u32 v98, v98, 24, 4
	s_delay_alu instid0(VALU_DEP_3) | instskip(NEXT) | instid1(VALU_DEP_3)
	v_pk_fma_f16 v93, v100, v106, v100 op_sel:[0,0,1] op_sel_hi:[0,1,1]
	v_and_b32_e32 v110, 15, v110
	s_delay_alu instid0(VALU_DEP_3) | instskip(NEXT) | instid1(VALU_DEP_3)
	v_cvt_f16_u16_e32 v98, v98
	v_pk_fma_f16 v18, v22, v93, v92 op_sel_hi:[0,1,1]
	v_lshrrev_b32_e32 v92, 8, v21
	v_and_b32_e32 v93, 15, v21
	v_cvt_f16_u16_e32 v110, v110
	s_delay_alu instid0(VALU_DEP_3) | instskip(NEXT) | instid1(VALU_DEP_3)
	v_and_b32_e32 v92, 15, v92
	v_cvt_f16_u16_e32 v93, v93
	s_delay_alu instid0(VALU_DEP_3) | instskip(NEXT) | instid1(VALU_DEP_3)
	v_pack_b32_f16 v98, v110, v98
	v_cvt_f16_u16_e32 v92, v92
	s_delay_alu instid0(VALU_DEP_2) | instskip(NEXT) | instid1(VALU_DEP_2)
	v_pk_fma_f16 v98, v100, v98, v100 op_sel:[0,0,1] op_sel_hi:[0,1,1]
	v_pack_b32_f16 v92, v93, v92
	v_lshrrev_b32_e32 v93, 16, v21
	v_bfe_u32 v21, v21, 24, 4
	s_delay_alu instid0(VALU_DEP_4) | instskip(NEXT) | instid1(VALU_DEP_4)
	v_pk_fma_f16 v20, v22, v98, v20 op_sel_hi:[0,1,1]
	v_pk_fma_f16 v92, v105, v92, v105 op_sel:[0,0,1] op_sel_hi:[0,1,1]
	s_delay_alu instid0(VALU_DEP_4) | instskip(NEXT) | instid1(VALU_DEP_4)
	v_and_b32_e32 v93, 15, v93
	v_cvt_f16_u16_e32 v21, v21
	s_delay_alu instid0(VALU_DEP_3) | instskip(NEXT) | instid1(VALU_DEP_3)
	v_pk_fma_f16 v19, v22, v92, v19 op_sel:[1,0,0]
	v_cvt_f16_u16_e32 v93, v93
	v_ashrrev_i32_e32 v92, v89, v107
	s_delay_alu instid0(VALU_DEP_2) | instskip(NEXT) | instid1(VALU_DEP_2)
	v_pack_b32_f16 v21, v93, v21
	v_lshrrev_b32_e32 v93, 8, v92
	v_and_b32_e32 v98, 15, v92
	s_delay_alu instid0(VALU_DEP_3) | instskip(NEXT) | instid1(VALU_DEP_3)
	v_pk_fma_f16 v21, v105, v21, v105 op_sel:[0,0,1] op_sel_hi:[0,1,1]
	v_and_b32_e32 v93, 15, v93
	s_delay_alu instid0(VALU_DEP_3) | instskip(NEXT) | instid1(VALU_DEP_3)
	v_cvt_f16_u16_e32 v98, v98
	v_pk_fma_f16 v17, v22, v21, v17 op_sel:[1,0,0]
	s_delay_alu instid0(VALU_DEP_3) | instskip(NEXT) | instid1(VALU_DEP_1)
	v_cvt_f16_u16_e32 v93, v93
	v_pack_b32_f16 v93, v98, v93
	v_lshrrev_b32_e32 v98, 16, v92
	v_bfe_u32 v92, v92, 24, 4
	s_delay_alu instid0(VALU_DEP_3) | instskip(NEXT) | instid1(VALU_DEP_3)
	v_pk_fma_f16 v21, v95, v93, v95 op_sel:[0,0,1] op_sel_hi:[0,1,1]
	v_and_b32_e32 v98, 15, v98
	s_delay_alu instid0(VALU_DEP_3) | instskip(NEXT) | instid1(VALU_DEP_3)
	v_cvt_f16_u16_e32 v92, v92
	v_pk_fma_f16 v18, v22, v21, v18 op_sel:[1,0,0]
	s_delay_alu instid0(VALU_DEP_3) | instskip(SKIP_1) | instid1(VALU_DEP_2)
	v_cvt_f16_u16_e32 v98, v98
	v_ashrrev_i32_e32 v21, v89, v103
	v_pack_b32_f16 v92, v98, v92
	v_lshrrev_b32_e32 v98, 8, v96
	s_delay_alu instid0(VALU_DEP_2) | instskip(NEXT) | instid1(VALU_DEP_2)
	v_pk_fma_f16 v92, v95, v92, v95 op_sel:[0,0,1] op_sel_hi:[0,1,1]
	v_and_b32_e32 v98, 15, v98
	s_delay_alu instid0(VALU_DEP_2) | instskip(SKIP_2) | instid1(VALU_DEP_4)
	v_pk_fma_f16 v20, v22, v92, v20 op_sel:[1,0,0]
	v_lshrrev_b32_e32 v22, 8, v21
	v_and_b32_e32 v92, 15, v21
	v_cvt_f16_u16_e32 v98, v98
	s_delay_alu instid0(VALU_DEP_3) | instskip(NEXT) | instid1(VALU_DEP_3)
	v_and_b32_e32 v22, 15, v22
	v_cvt_f16_u16_e32 v92, v92
	s_delay_alu instid0(VALU_DEP_3) | instskip(SKIP_3) | instid1(VALU_DEP_4)
	v_pack_b32_f16 v98, v99, v98
	v_lshrrev_b32_e32 v99, 16, v96
	v_bfe_u32 v96, v96, 24, 4
	v_cvt_f16_u16_e32 v22, v22
	v_pk_fma_f16 v93, v102, v98, v102 op_sel:[0,0,1] op_sel_hi:[0,1,1]
	s_delay_alu instid0(VALU_DEP_4) | instskip(NEXT) | instid1(VALU_DEP_4)
	v_and_b32_e32 v99, 15, v99
	v_cvt_f16_u16_e32 v96, v96
	s_delay_alu instid0(VALU_DEP_4)
	v_pack_b32_f16 v22, v92, v22
	v_lshrrev_b32_e32 v92, 16, v21
	v_bfe_u32 v21, v21, 24, 4
	v_pk_fma_f16 v19, v23, v93, v19 op_sel_hi:[0,1,1]
	v_cvt_f16_u16_e32 v99, v99
	v_pk_fma_f16 v22, v97, v22, v97 op_sel:[0,0,1] op_sel_hi:[0,1,1]
	v_and_b32_e32 v92, 15, v92
	v_cvt_f16_u16_e32 v21, v21
	s_delay_alu instid0(VALU_DEP_4) | instskip(NEXT) | instid1(VALU_DEP_4)
	v_pack_b32_f16 v96, v99, v96
	v_pk_fma_f16 v18, v23, v22, v18 op_sel_hi:[0,1,1]
	s_delay_alu instid0(VALU_DEP_4) | instskip(SKIP_1) | instid1(VALU_DEP_4)
	v_cvt_f16_u16_e32 v92, v92
	v_ashrrev_i32_e32 v22, v89, v104
	v_pk_fma_f16 v95, v102, v96, v102 op_sel:[0,0,1] op_sel_hi:[0,1,1]
	s_delay_alu instid0(VALU_DEP_3) | instskip(NEXT) | instid1(VALU_DEP_3)
	v_pack_b32_f16 v21, v92, v21
	v_lshrrev_b32_e32 v92, 8, v22
	v_and_b32_e32 v93, 15, v22
	s_delay_alu instid0(VALU_DEP_4) | instskip(NEXT) | instid1(VALU_DEP_4)
	v_pk_fma_f16 v17, v23, v95, v17 op_sel_hi:[0,1,1]
	v_pk_fma_f16 v21, v97, v21, v97 op_sel:[0,0,1] op_sel_hi:[0,1,1]
	s_delay_alu instid0(VALU_DEP_4) | instskip(NEXT) | instid1(VALU_DEP_4)
	v_and_b32_e32 v92, 15, v92
	v_cvt_f16_u16_e32 v93, v93
	s_delay_alu instid0(VALU_DEP_3) | instskip(NEXT) | instid1(VALU_DEP_3)
	v_pk_fma_f16 v20, v23, v21, v20 op_sel_hi:[0,1,1]
	v_cvt_f16_u16_e32 v92, v92
	s_delay_alu instid0(VALU_DEP_1) | instskip(SKIP_2) | instid1(VALU_DEP_3)
	v_pack_b32_f16 v92, v93, v92
	v_lshrrev_b32_e32 v93, 16, v22
	v_bfe_u32 v22, v22, 24, 4
	v_pk_fma_f16 v21, v109, v92, v109 op_sel:[0,0,1] op_sel_hi:[0,1,1]
	s_delay_alu instid0(VALU_DEP_3) | instskip(NEXT) | instid1(VALU_DEP_3)
	v_and_b32_e32 v93, 15, v93
	v_cvt_f16_u16_e32 v22, v22
	s_delay_alu instid0(VALU_DEP_3) | instskip(NEXT) | instid1(VALU_DEP_3)
	v_pk_fma_f16 v96, v23, v21, v19 op_sel:[1,0,0]
	v_cvt_f16_u16_e32 v93, v93
	s_delay_alu instid0(VALU_DEP_1) | instskip(SKIP_1) | instid1(VALU_DEP_2)
	v_pack_b32_f16 v22, v93, v22
	v_ashrrev_i32_e32 v93, v89, v94
	v_pk_fma_f16 v22, v109, v22, v109 op_sel:[0,0,1] op_sel_hi:[0,1,1]
	s_delay_alu instid0(VALU_DEP_2) | instskip(SKIP_1) | instid1(VALU_DEP_2)
	v_lshrrev_b32_e32 v94, 8, v93
	v_and_b32_e32 v95, 15, v93
	v_and_b32_e32 v94, 15, v94
	s_delay_alu instid0(VALU_DEP_2) | instskip(NEXT) | instid1(VALU_DEP_2)
	v_cvt_f16_u16_e32 v95, v95
	v_cvt_f16_u16_e32 v94, v94
	s_delay_alu instid0(VALU_DEP_1) | instskip(SKIP_2) | instid1(VALU_DEP_2)
	v_pack_b32_f16 v94, v95, v94
	v_lshrrev_b32_e32 v95, 16, v93
	v_bfe_u32 v93, v93, 24, 4
	v_and_b32_e32 v95, 15, v95
	s_delay_alu instid0(VALU_DEP_2) | instskip(NEXT) | instid1(VALU_DEP_2)
	v_cvt_f16_u16_e32 v93, v93
	v_cvt_f16_u16_e32 v95, v95
	s_delay_alu instid0(VALU_DEP_1) | instskip(SKIP_3) | instid1(VALU_DEP_3)
	v_pack_b32_f16 v93, v95, v93
	v_pk_fma_f16 v95, v23, v22, v17 op_sel:[1,0,0]
	s_waitcnt vmcnt(0)
	v_pk_fma_f16 v94, v16, v94, v16 op_sel:[0,0,1] op_sel_hi:[0,1,1]
	v_pk_fma_f16 v16, v16, v93, v16 op_sel:[0,0,1] op_sel_hi:[0,1,1]
	s_delay_alu instid0(VALU_DEP_2) | instskip(NEXT) | instid1(VALU_DEP_2)
	v_pk_fma_f16 v94, v23, v94, v18 op_sel:[1,0,0]
	v_pk_fma_f16 v93, v23, v16, v20 op_sel:[1,0,0]
	s_clause 0x6
	scratch_load_b32 v16, off, off offset:504
	scratch_load_b32 v17, off, off offset:548
	;; [unrolled: 1-line block ×7, first 2 shown]
	s_waitcnt vmcnt(5)
	v_fmac_f32_e32 v90, v16, v17
	scratch_load_b32 v16, off, off          ; 4-byte Folded Reload
	s_waitcnt vmcnt(0)
	v_add_co_u32 v16, vcc_lo, v16, s8
	scratch_store_b32 off, v16, off         ; 4-byte Folded Spill
	scratch_load_b32 v16, off, off offset:4 ; 4-byte Folded Reload
	s_waitcnt vmcnt(0)
	v_add_co_ci_u32_e32 v16, vcc_lo, 0, v16, vcc_lo
	v_add_co_u32 v86, vcc_lo, v86, s4
	v_add_co_ci_u32_e32 v87, vcc_lo, s5, v87, vcc_lo
	v_add_co_u32 v151, vcc_lo, v151, s9
	;; [unrolled: 2-line block ×6, first 2 shown]
	v_add_co_ci_u32_e32 v143, vcc_lo, 0, v143, vcc_lo
	s_clause 0x1
	scratch_store_b32 off, v16, off offset:4
	scratch_store_b32 off, v142, off offset:124
	scratch_load_b32 v142, off, off offset:332 ; 4-byte Folded Reload
	scratch_store_b32 off, v143, off offset:128 ; 4-byte Folded Spill
	scratch_load_b32 v143, off, off offset:328 ; 4-byte Folded Reload
	s_waitcnt vmcnt(0)
	v_add_co_u32 v143, vcc_lo, v143, s8
	v_add_co_ci_u32_e32 v142, vcc_lo, 0, v142, vcc_lo
	v_add_co_u32 v129, vcc_lo, v129, s8
	v_add_co_ci_u32_e32 v130, vcc_lo, 0, v130, vcc_lo
	;; [unrolled: 2-line block ×4, first 2 shown]
	s_clause 0x3
	scratch_store_b32 off, v144, off offset:132
	scratch_store_b32 off, v145, off offset:136
	;; [unrolled: 1-line block ×4, first 2 shown]
	scratch_load_b32 v147, off, off offset:300 ; 4-byte Folded Reload
	s_waitcnt vmcnt(0)
	v_add_co_u32 v147, vcc_lo, v147, s9
	v_add_co_ci_u32_e32 v146, vcc_lo, 0, v148, vcc_lo
	v_add_co_u32 v149, vcc_lo, v149, s9
	v_add_co_ci_u32_e32 v150, vcc_lo, 0, v150, vcc_lo
	scratch_store_b32 off, v149, off offset:148 ; 4-byte Folded Spill
	scratch_load_b32 v149, off, off offset:544 ; 4-byte Folded Reload
	s_waitcnt vmcnt(0)
	v_add_co_u32 v149, vcc_lo, v149, s9
	v_add_co_ci_u32_e32 v152, vcc_lo, 0, v152, vcc_lo
	v_add_co_u32 v153, vcc_lo, v153, s9
	scratch_store_b32 off, v150, off offset:152 ; 4-byte Folded Spill
	v_add_co_ci_u32_e32 v154, vcc_lo, 0, v154, vcc_lo
	scratch_store_b32 off, v153, off offset:156 ; 4-byte Folded Spill
	scratch_load_b32 v153, off, off offset:540 ; 4-byte Folded Reload
	scratch_store_b32 off, v154, off offset:160 ; 4-byte Folded Spill
	scratch_load_b32 v154, off, off offset:536 ; 4-byte Folded Reload
	s_waitcnt vmcnt(1)
	v_add_co_u32 v153, vcc_lo, v153, s9
	s_waitcnt vmcnt(0)
	v_add_co_ci_u32_e32 v154, vcc_lo, 0, v154, vcc_lo
	v_add_co_u32 v127, vcc_lo, v127, s8
	v_add_co_ci_u32_e32 v131, vcc_lo, 0, v131, vcc_lo
	v_add_co_u32 v111, vcc_lo, v111, s9
	;; [unrolled: 2-line block ×17, first 2 shown]
	v_add_co_ci_u32_e32 v158, vcc_lo, 0, v158, vcc_lo
	s_clause 0x3
	scratch_store_b32 off, v166, off offset:208
	scratch_store_b32 off, v168, off offset:196
	;; [unrolled: 1-line block ×4, first 2 shown]
	v_mov_b32_e32 v158, v241
	v_dual_mov_b32 v168, v209 :: v_dual_mov_b32 v209, v211
	v_dual_mov_b32 v211, v212 :: v_dual_mov_b32 v212, v213
	s_delay_alu instid0(VALU_DEP_3) | instskip(NEXT) | instid1(VALU_DEP_3)
	v_add_co_u32 v158, vcc_lo, v158, s9
	v_add_co_ci_u32_e32 v168, vcc_lo, 0, v168, vcc_lo
	v_add_co_u32 v172, vcc_lo, v172, s9
	v_add_co_ci_u32_e32 v8, vcc_lo, 0, v8, vcc_lo
	;; [unrolled: 2-line block ×12, first 2 shown]
	s_clause 0x1
	scratch_store_b32 off, v188, off offset:292
	scratch_store_b32 off, v155, off offset:296
	v_add_co_u32 v188, vcc_lo, v194, s9
	s_clause 0x3
	scratch_store_b32 off, v6, off offset:212
	scratch_store_b32 off, v172, off offset:216
	;; [unrolled: 1-line block ×4, first 2 shown]
	v_add_co_ci_u32_e32 v172, vcc_lo, 0, v195, vcc_lo
	s_clause 0x7
	scratch_store_b32 off, v170, off offset:228
	scratch_store_b32 off, v10, off offset:232
	;; [unrolled: 1-line block ×8, first 2 shown]
	v_add_co_u32 v184, vcc_lo, v196, s9
	v_add_co_ci_u32_e32 v193, vcc_lo, 0, v193, vcc_lo
	v_add_co_u32 v197, vcc_lo, v197, s9
	v_add_co_ci_u32_e32 v198, vcc_lo, 0, v198, vcc_lo
	;; [unrolled: 2-line block ×4, first 2 shown]
	s_clause 0x6
	scratch_store_b32 off, v181, off offset:264
	scratch_store_b32 off, v56, off offset:268
	;; [unrolled: 1-line block ×7, first 2 shown]
	v_add_co_u32 v190, vcc_lo, v204, s9
	v_add_co_ci_u32_e32 v192, vcc_lo, 0, v192, vcc_lo
	v_add_co_u32 v202, vcc_lo, v206, s9
	v_add_co_ci_u32_e32 v205, vcc_lo, 0, v205, vcc_lo
	;; [unrolled: 2-line block ×3, first 2 shown]
	v_add_co_u32 v209, vcc_lo, v209, s9
	v_mov_b32_e32 v213, v214
	v_add_co_ci_u32_e32 v210, vcc_lo, 0, v210, vcc_lo
	v_mov_b32_e32 v214, v215
	v_add_co_u32 v211, vcc_lo, v211, s9
	v_mov_b32_e32 v215, v249
	v_add_co_ci_u32_e32 v212, vcc_lo, 0, v212, vcc_lo
	v_add_co_u32 v213, vcc_lo, v213, s9
	v_add_co_ci_u32_e32 v214, vcc_lo, 0, v214, vcc_lo
	s_delay_alu instid0(VALU_DEP_4)
	v_add_co_u32 v215, vcc_lo, v215, s9
	v_add_co_ci_u32_e32 v208, vcc_lo, 0, v217, vcc_lo
	v_add_co_u32 v216, vcc_lo, v216, s9
	v_add_co_ci_u32_e32 v206, vcc_lo, 0, v219, vcc_lo
	;; [unrolled: 2-line block ×16, first 2 shown]
	v_add_co_u32 v244, vcc_lo, v248, s9
	v_mov_b32_e32 v219, v64
	v_add_co_ci_u32_e32 v218, vcc_lo, 0, v218, vcc_lo
	v_add_co_u32 v246, vcc_lo, v250, s9
	v_add_co_ci_u32_e32 v249, vcc_lo, 0, v251, vcc_lo
	s_delay_alu instid0(VALU_DEP_4)
	v_add_co_u32 v219, vcc_lo, v219, s9
	v_add_co_ci_u32_e32 v252, vcc_lo, 0, v252, vcc_lo
	v_add_co_u32 v250, vcc_lo, v254, s9
	v_add_co_ci_u32_e32 v253, vcc_lo, 0, v253, vcc_lo
	;; [unrolled: 2-line block ×4, first 2 shown]
	v_add_co_u32 v247, vcc_lo, v60, s9
	scratch_load_b32 v60, off, off offset:304 ; 4-byte Folded Reload
	v_add_co_ci_u32_e32 v248, vcc_lo, 0, v66, vcc_lo
	v_mov_b32_e32 v155, v0
	scratch_load_b32 v0, off, off offset:456 ; 4-byte Folded Reload
	v_dual_mov_b32 v64, v29 :: v_dual_mov_b32 v29, v36
	v_dual_mov_b32 v36, v39 :: v_dual_mov_b32 v39, v45
	v_mov_b32_e32 v45, v47
	s_clause 0x8
	scratch_store_b32 off, v157, off offset:164
	scratch_store_b32 off, v160, off offset:168
	;; [unrolled: 1-line block ×9, first 2 shown]
	v_mov_b32_e32 v6, v79
	v_dual_mov_b32 v10, v82 :: v_dual_mov_b32 v11, v83
	s_waitcnt vmcnt(1)
	v_add_co_u32 v60, vcc_lo, v60, s9
	v_add_co_ci_u32_e32 v59, vcc_lo, 0, v67, vcc_lo
	v_add_co_u32 v58, vcc_lo, v68, s9
	v_add_co_ci_u32_e32 v66, vcc_lo, 0, v69, vcc_lo
	;; [unrolled: 2-line block ×3, first 2 shown]
	v_add_co_u32 v69, vcc_lo, v61, s9
	scratch_load_b32 v61, off, off offset:308 ; 4-byte Folded Reload
	v_add_co_ci_u32_e32 v243, vcc_lo, 0, v70, vcc_lo
	s_waitcnt vmcnt(0)
	v_add_co_u32 v61, vcc_lo, v61, s9
	v_add_co_ci_u32_e32 v70, vcc_lo, 0, v24, vcc_lo
	scratch_load_b32 v24, off, off offset:312 ; 4-byte Folded Reload
	v_add_co_u32 v64, vcc_lo, v64, s9
	v_add_co_ci_u32_e32 v25, vcc_lo, 0, v25, vcc_lo
	v_add_co_u32 v65, vcc_lo, v27, s9
	scratch_load_b32 v27, off, off offset:320 ; 4-byte Folded Reload
	v_add_co_ci_u32_e32 v63, vcc_lo, 0, v28, vcc_lo
	scratch_load_b32 v28, off, off offset:316 ; 4-byte Folded Reload
	v_add_co_u32 v26, vcc_lo, v26, s9
	v_add_co_ci_u32_e32 v29, vcc_lo, 0, v29, vcc_lo
	v_add_co_u32 v30, vcc_lo, v30, s9
	v_add_co_ci_u32_e32 v31, vcc_lo, 0, v31, vcc_lo
	v_add_co_u32 v32, vcc_lo, v32, s9
	v_add_co_ci_u32_e32 v33, vcc_lo, 0, v33, vcc_lo
	v_add_co_u32 v34, vcc_lo, v34, s9
	v_add_co_ci_u32_e32 v35, vcc_lo, 0, v35, vcc_lo
	v_add_co_u32 v36, vcc_lo, v36, s9
	v_add_co_ci_u32_e32 v37, vcc_lo, 0, v37, vcc_lo
	v_add_co_u32 v38, vcc_lo, v38, s9
	v_add_co_ci_u32_e32 v39, vcc_lo, 0, v39, vcc_lo
	s_waitcnt vmcnt(2)
	v_add_co_u32 v24, vcc_lo, v24, s9
	v_add_co_ci_u32_e32 v40, vcc_lo, 0, v40, vcc_lo
	v_add_co_u32 v41, vcc_lo, v41, s9
	v_add_co_ci_u32_e32 v42, vcc_lo, 0, v42, vcc_lo
	;; [unrolled: 2-line block ×4, first 2 shown]
	s_waitcnt vmcnt(0)
	v_add_co_u32 v28, vcc_lo, v28, s9
	v_add_co_ci_u32_e32 v27, vcc_lo, 0, v27, vcc_lo
	v_add_co_u32 v47, vcc_lo, v48, s9
	v_add_co_ci_u32_e32 v157, vcc_lo, 0, v159, vcc_lo
	v_add_co_u32 v49, vcc_lo, v50, s9
	scratch_load_b32 v50, off, off offset:324 ; 4-byte Folded Reload
	v_add_co_ci_u32_e32 v165, vcc_lo, 0, v51, vcc_lo
	s_waitcnt vmcnt(0)
	v_add_co_u32 v50, vcc_lo, v50, s9
	v_add_co_ci_u32_e32 v51, vcc_lo, 0, v52, vcc_lo
	v_add_co_u32 v159, vcc_lo, v53, s9
	v_add_co_ci_u32_e32 v48, vcc_lo, 0, v54, vcc_lo
	;; [unrolled: 2-line block ×5, first 2 shown]
	scratch_load_b32 v162, off, off offset:428 ; 4-byte Folded Reload
	v_add_co_u32 v4, vcc_lo, v5, s9
	scratch_load_b32 v1, off, off offset:460 ; 4-byte Folded Reload
	v_add_co_ci_u32_e32 v160, vcc_lo, 0, v167, vcc_lo
	s_clause 0x3
	scratch_load_b32 v167, off, off offset:432
	scratch_load_b32 v2, off, off offset:464
	;; [unrolled: 1-line block ×4, first 2 shown]
	s_waitcnt vmcnt(5)
	v_add_co_u32 v162, vcc_lo, v162, s9
	s_waitcnt vmcnt(3)
	v_add_co_ci_u32_e32 v167, vcc_lo, 0, v167, vcc_lo
	v_add_co_u32 v5, vcc_lo, v9, s9
	v_add_co_ci_u32_e32 v163, vcc_lo, 0, v173, vcc_lo
	scratch_load_b32 v173, off, off offset:436 ; 4-byte Folded Reload
	s_waitcnt vmcnt(0)
	v_add_co_u32 v173, vcc_lo, v173, s9
	v_add_co_ci_u32_e32 v8, vcc_lo, 0, v12, vcc_lo
	v_add_co_u32 v169, vcc_lo, v175, s9
	scratch_load_b32 v175, off, off offset:444 ; 4-byte Folded Reload
	v_add_co_ci_u32_e32 v170, vcc_lo, 0, v171, vcc_lo
	scratch_load_b32 v171, off, off offset:440 ; 4-byte Folded Reload
	s_waitcnt vmcnt(0)
	v_add_co_u32 v171, vcc_lo, v171, s9
	v_add_co_ci_u32_e32 v175, vcc_lo, 0, v175, vcc_lo
	v_add_co_u32 v9, vcc_lo, v14, s9
	v_add_co_ci_u32_e32 v174, vcc_lo, 0, v178, vcc_lo
	s_clause 0x1
	scratch_load_b32 v178, off, off offset:448
	scratch_load_b32 v14, off, off offset:476
	s_waitcnt vmcnt(1)
	v_add_co_u32 v178, vcc_lo, v178, s9
	v_add_co_ci_u32_e32 v13, vcc_lo, 0, v57, vcc_lo
	v_add_co_u32 v12, vcc_lo, v15, s9
	scratch_load_b32 v15, off, off offset:480 ; 4-byte Folded Reload
	v_add_co_ci_u32_e32 v180, vcc_lo, 0, v177, vcc_lo
	scratch_load_b32 v177, off, off offset:452 ; 4-byte Folded Reload
	s_waitcnt vmcnt(0)
	v_add_co_u32 v177, vcc_lo, v177, s9
	v_add_co_ci_u32_e32 v71, vcc_lo, 0, v72, vcc_lo
	v_add_co_u32 v166, vcc_lo, v185, s9
	v_add_co_ci_u32_e32 v73, vcc_lo, 0, v74, vcc_lo
	;; [unrolled: 2-line block ×13, first 2 shown]
	s_clause 0x1
	scratch_load_b32 v80, off, off offset:488
	scratch_load_b32 v88, off, off offset:484
	v_add_co_u32 v79, vcc_lo, v182, s9
	s_clause 0x6
	scratch_load_b32 v182, off, off offset:492
	scratch_load_b32 v84, off, off offset:532
	;; [unrolled: 1-line block ×7, first 2 shown]
	s_waitcnt vmcnt(5)
	v_add_co_ci_u32_e32 v84, vcc_lo, 0, v84, vcc_lo
	v_add_co_u32 v88, vcc_lo, v88, s9
	s_waitcnt vmcnt(4)
	v_add_co_ci_u32_e32 v141, vcc_lo, 0, v141, vcc_lo
	s_waitcnt vmcnt(3)
	v_add_co_u32 v83, vcc_lo, v83, s9
	v_add_co_ci_u32_e32 v80, vcc_lo, 0, v80, vcc_lo
	s_waitcnt vmcnt(2)
	v_add_co_u32 v181, vcc_lo, v181, s9
	v_add_co_ci_u32_e32 v182, vcc_lo, 0, v182, vcc_lo
	v_add_co_u32 v179, vcc_lo, v187, s9
	scratch_load_b32 v187, off, off offset:500 ; 4-byte Folded Reload
	v_add_co_ci_u32_e32 v191, vcc_lo, 0, v191, vcc_lo
	s_waitcnt vmcnt(1)
	v_add_co_u32 v176, vcc_lo, v176, s9
	s_waitcnt vmcnt(0)
	v_add_co_ci_u32_e32 v187, vcc_lo, 0, v187, vcc_lo
	v_add_co_u32 v186, vcc_lo, v186, s9
	v_add_co_ci_u32_e32 v155, vcc_lo, 0, v155, vcc_lo
	s_cbranch_scc1 .LBB23_21
; %bb.20:                               ;   in Loop: Header=BB23_15 Depth=1
	s_clause 0x19
	scratch_store_b32 off, v133, off offset:424
	scratch_store_b32 off, v132, off offset:420
	;; [unrolled: 1-line block ×26, first 2 shown]
	scratch_load_b32 v18, off, off offset:508 ; 4-byte Folded Reload
	v_mov_b32_e32 v144, v96
	scratch_store_b32 off, v90, off offset:504 ; 4-byte Folded Spill
	s_branch .LBB23_15
.LBB23_21:
	s_clause 0x4
	scratch_load_b32 v32, off, off offset:660
	scratch_load_b32 v33, off, off offset:664
	;; [unrolled: 1-line block ×5, first 2 shown]
.LBB23_22:
	s_waitcnt vmcnt(4)
	v_or_b32_e32 v0, s14, v32
	s_cmp_lg_u64 s[72:73], 0
	s_cselect_b32 s3, -1, 0
	s_delay_alu instid0(VALU_DEP_1) | instskip(SKIP_1) | instid1(SALU_CYCLE_1)
	v_cmp_eq_u32_e32 vcc_lo, 0, v0
	s_and_b32 s4, vcc_lo, s3
	s_and_saveexec_b32 s3, s4
	s_cbranch_execz .LBB23_24
; %bb.23:
	s_lshl_b64 s[4:5], s[86:87], 2
	s_waitcnt vmcnt(0)
	v_max_f32_e32 v0, v26, v26
	s_add_u32 s4, s72, s4
	s_addc_u32 s5, s73, s5
	s_load_b32 s4, s[4:5], 0x0
	s_waitcnt lgkmcnt(0)
	v_max_f32_e64 v1, s4, s4
	s_delay_alu instid0(VALU_DEP_1) | instskip(NEXT) | instid1(VALU_DEP_1)
	v_max_f32_e32 v0, v1, v0
	v_sub_f32_e32 v1, s4, v0
	s_delay_alu instid0(VALU_DEP_1) | instskip(NEXT) | instid1(VALU_DEP_1)
	v_mul_f32_e32 v3, 0x3fb8aa3b, v1
	v_fma_f32 v5, 0x3fb8aa3b, v1, -v3
	v_rndne_f32_e32 v6, v3
	s_delay_alu instid0(VALU_DEP_2) | instskip(NEXT) | instid1(VALU_DEP_2)
	v_dual_fmac_f32 v5, 0x32a5705f, v1 :: v_dual_sub_f32 v2, v26, v0
	v_dual_sub_f32 v3, v3, v6 :: v_dual_mov_b32 v26, v0
	s_delay_alu instid0(VALU_DEP_2) | instskip(SKIP_1) | instid1(VALU_DEP_2)
	v_mul_f32_e32 v4, 0x3fb8aa3b, v2
	v_cmp_ngt_f32_e32 vcc_lo, 0xc2ce8ed0, v1
	v_fma_f32 v7, 0x3fb8aa3b, v2, -v4
	v_rndne_f32_e32 v8, v4
	s_delay_alu instid0(VALU_DEP_1) | instskip(SKIP_3) | instid1(VALU_DEP_4)
	v_dual_fmac_f32 v7, 0x32a5705f, v2 :: v_dual_sub_f32 v4, v4, v8
	v_add_f32_e32 v3, v3, v5
	v_cvt_i32_f32_e32 v5, v6
	v_cvt_i32_f32_e32 v6, v8
	v_add_f32_e32 v4, v4, v7
	s_delay_alu instid0(VALU_DEP_4) | instskip(NEXT) | instid1(VALU_DEP_1)
	v_exp_f32_e32 v3, v3
	v_exp_f32_e32 v4, v4
	s_waitcnt_depctr 0xfff
	v_ldexp_f32 v3, v3, v5
	v_ldexp_f32 v4, v4, v6
	s_delay_alu instid0(VALU_DEP_2) | instskip(SKIP_1) | instid1(VALU_DEP_3)
	v_cndmask_b32_e32 v3, 0, v3, vcc_lo
	v_cmp_ngt_f32_e32 vcc_lo, 0xc2ce8ed0, v2
	v_cndmask_b32_e32 v4, 0, v4, vcc_lo
	v_cmp_nlt_f32_e32 vcc_lo, 0x42b17218, v1
	s_delay_alu instid0(VALU_DEP_4) | instskip(SKIP_1) | instid1(VALU_DEP_4)
	v_cndmask_b32_e32 v1, 0x7f800000, v3, vcc_lo
	v_cmp_nlt_f32_e32 vcc_lo, 0x42b17218, v2
	v_cndmask_b32_e32 v2, 0x7f800000, v4, vcc_lo
	v_cmp_eq_u32_e32 vcc_lo, 0, v33
	s_delay_alu instid0(VALU_DEP_2) | instskip(SKIP_1) | instid1(VALU_DEP_2)
	v_cvt_f16_f32_e32 v3, v2
	v_cndmask_b32_e32 v1, 0, v1, vcc_lo
	v_pk_mul_f16 v96, v3, v96 op_sel_hi:[0,1]
	s_delay_alu instid0(VALU_DEP_2) | instskip(SKIP_3) | instid1(VALU_DEP_4)
	v_fmac_f32_e32 v1, v90, v2
	v_pk_mul_f16 v95, v3, v95 op_sel_hi:[0,1]
	v_pk_mul_f16 v94, v3, v94 op_sel_hi:[0,1]
	;; [unrolled: 1-line block ×3, first 2 shown]
	v_mov_b32_e32 v90, v1
.LBB23_24:
	s_or_b32 exec_lo, exec_lo, s3
	s_and_saveexec_b32 s3, s2
	s_cbranch_execz .LBB23_26
; %bb.25:
	v_dual_mov_b32 v0, 0xfeffffff :: v_dual_mov_b32 v1, 0
	s_waitcnt vmcnt(1)
	v_add_nc_u32_e32 v2, 0x800, v15
	ds_store_2addr_b32 v2, v0, v1 offset1:32
.LBB23_26:
	s_or_b32 exec_lo, exec_lo, s3
	s_waitcnt vmcnt(3)
	v_cmp_eq_u32_e32 vcc_lo, 0, v33
	v_lshlrev_b32_e32 v2, 2, v32
	s_waitcnt vmcnt(0) lgkmcnt(0)
	s_waitcnt_vscnt null, 0x0
	s_barrier
	buffer_gl0_inv
	s_and_saveexec_b32 s2, vcc_lo
	s_cbranch_execz .LBB23_28
; %bb.27:
	ds_store_b32 v2, v26 offset:2048
.LBB23_28:
	s_or_b32 exec_lo, exec_lo, s2
	v_mbcnt_lo_u32_b32 v8, -1, 0
	s_waitcnt lgkmcnt(0)
	s_barrier
	buffer_gl0_inv
	ds_load_b32 v0, v15 offset:2048
	v_xor_b32_e32 v1, 16, v8
	v_xor_b32_e32 v4, 8, v8
	;; [unrolled: 1-line block ×5, first 2 shown]
	v_cmp_gt_i32_e64 s2, 32, v1
	v_lshlrev_b32_e32 v13, 3, v33
	s_delay_alu instid0(VALU_DEP_2) | instskip(SKIP_1) | instid1(VALU_DEP_3)
	v_cndmask_b32_e64 v1, v8, v1, s2
	v_cmp_gt_i32_e64 s2, 32, v4
	v_lshl_add_u32 v13, v32, 9, v13
	s_delay_alu instid0(VALU_DEP_3) | instskip(NEXT) | instid1(VALU_DEP_3)
	v_lshlrev_b32_e32 v3, 2, v1
	v_cndmask_b32_e64 v4, v8, v4, s2
	v_cmp_gt_i32_e64 s2, 32, v5
	s_waitcnt lgkmcnt(0)
	ds_bpermute_b32 v1, v3, v0
	v_max_f32_e32 v0, v0, v0
	v_cndmask_b32_e64 v5, v8, v5, s2
	v_cmp_gt_i32_e64 s2, 32, v6
	v_lshlrev_b32_e32 v4, 2, v4
	s_delay_alu instid0(VALU_DEP_3) | instskip(NEXT) | instid1(VALU_DEP_3)
	v_lshlrev_b32_e32 v5, 2, v5
	v_cndmask_b32_e64 v6, v8, v6, s2
	v_cmp_gt_i32_e64 s2, 32, v7
	s_delay_alu instid0(VALU_DEP_2) | instskip(NEXT) | instid1(VALU_DEP_2)
	v_lshlrev_b32_e32 v6, 2, v6
	v_cndmask_b32_e64 v7, v8, v7, s2
	s_waitcnt lgkmcnt(0)
	v_max_f32_e32 v1, v1, v1
	s_delay_alu instid0(VALU_DEP_1) | instskip(SKIP_3) | instid1(VALU_DEP_1)
	v_max_f32_e32 v0, v0, v1
	ds_bpermute_b32 v1, v4, v0
	s_waitcnt lgkmcnt(0)
	v_max_f32_e32 v1, v1, v1
	v_max_f32_e32 v0, v0, v1
	ds_bpermute_b32 v1, v5, v0
	s_waitcnt lgkmcnt(0)
	v_max_f32_e32 v1, v1, v1
	s_delay_alu instid0(VALU_DEP_1) | instskip(SKIP_3) | instid1(VALU_DEP_1)
	v_max_f32_e32 v0, v0, v1
	ds_bpermute_b32 v1, v6, v0
	s_waitcnt lgkmcnt(0)
	v_dual_max_f32 v8, v1, v1 :: v_dual_lshlrev_b32 v1, 2, v7
	v_max_f32_e32 v0, v0, v8
	ds_bpermute_b32 v7, v1, v0
	s_waitcnt lgkmcnt(0)
	v_max_f32_e32 v7, v7, v7
	s_delay_alu instid0(VALU_DEP_1) | instskip(NEXT) | instid1(VALU_DEP_1)
	v_max_f32_e32 v0, v0, v7
	v_sub_f32_e32 v7, v26, v0
	s_delay_alu instid0(VALU_DEP_1) | instskip(SKIP_1) | instid1(VALU_DEP_2)
	v_mul_f32_e32 v8, 0x3fb8aa3b, v7
	v_cmp_ngt_f32_e64 s2, 0xc2ce8ed0, v7
	v_fma_f32 v9, 0x3fb8aa3b, v7, -v8
	v_rndne_f32_e32 v10, v8
	s_delay_alu instid0(VALU_DEP_1) | instskip(NEXT) | instid1(VALU_DEP_1)
	v_dual_fmamk_f32 v9, v7, 0x32a5705f, v9 :: v_dual_sub_f32 v8, v8, v10
	v_add_f32_e32 v8, v8, v9
	v_cvt_i32_f32_e32 v9, v10
	s_delay_alu instid0(VALU_DEP_2) | instskip(SKIP_2) | instid1(VALU_DEP_1)
	v_exp_f32_e32 v8, v8
	s_waitcnt_depctr 0xfff
	v_ldexp_f32 v8, v8, v9
	v_cndmask_b32_e64 v8, 0, v8, s2
	v_cmp_nlt_f32_e64 s2, 0x42b17218, v7
	s_delay_alu instid0(VALU_DEP_1) | instskip(NEXT) | instid1(VALU_DEP_1)
	v_cndmask_b32_e64 v9, 0x7f800000, v8, s2
	v_mul_f32_e32 v7, v90, v9
	v_cvt_f16_f32_e32 v12, v9
	ds_bpermute_b32 v7, v3, v7
	v_pk_mul_f16 v10, v12, v95 op_sel_hi:[0,1]
	v_pk_mul_f16 v11, v12, v94 op_sel_hi:[0,1]
	s_waitcnt lgkmcnt(0)
	v_fmac_f32_e32 v7, v90, v9
	v_pk_mul_f16 v9, v12, v96 op_sel_hi:[0,1]
	v_pk_mul_f16 v12, v12, v93 op_sel_hi:[0,1]
	ds_bpermute_b32 v8, v4, v7
	ds_store_2addr_b64 v13, v[9:10], v[11:12] offset1:32
	s_waitcnt lgkmcnt(1)
	v_add_f32_e32 v7, v7, v8
	ds_bpermute_b32 v8, v5, v7
	s_waitcnt lgkmcnt(0)
	v_add_f32_e32 v7, v7, v8
	ds_bpermute_b32 v8, v6, v7
	;; [unrolled: 3-line block ×3, first 2 shown]
	s_and_saveexec_b32 s2, vcc_lo
	s_cbranch_execz .LBB23_30
; %bb.29:
	s_waitcnt lgkmcnt(0)
	v_add_f32_e32 v7, v7, v8
	ds_store_b32 v2, v7 offset:2176
.LBB23_30:
	s_or_b32 exec_lo, exec_lo, s2
	s_waitcnt lgkmcnt(0)
	s_barrier
	buffer_gl0_inv
	scratch_load_b32 v10, off, off offset:556 ; 4-byte Folded Reload
	ds_load_b32 v2, v15 offset:2176
	s_mul_i32 s2, s94, s84
	s_waitcnt lgkmcnt(0)
	ds_bpermute_b32 v3, v3, v2
	s_waitcnt lgkmcnt(0)
	v_add_f32_e32 v2, v2, v3
	ds_bpermute_b32 v3, v4, v2
	s_waitcnt lgkmcnt(0)
	v_add_f32_e32 v2, v2, v3
	;; [unrolled: 3-line block ×3, first 2 shown]
	ds_bpermute_b32 v3, v6, v2
	s_waitcnt vmcnt(0)
	ds_load_u16 v4, v10
	ds_load_u16 v5, v10 offset:512
	ds_load_u16 v6, v10 offset:1024
	;; [unrolled: 1-line block ×5, first 2 shown]
	s_waitcnt lgkmcnt(6)
	v_add_f32_e32 v2, v2, v3
	ds_load_u16 v3, v10 offset:768
	ds_load_u16 v10, v10 offset:256
	s_load_b32 s3, s[0:1], 0xd4
	ds_bpermute_b32 v1, v1, v2
	s_waitcnt lgkmcnt(0)
	v_cvt_f32_f16_e32 v4, v4
	v_cvt_f32_f16_e32 v5, v5
	;; [unrolled: 1-line block ×3, first 2 shown]
	s_delay_alu instid0(VALU_DEP_3) | instskip(SKIP_3) | instid1(VALU_DEP_2)
	v_add_f32_e32 v4, 0, v4
	s_cmp_eq_u32 s3, 1
	s_cselect_b32 s1, -1, 0
	v_add_f32_e32 v1, v2, v1
	v_add_f32_e32 v4, v4, v5
	v_cvt_f32_f16_e32 v5, v8
	v_cvt_f32_f16_e32 v2, v3
	s_add_i32 s2, s2, s13
	s_delay_alu instid0(VALU_DEP_3) | instskip(SKIP_2) | instid1(SALU_CYCLE_1)
	v_add_f32_e32 v4, v4, v6
	v_cvt_f32_f16_e32 v6, v10
	s_mul_i32 s2, s2, s85
	s_add_i32 s2, s2, s86
	s_delay_alu instid0(VALU_DEP_1) | instskip(SKIP_3) | instid1(VALU_DEP_3)
	v_dual_add_f32 v8, v4, v5 :: v_dual_add_f32 v3, 0, v6
	v_cvt_f32_f16_e32 v5, v9
	v_cvt_f32_f16_e32 v6, v7
	s_mul_i32 s2, s3, s2
	v_div_scale_f32 v4, null, v1, v1, v8
	v_add_f32_e32 v2, v3, v2
	v_div_scale_f32 v7, vcc_lo, v8, v1, v8
	s_delay_alu instid0(VALU_DEP_3) | instskip(SKIP_1) | instid1(VALU_DEP_2)
	v_rcp_f32_e32 v3, v4
	s_add_i32 s2, s2, s14
	v_add_f32_e32 v2, v2, v5
	s_cmp_lg_u32 s3, 1
	s_mov_b32 s3, 0
	s_delay_alu instid0(VALU_DEP_1) | instskip(SKIP_3) | instid1(VALU_DEP_2)
	v_add_f32_e32 v6, v2, v6
	s_waitcnt_depctr 0xfff
	v_fma_f32 v2, -v4, v3, 1.0
	v_div_scale_f32 v5, null, v1, v1, v6
	v_fmac_f32_e32 v3, v2, v3
	s_delay_alu instid0(VALU_DEP_2) | instskip(NEXT) | instid1(VALU_DEP_1)
	v_rcp_f32_e32 v9, v5
	v_mul_f32_e32 v2, v7, v3
	s_delay_alu instid0(VALU_DEP_1) | instskip(SKIP_4) | instid1(VALU_DEP_3)
	v_fma_f32 v10, -v4, v2, v7
	s_waitcnt_depctr 0xfff
	v_fma_f32 v11, -v5, v9, 1.0
	v_fmac_f32_e32 v2, v10, v3
	v_div_scale_f32 v10, s0, v6, v1, v6
	v_fmac_f32_e32 v9, v11, v9
	s_delay_alu instid0(VALU_DEP_3) | instskip(NEXT) | instid1(VALU_DEP_2)
	v_fma_f32 v4, -v4, v2, v7
	v_mul_f32_e32 v7, v10, v9
	s_delay_alu instid0(VALU_DEP_2) | instskip(SKIP_1) | instid1(VALU_DEP_2)
	v_div_fmas_f32 v2, v4, v3, v2
	s_mov_b32 vcc_lo, s0
	v_fma_f32 v3, -v5, v7, v10
	s_delay_alu instid0(VALU_DEP_2) | instskip(SKIP_1) | instid1(VALU_DEP_3)
	v_div_fixup_f32 v11, v2, v1, v8
	v_lshl_or_b32 v2, s2, 8, v14
	v_fmac_f32_e32 v7, v3, v9
	v_mov_b32_e32 v3, 0
	s_delay_alu instid0(VALU_DEP_2) | instskip(NEXT) | instid1(VALU_DEP_1)
	v_fma_f32 v4, -v5, v7, v10
	v_div_fmas_f32 v7, v4, v9, v7
	s_delay_alu instid0(VALU_DEP_3) | instskip(SKIP_1) | instid1(VALU_DEP_3)
	v_lshlrev_b64 v[4:5], 2, v[2:3]
	v_cmp_eq_u32_e32 vcc_lo, 0, v14
	v_div_fixup_f32 v2, v7, v1, v6
	v_cndmask_b32_e64 v7, v8, v11, s1
	s_delay_alu instid0(VALU_DEP_4) | instskip(NEXT) | instid1(VALU_DEP_1)
	v_add_co_u32 v4, s0, s76, v4
	v_add_co_ci_u32_e64 v5, s0, s77, v5, s0
	s_delay_alu instid0(VALU_DEP_4)
	v_cndmask_b32_e64 v2, v6, v2, s1
	s_cselect_b32 s0, -1, 0
	s_clause 0x1
	global_store_b32 v[4:5], v7, off
	global_store_b32 v[4:5], v2, off offset:512
	s_and_b32 s0, vcc_lo, s0
	s_delay_alu instid0(SALU_CYCLE_1)
	s_and_saveexec_b32 s1, s0
	s_cbranch_execz .LBB23_32
; %bb.31:
	s_lshl_b64 s[0:1], s[2:3], 3
	s_delay_alu instid0(SALU_CYCLE_1)
	s_add_u32 s0, s78, s0
	s_addc_u32 s1, s79, s1
	global_store_b64 v3, v[0:1], s[0:1]
.LBB23_32:
	s_nop 0
	s_sendmsg sendmsg(MSG_DEALLOC_VGPRS)
	s_endpgm
	.section	.rodata,"a",@progbits
	.p2align	6, 0x0
	.amdhsa_kernel _ZL18flash_attn_ext_vecILi256ELi1EL9ggml_type3ELS0_3ELb0EEvPKcS2_S2_S2_S2_PKiPfP15HIP_vector_typeIfLj2EEffffjfiS6_IjLj3EEiiiiiiiiiiiliiliiiiil
		.amdhsa_group_segment_fixed_size 2304
		.amdhsa_private_segment_fixed_size 680
		.amdhsa_kernarg_size 464
		.amdhsa_user_sgpr_count 13
		.amdhsa_user_sgpr_dispatch_ptr 0
		.amdhsa_user_sgpr_queue_ptr 0
		.amdhsa_user_sgpr_kernarg_segment_ptr 1
		.amdhsa_user_sgpr_dispatch_id 0
		.amdhsa_user_sgpr_private_segment_size 0
		.amdhsa_wavefront_size32 1
		.amdhsa_uses_dynamic_stack 0
		.amdhsa_enable_private_segment 1
		.amdhsa_system_sgpr_workgroup_id_x 1
		.amdhsa_system_sgpr_workgroup_id_y 1
		.amdhsa_system_sgpr_workgroup_id_z 1
		.amdhsa_system_sgpr_workgroup_info 0
		.amdhsa_system_vgpr_workitem_id 1
		.amdhsa_next_free_vgpr 256
		.amdhsa_next_free_sgpr 99
		.amdhsa_reserve_vcc 1
		.amdhsa_float_round_mode_32 0
		.amdhsa_float_round_mode_16_64 0
		.amdhsa_float_denorm_mode_32 3
		.amdhsa_float_denorm_mode_16_64 3
		.amdhsa_dx10_clamp 1
		.amdhsa_ieee_mode 1
		.amdhsa_fp16_overflow 0
		.amdhsa_workgroup_processor_mode 1
		.amdhsa_memory_ordered 1
		.amdhsa_forward_progress 0
		.amdhsa_shared_vgpr_count 0
		.amdhsa_exception_fp_ieee_invalid_op 0
		.amdhsa_exception_fp_denorm_src 0
		.amdhsa_exception_fp_ieee_div_zero 0
		.amdhsa_exception_fp_ieee_overflow 0
		.amdhsa_exception_fp_ieee_underflow 0
		.amdhsa_exception_fp_ieee_inexact 0
		.amdhsa_exception_int_div_zero 0
	.end_amdhsa_kernel
	.section	.text._ZL18flash_attn_ext_vecILi256ELi1EL9ggml_type3ELS0_3ELb0EEvPKcS2_S2_S2_S2_PKiPfP15HIP_vector_typeIfLj2EEffffjfiS6_IjLj3EEiiiiiiiiiiiliiliiiiil,"axG",@progbits,_ZL18flash_attn_ext_vecILi256ELi1EL9ggml_type3ELS0_3ELb0EEvPKcS2_S2_S2_S2_PKiPfP15HIP_vector_typeIfLj2EEffffjfiS6_IjLj3EEiiiiiiiiiiiliiliiiiil,comdat
.Lfunc_end23:
	.size	_ZL18flash_attn_ext_vecILi256ELi1EL9ggml_type3ELS0_3ELb0EEvPKcS2_S2_S2_S2_PKiPfP15HIP_vector_typeIfLj2EEffffjfiS6_IjLj3EEiiiiiiiiiiiliiliiiiil, .Lfunc_end23-_ZL18flash_attn_ext_vecILi256ELi1EL9ggml_type3ELS0_3ELb0EEvPKcS2_S2_S2_S2_PKiPfP15HIP_vector_typeIfLj2EEffffjfiS6_IjLj3EEiiiiiiiiiiiliiliiiiil
                                        ; -- End function
	.section	.AMDGPU.csdata,"",@progbits
; Kernel info:
; codeLenInByte = 32432
; NumSgprs: 101
; NumVgprs: 256
; ScratchSize: 680
; MemoryBound: 0
; FloatMode: 240
; IeeeMode: 1
; LDSByteSize: 2304 bytes/workgroup (compile time only)
; SGPRBlocks: 12
; VGPRBlocks: 31
; NumSGPRsForWavesPerEU: 101
; NumVGPRsForWavesPerEU: 256
; Occupancy: 5
; WaveLimiterHint : 0
; COMPUTE_PGM_RSRC2:SCRATCH_EN: 1
; COMPUTE_PGM_RSRC2:USER_SGPR: 13
; COMPUTE_PGM_RSRC2:TRAP_HANDLER: 0
; COMPUTE_PGM_RSRC2:TGID_X_EN: 1
; COMPUTE_PGM_RSRC2:TGID_Y_EN: 1
; COMPUTE_PGM_RSRC2:TGID_Z_EN: 1
; COMPUTE_PGM_RSRC2:TIDIG_COMP_CNT: 1
	.section	.text._ZL33flash_attn_stream_k_fixup_uniformILi256ELi1ELi1EEvPfPK15HIP_vector_typeIfLj2EEiiiiiiS1_IjLj3EES5_S5_,"axG",@progbits,_ZL33flash_attn_stream_k_fixup_uniformILi256ELi1ELi1EEvPfPK15HIP_vector_typeIfLj2EEiiiiiiS1_IjLj3EES5_S5_,comdat
	.globl	_ZL33flash_attn_stream_k_fixup_uniformILi256ELi1ELi1EEvPfPK15HIP_vector_typeIfLj2EEiiiiiiS1_IjLj3EES5_S5_ ; -- Begin function _ZL33flash_attn_stream_k_fixup_uniformILi256ELi1ELi1EEvPfPK15HIP_vector_typeIfLj2EEiiiiiiS1_IjLj3EES5_S5_
	.p2align	8
	.type	_ZL33flash_attn_stream_k_fixup_uniformILi256ELi1ELi1EEvPfPK15HIP_vector_typeIfLj2EEiiiiiiS1_IjLj3EES5_S5_,@function
_ZL33flash_attn_stream_k_fixup_uniformILi256ELi1ELi1EEvPfPK15HIP_vector_typeIfLj2EEiiiiiiS1_IjLj3EES5_S5_: ; @_ZL33flash_attn_stream_k_fixup_uniformILi256ELi1ELi1EEvPfPK15HIP_vector_typeIfLj2EEiiiiiiS1_IjLj3EES5_S5_
; %bb.0:
	s_clause 0x1
	s_load_b256 s[4:11], s[0:1], 0x1c
	s_load_b128 s[16:19], s[0:1], 0x3c
	s_waitcnt lgkmcnt(0)
	s_mul_hi_u32 s2, s7, s13
	s_delay_alu instid0(SALU_CYCLE_1) | instskip(NEXT) | instid1(SALU_CYCLE_1)
	s_add_i32 s2, s13, s2
	s_lshr_b32 s7, s2, s8
	s_delay_alu instid0(SALU_CYCLE_1) | instskip(SKIP_2) | instid1(SALU_CYCLE_1)
	s_mul_i32 s2, s7, s9
	s_load_b64 s[8:9], s[0:1], 0x10
	s_sub_i32 s2, s13, s2
	s_mul_hi_u32 s3, s2, s10
	s_delay_alu instid0(SALU_CYCLE_1) | instskip(NEXT) | instid1(SALU_CYCLE_1)
	s_add_i32 s3, s2, s3
	s_lshr_b32 s10, s3, s11
	s_delay_alu instid0(SALU_CYCLE_1) | instskip(NEXT) | instid1(SALU_CYCLE_1)
	s_mul_i32 s3, s10, s16
	s_sub_i32 s2, s2, s3
	s_delay_alu instid0(SALU_CYCLE_1) | instskip(NEXT) | instid1(SALU_CYCLE_1)
	s_mul_hi_u32 s3, s2, s17
	s_add_i32 s3, s2, s3
	s_delay_alu instid0(SALU_CYCLE_1) | instskip(NEXT) | instid1(SALU_CYCLE_1)
	s_lshr_b32 s12, s3, s18
	s_mul_i32 s3, s12, s19
	s_delay_alu instid0(SALU_CYCLE_1) | instskip(NEXT) | instid1(SALU_CYCLE_1)
	s_sub_i32 s11, s2, s3
	s_add_i32 s11, s11, s14
	s_waitcnt lgkmcnt(0)
	s_cmp_lt_i32 s11, s8
	s_cselect_b32 s2, -1, 0
	s_add_i32 s12, s12, s15
	s_delay_alu instid0(SALU_CYCLE_1) | instskip(SKIP_1) | instid1(SALU_CYCLE_1)
	s_cmp_lt_i32 s12, s5
	s_cselect_b32 s3, -1, 0
	s_and_b32 s2, s2, s3
	s_delay_alu instid0(SALU_CYCLE_1)
	s_and_not1_b32 vcc_lo, exec_lo, s2
	s_cbranch_vccnz .LBB24_6
; %bb.1:
	s_mul_i32 s7, s7, s8
	s_mul_i32 s10, s10, s5
	s_add_i32 s5, s11, s7
	s_load_b128 s[0:3], s[0:1], 0x0
	s_add_i32 s7, s12, s10
	s_mul_i32 s5, s5, s9
	s_delay_alu instid0(SALU_CYCLE_1) | instskip(SKIP_4) | instid1(SALU_CYCLE_1)
	s_add_i32 s7, s7, s5
	s_mul_i32 s5, s13, s6
	v_lshl_or_b32 v1, s7, 8, v0
	s_add_i32 s7, s14, s15
	s_add_i32 s6, s5, s6
	;; [unrolled: 1-line block ×3, first 2 shown]
	s_delay_alu instid0(VALU_DEP_1) | instskip(NEXT) | instid1(VALU_DEP_1)
	v_ashrrev_i32_e32 v2, 31, v1
	v_lshlrev_b64 v[1:2], 2, v[1:2]
	s_waitcnt lgkmcnt(0)
	s_delay_alu instid0(VALU_DEP_1) | instskip(NEXT) | instid1(VALU_DEP_2)
	v_add_co_u32 v1, vcc_lo, s0, v1
	v_add_co_ci_u32_e32 v2, vcc_lo, s1, v2, vcc_lo
	s_add_i32 s0, s8, -1
	s_delay_alu instid0(SALU_CYCLE_1) | instskip(SKIP_2) | instid1(SALU_CYCLE_1)
	s_ashr_i32 s1, s0, 31
	global_load_b32 v5, v[1:2], off
	s_lshl_b64 s[0:1], s[0:1], 3
	s_add_u32 s0, s2, s0
	s_addc_u32 s1, s3, s1
	s_add_i32 s10, s6, -2
	s_load_b32 s9, s[0:1], 0x4
	s_cmp_lt_i32 s10, s5
	s_cbranch_scc1 .LBB24_4
; %bb.2:
	s_load_b32 s10, s[0:1], 0x0
	v_lshl_or_b32 v0, s8, 8, v0
	s_lshl_b32 s0, s4, 2
	s_waitcnt lgkmcnt(0)
	v_mov_b32_e32 v6, s9
	s_ashr_i32 s1, s0, 31
	s_delay_alu instid0(SALU_CYCLE_1)
	s_lshl_b64 s[0:1], s[0:1], 2
	v_add_nc_u32_e32 v3, 0xfffffe00, v0
	s_add_u32 s0, s2, s0
	s_addc_u32 s1, s3, s1
	s_add_i32 s6, s6, -1
	s_add_i32 s4, s7, s4
	v_mov_b32_e32 v0, s10
.LBB24_3:                               ; =>This Inner Loop Header: Depth=1
	s_delay_alu instid0(VALU_DEP_2) | instskip(SKIP_1) | instid1(SALU_CYCLE_1)
	v_ashrrev_i32_e32 v4, 31, v3
	s_add_i32 s6, s6, -1
	s_add_i32 s8, s6, s4
	s_delay_alu instid0(SALU_CYCLE_1) | instskip(NEXT) | instid1(VALU_DEP_1)
	s_ashr_i32 s9, s8, 31
	v_lshlrev_b64 v[7:8], 2, v[3:4]
	s_lshl_b64 s[8:9], s[8:9], 3
	s_delay_alu instid0(SALU_CYCLE_1) | instskip(SKIP_2) | instid1(VALU_DEP_1)
	s_add_u32 s8, s2, s8
	s_addc_u32 s9, s3, s9
	s_cmp_le_i32 s6, s5
	v_add_co_u32 v7, vcc_lo, s0, v7
	v_add_co_ci_u32_e32 v8, vcc_lo, s1, v8, vcc_lo
	s_load_b64 s[8:9], s[8:9], 0x0
	global_load_b32 v4, v[7:8], off
	v_max_f32_e32 v7, v0, v0
	s_waitcnt lgkmcnt(0)
	v_max_f32_e64 v8, s8, s8
	s_delay_alu instid0(VALU_DEP_1) | instskip(NEXT) | instid1(VALU_DEP_1)
	v_max_f32_e32 v7, v7, v8
	v_sub_f32_e32 v8, s8, v7
	s_delay_alu instid0(VALU_DEP_1) | instskip(NEXT) | instid1(VALU_DEP_1)
	v_dual_sub_f32 v0, v0, v7 :: v_dual_mul_f32 v9, 0x3fb8aa3b, v8
	v_fma_f32 v10, 0x3fb8aa3b, v8, -v9
	v_rndne_f32_e32 v11, v9
	s_delay_alu instid0(VALU_DEP_3) | instskip(NEXT) | instid1(VALU_DEP_2)
	v_mul_f32_e32 v12, 0x3fb8aa3b, v0
	v_dual_fmac_f32 v10, 0x32a5705f, v8 :: v_dual_sub_f32 v9, v9, v11
	v_cvt_i32_f32_e32 v11, v11
	s_delay_alu instid0(VALU_DEP_3) | instskip(SKIP_1) | instid1(VALU_DEP_4)
	v_fma_f32 v13, 0x3fb8aa3b, v0, -v12
	v_rndne_f32_e32 v14, v12
	v_add_f32_e32 v9, v9, v10
	v_cmp_ngt_f32_e32 vcc_lo, 0xc2ce8ed0, v8
	s_delay_alu instid0(VALU_DEP_3) | instskip(NEXT) | instid1(VALU_DEP_3)
	v_sub_f32_e32 v10, v12, v14
	v_exp_f32_e32 v9, v9
	s_waitcnt_depctr 0xfff
	v_ldexp_f32 v9, v9, v11
	v_cvt_i32_f32_e32 v11, v14
	s_delay_alu instid0(VALU_DEP_2) | instskip(SKIP_1) | instid1(VALU_DEP_2)
	v_cndmask_b32_e32 v9, 0, v9, vcc_lo
	v_cmp_nlt_f32_e32 vcc_lo, 0x42b17218, v8
	v_cndmask_b32_e32 v9, 0x7f800000, v9, vcc_lo
	v_cmp_ngt_f32_e32 vcc_lo, 0xc2ce8ed0, v0
	v_fmac_f32_e32 v13, 0x32a5705f, v0
	s_delay_alu instid0(VALU_DEP_1) | instskip(NEXT) | instid1(VALU_DEP_1)
	v_add_f32_e32 v10, v10, v13
	v_exp_f32_e32 v10, v10
	s_waitcnt_depctr 0xfff
	v_ldexp_f32 v10, v10, v11
	s_delay_alu instid0(VALU_DEP_1)
	v_dual_mov_b32 v11, v6 :: v_dual_cndmask_b32 v10, 0, v10
	v_cmp_le_f32_e32 vcc_lo, 0xc1a00000, v8
	s_waitcnt vmcnt(1)
	v_dual_cndmask_b32 v8, 0, v9 :: v_dual_mov_b32 v9, v5
	v_cmp_nlt_f32_e32 vcc_lo, 0x42b17218, v0
	v_cndmask_b32_e32 v5, 0x7f800000, v10, vcc_lo
	s_delay_alu instid0(VALU_DEP_3) | instskip(SKIP_2) | instid1(VALU_DEP_3)
	v_mul_f32_e32 v10, s9, v8
	v_cmp_le_f32_e32 vcc_lo, 0xc1a00000, v0
	v_mov_b32_e32 v0, v7
	v_mov_b32_e32 v6, v10
	s_waitcnt vmcnt(0)
	v_dual_cndmask_b32 v12, 0, v5 :: v_dual_mul_f32 v5, v4, v8
	s_delay_alu instid0(VALU_DEP_1) | instskip(NEXT) | instid1(VALU_DEP_2)
	v_dual_fmac_f32 v6, v11, v12 :: v_dual_add_nc_u32 v3, 0xffffff00, v3
	v_fmac_f32_e32 v5, v9, v12
	s_cbranch_scc0 .LBB24_3
	s_branch .LBB24_5
.LBB24_4:
	s_waitcnt lgkmcnt(0)
	v_mov_b32_e32 v6, s9
.LBB24_5:
	s_waitcnt vmcnt(0)
	s_delay_alu instid0(VALU_DEP_1) | instskip(NEXT) | instid1(VALU_DEP_1)
	v_div_scale_f32 v0, null, v6, v6, v5
	v_rcp_f32_e32 v3, v0
	s_waitcnt_depctr 0xfff
	v_fma_f32 v4, -v0, v3, 1.0
	s_delay_alu instid0(VALU_DEP_1) | instskip(SKIP_1) | instid1(VALU_DEP_1)
	v_fmac_f32_e32 v3, v4, v3
	v_div_scale_f32 v4, vcc_lo, v5, v6, v5
	v_mul_f32_e32 v7, v4, v3
	s_delay_alu instid0(VALU_DEP_1) | instskip(NEXT) | instid1(VALU_DEP_1)
	v_fma_f32 v8, -v0, v7, v4
	v_fmac_f32_e32 v7, v8, v3
	s_delay_alu instid0(VALU_DEP_1) | instskip(NEXT) | instid1(VALU_DEP_1)
	v_fma_f32 v0, -v0, v7, v4
	v_div_fmas_f32 v0, v0, v3, v7
	s_delay_alu instid0(VALU_DEP_1)
	v_div_fixup_f32 v0, v0, v6, v5
	global_store_b32 v[1:2], v0, off
.LBB24_6:
	s_nop 0
	s_sendmsg sendmsg(MSG_DEALLOC_VGPRS)
	s_endpgm
	.section	.rodata,"a",@progbits
	.p2align	6, 0x0
	.amdhsa_kernel _ZL33flash_attn_stream_k_fixup_uniformILi256ELi1ELi1EEvPfPK15HIP_vector_typeIfLj2EEiiiiiiS1_IjLj3EES5_S5_
		.amdhsa_group_segment_fixed_size 0
		.amdhsa_private_segment_fixed_size 0
		.amdhsa_kernarg_size 76
		.amdhsa_user_sgpr_count 13
		.amdhsa_user_sgpr_dispatch_ptr 0
		.amdhsa_user_sgpr_queue_ptr 0
		.amdhsa_user_sgpr_kernarg_segment_ptr 1
		.amdhsa_user_sgpr_dispatch_id 0
		.amdhsa_user_sgpr_private_segment_size 0
		.amdhsa_wavefront_size32 1
		.amdhsa_uses_dynamic_stack 0
		.amdhsa_enable_private_segment 0
		.amdhsa_system_sgpr_workgroup_id_x 1
		.amdhsa_system_sgpr_workgroup_id_y 1
		.amdhsa_system_sgpr_workgroup_id_z 1
		.amdhsa_system_sgpr_workgroup_info 0
		.amdhsa_system_vgpr_workitem_id 0
		.amdhsa_next_free_vgpr 15
		.amdhsa_next_free_sgpr 20
		.amdhsa_reserve_vcc 1
		.amdhsa_float_round_mode_32 0
		.amdhsa_float_round_mode_16_64 0
		.amdhsa_float_denorm_mode_32 3
		.amdhsa_float_denorm_mode_16_64 3
		.amdhsa_dx10_clamp 1
		.amdhsa_ieee_mode 1
		.amdhsa_fp16_overflow 0
		.amdhsa_workgroup_processor_mode 1
		.amdhsa_memory_ordered 1
		.amdhsa_forward_progress 0
		.amdhsa_shared_vgpr_count 0
		.amdhsa_exception_fp_ieee_invalid_op 0
		.amdhsa_exception_fp_denorm_src 0
		.amdhsa_exception_fp_ieee_div_zero 0
		.amdhsa_exception_fp_ieee_overflow 0
		.amdhsa_exception_fp_ieee_underflow 0
		.amdhsa_exception_fp_ieee_inexact 0
		.amdhsa_exception_int_div_zero 0
	.end_amdhsa_kernel
	.section	.text._ZL33flash_attn_stream_k_fixup_uniformILi256ELi1ELi1EEvPfPK15HIP_vector_typeIfLj2EEiiiiiiS1_IjLj3EES5_S5_,"axG",@progbits,_ZL33flash_attn_stream_k_fixup_uniformILi256ELi1ELi1EEvPfPK15HIP_vector_typeIfLj2EEiiiiiiS1_IjLj3EES5_S5_,comdat
.Lfunc_end24:
	.size	_ZL33flash_attn_stream_k_fixup_uniformILi256ELi1ELi1EEvPfPK15HIP_vector_typeIfLj2EEiiiiiiS1_IjLj3EES5_S5_, .Lfunc_end24-_ZL33flash_attn_stream_k_fixup_uniformILi256ELi1ELi1EEvPfPK15HIP_vector_typeIfLj2EEiiiiiiS1_IjLj3EES5_S5_
                                        ; -- End function
	.section	.AMDGPU.csdata,"",@progbits
; Kernel info:
; codeLenInByte = 916
; NumSgprs: 22
; NumVgprs: 15
; ScratchSize: 0
; MemoryBound: 0
; FloatMode: 240
; IeeeMode: 1
; LDSByteSize: 0 bytes/workgroup (compile time only)
; SGPRBlocks: 2
; VGPRBlocks: 1
; NumSGPRsForWavesPerEU: 22
; NumVGPRsForWavesPerEU: 15
; Occupancy: 16
; WaveLimiterHint : 0
; COMPUTE_PGM_RSRC2:SCRATCH_EN: 0
; COMPUTE_PGM_RSRC2:USER_SGPR: 13
; COMPUTE_PGM_RSRC2:TRAP_HANDLER: 0
; COMPUTE_PGM_RSRC2:TGID_X_EN: 1
; COMPUTE_PGM_RSRC2:TGID_Y_EN: 1
; COMPUTE_PGM_RSRC2:TGID_Z_EN: 1
; COMPUTE_PGM_RSRC2:TIDIG_COMP_CNT: 0
	.section	.text._ZL33flash_attn_stream_k_fixup_generalILi256ELi1ELi1EEvPfPK15HIP_vector_typeIfLj2EEiiiiS1_IjLj3EES5_S5_S5_,"axG",@progbits,_ZL33flash_attn_stream_k_fixup_generalILi256ELi1ELi1EEvPfPK15HIP_vector_typeIfLj2EEiiiiS1_IjLj3EES5_S5_S5_,comdat
	.globl	_ZL33flash_attn_stream_k_fixup_generalILi256ELi1ELi1EEvPfPK15HIP_vector_typeIfLj2EEiiiiS1_IjLj3EES5_S5_S5_ ; -- Begin function _ZL33flash_attn_stream_k_fixup_generalILi256ELi1ELi1EEvPfPK15HIP_vector_typeIfLj2EEiiiiS1_IjLj3EES5_S5_S5_
	.p2align	8
	.type	_ZL33flash_attn_stream_k_fixup_generalILi256ELi1ELi1EEvPfPK15HIP_vector_typeIfLj2EEiiiiS1_IjLj3EES5_S5_S5_,@function
_ZL33flash_attn_stream_k_fixup_generalILi256ELi1ELi1EEvPfPK15HIP_vector_typeIfLj2EEiiiiS1_IjLj3EES5_S5_S5_: ; @_ZL33flash_attn_stream_k_fixup_generalILi256ELi1ELi1EEvPfPK15HIP_vector_typeIfLj2EEiiiiS1_IjLj3EES5_S5_S5_
; %bb.0:
	s_clause 0x1
	s_load_b128 s[4:7], s[0:1], 0x10
	s_load_b32 s20, s[0:1], 0x50
	s_mov_b32 s2, 0
	s_waitcnt lgkmcnt(0)
	s_mul_hi_i32 s3, s7, s13
	s_mul_i32 s12, s7, s13
	s_cmp_lg_u64 s[2:3], 0
	s_cbranch_scc0 .LBB25_21
; %bb.1:
	v_cvt_f32_ubyte0_e32 v1, 0
	v_cvt_f32_u32_e32 v2, s20
	s_sub_u32 s10, 0, s20
	s_subb_u32 s11, 0, 0
	s_delay_alu instid0(VALU_DEP_1) | instskip(NEXT) | instid1(VALU_DEP_1)
	v_fmamk_f32 v1, v1, 0x4f800000, v2
	v_rcp_f32_e32 v1, v1
	s_waitcnt_depctr 0xfff
	v_mul_f32_e32 v1, 0x5f7ffffc, v1
	s_delay_alu instid0(VALU_DEP_1) | instskip(NEXT) | instid1(VALU_DEP_1)
	v_mul_f32_e32 v2, 0x2f800000, v1
	v_trunc_f32_e32 v2, v2
	s_delay_alu instid0(VALU_DEP_1) | instskip(SKIP_1) | instid1(VALU_DEP_2)
	v_fmamk_f32 v1, v2, 0xcf800000, v1
	v_cvt_u32_f32_e32 v2, v2
	v_cvt_u32_f32_e32 v1, v1
	s_delay_alu instid0(VALU_DEP_2) | instskip(NEXT) | instid1(VALU_DEP_2)
	v_readfirstlane_b32 s8, v2
	v_readfirstlane_b32 s9, v1
	s_delay_alu instid0(VALU_DEP_2) | instskip(NEXT) | instid1(VALU_DEP_1)
	s_mul_i32 s16, s10, s8
	s_mul_hi_u32 s18, s10, s9
	s_mul_i32 s17, s11, s9
	s_add_i32 s16, s18, s16
	s_mul_i32 s19, s10, s9
	s_add_i32 s16, s16, s17
	s_mul_hi_u32 s18, s9, s19
	s_mul_hi_u32 s21, s8, s19
	s_mul_i32 s17, s8, s19
	s_mul_hi_u32 s19, s9, s16
	s_mul_i32 s9, s9, s16
	s_mul_hi_u32 s22, s8, s16
	s_add_u32 s9, s18, s9
	s_addc_u32 s18, 0, s19
	s_add_u32 s9, s9, s17
	s_mul_i32 s16, s8, s16
	s_addc_u32 s9, s18, s21
	s_addc_u32 s17, s22, 0
	s_add_u32 s9, s9, s16
	s_addc_u32 s16, 0, s17
	v_add_co_u32 v1, s9, v1, s9
	s_delay_alu instid0(VALU_DEP_1) | instskip(SKIP_1) | instid1(VALU_DEP_1)
	s_cmp_lg_u32 s9, 0
	s_addc_u32 s8, s8, s16
	v_readfirstlane_b32 s9, v1
	s_mul_i32 s16, s10, s8
	s_delay_alu instid0(VALU_DEP_1)
	s_mul_hi_u32 s17, s10, s9
	s_mul_i32 s11, s11, s9
	s_add_i32 s16, s17, s16
	s_mul_i32 s10, s10, s9
	s_add_i32 s16, s16, s11
	s_mul_hi_u32 s17, s8, s10
	s_mul_i32 s18, s8, s10
	s_mul_hi_u32 s10, s9, s10
	s_mul_hi_u32 s19, s9, s16
	s_mul_i32 s9, s9, s16
	s_mul_hi_u32 s11, s8, s16
	s_add_u32 s9, s10, s9
	s_addc_u32 s10, 0, s19
	s_add_u32 s9, s9, s18
	s_mul_i32 s16, s8, s16
	s_addc_u32 s9, s10, s17
	s_addc_u32 s10, s11, 0
	s_add_u32 s9, s9, s16
	s_addc_u32 s10, 0, s10
	v_add_co_u32 v1, s9, v1, s9
	s_delay_alu instid0(VALU_DEP_1) | instskip(SKIP_2) | instid1(SALU_CYCLE_1)
	s_cmp_lg_u32 s9, 0
	s_addc_u32 s16, s8, s10
	s_ashr_i32 s8, s3, 31
	s_add_u32 s10, s12, s8
	s_addc_u32 s11, s3, s8
	v_readfirstlane_b32 s3, v1
	s_mov_b32 s9, s8
	s_delay_alu instid0(SALU_CYCLE_1) | instskip(NEXT) | instid1(SALU_CYCLE_1)
	s_xor_b64 s[10:11], s[10:11], s[8:9]
	s_mul_i32 s18, s10, s16
	s_delay_alu instid0(VALU_DEP_1)
	s_mul_hi_u32 s19, s10, s3
	s_mul_hi_u32 s17, s10, s16
	;; [unrolled: 1-line block ×3, first 2 shown]
	s_mul_i32 s3, s11, s3
	s_add_u32 s18, s19, s18
	s_addc_u32 s17, 0, s17
	s_mul_hi_u32 s21, s11, s16
	s_add_u32 s3, s18, s3
	s_mul_i32 s16, s11, s16
	s_addc_u32 s3, s17, s22
	s_addc_u32 s17, s21, 0
	s_add_u32 s3, s3, s16
	s_addc_u32 s16, 0, s17
	s_mul_i32 s18, s20, s3
	s_add_u32 s17, s3, 1
	v_sub_co_u32 v1, s10, s10, s18
	s_mul_hi_u32 s18, s20, s3
	s_addc_u32 s19, s16, 0
	s_mul_i32 s21, s20, s16
	s_delay_alu instid0(VALU_DEP_1)
	v_sub_co_u32 v2, s22, v1, s20
	s_add_u32 s23, s3, 2
	s_addc_u32 s24, s16, 0
	s_add_i32 s18, s18, s21
	s_cmp_lg_u32 s10, 0
	v_readfirstlane_b32 s10, v2
	s_subb_u32 s11, s11, s18
	s_cmp_lg_u32 s22, 0
	s_subb_u32 s18, s11, 0
	s_delay_alu instid0(VALU_DEP_1) | instskip(SKIP_4) | instid1(SALU_CYCLE_1)
	s_cmp_ge_u32 s10, s20
	s_cselect_b32 s10, -1, 0
	s_cmp_eq_u32 s18, 0
	v_readfirstlane_b32 s18, v1
	s_cselect_b32 s10, s10, -1
	s_cmp_lg_u32 s10, 0
	s_cselect_b32 s10, s23, s17
	s_cselect_b32 s17, s24, s19
	s_cmp_ge_u32 s18, s20
	s_cselect_b32 s18, -1, 0
	s_cmp_eq_u32 s11, 0
	s_cselect_b32 s11, s18, -1
	s_delay_alu instid0(SALU_CYCLE_1) | instskip(SKIP_2) | instid1(SALU_CYCLE_1)
	s_cmp_lg_u32 s11, 0
	s_cselect_b32 s11, s17, s16
	s_cselect_b32 s10, s10, s3
	s_xor_b64 s[10:11], s[10:11], s[8:9]
	s_delay_alu instid0(SALU_CYCLE_1)
	s_sub_u32 s16, s10, s8
	s_load_b128 s[8:11], s[0:1], 0x44
	s_and_not1_b32 vcc_lo, exec_lo, s2
	s_cbranch_vccnz .LBB25_3
.LBB25_2:
	v_cvt_f32_u32_e32 v1, s20
	s_sub_i32 s3, 0, s20
	s_delay_alu instid0(VALU_DEP_1) | instskip(SKIP_2) | instid1(VALU_DEP_1)
	v_rcp_iflag_f32_e32 v1, v1
	s_waitcnt_depctr 0xfff
	v_mul_f32_e32 v1, 0x4f7ffffe, v1
	v_cvt_u32_f32_e32 v1, v1
	s_delay_alu instid0(VALU_DEP_1) | instskip(NEXT) | instid1(VALU_DEP_1)
	v_readfirstlane_b32 s2, v1
	s_mul_i32 s3, s3, s2
	s_delay_alu instid0(SALU_CYCLE_1) | instskip(NEXT) | instid1(SALU_CYCLE_1)
	s_mul_hi_u32 s3, s2, s3
	s_add_i32 s2, s2, s3
	s_delay_alu instid0(SALU_CYCLE_1) | instskip(NEXT) | instid1(SALU_CYCLE_1)
	s_mul_hi_u32 s2, s12, s2
	s_mul_i32 s3, s2, s20
	s_waitcnt lgkmcnt(0)
	s_add_i32 s11, s2, 1
	s_sub_i32 s3, s12, s3
	s_delay_alu instid0(SALU_CYCLE_1)
	s_sub_i32 s12, s3, s20
	s_cmp_ge_u32 s3, s20
	s_cselect_b32 s2, s11, s2
	s_cselect_b32 s3, s12, s3
	s_add_i32 s11, s2, 1
	s_cmp_ge_u32 s3, s20
	s_cselect_b32 s16, s11, s2
.LBB25_3:
	s_waitcnt lgkmcnt(0)
	s_add_i32 s11, s13, 1
	s_mov_b32 s2, 0
	s_mul_hi_i32 s3, s7, s11
	s_mul_i32 s11, s7, s11
	s_cmp_lg_u64 s[2:3], 0
	s_cbranch_scc0 .LBB25_22
; %bb.4:
	v_cvt_f32_ubyte0_e32 v1, 0
	v_cvt_f32_u32_e32 v2, s20
	s_sub_u32 s18, 0, s20
	s_subb_u32 s19, 0, 0
	s_delay_alu instid0(VALU_DEP_1) | instskip(NEXT) | instid1(VALU_DEP_1)
	v_fmamk_f32 v1, v1, 0x4f800000, v2
	v_rcp_f32_e32 v1, v1
	s_waitcnt_depctr 0xfff
	v_mul_f32_e32 v1, 0x5f7ffffc, v1
	s_delay_alu instid0(VALU_DEP_1) | instskip(NEXT) | instid1(VALU_DEP_1)
	v_mul_f32_e32 v2, 0x2f800000, v1
	v_trunc_f32_e32 v2, v2
	s_delay_alu instid0(VALU_DEP_1) | instskip(SKIP_1) | instid1(VALU_DEP_2)
	v_fmamk_f32 v1, v2, 0xcf800000, v1
	v_cvt_u32_f32_e32 v2, v2
	v_cvt_u32_f32_e32 v1, v1
	s_delay_alu instid0(VALU_DEP_2) | instskip(NEXT) | instid1(VALU_DEP_2)
	v_readfirstlane_b32 s12, v2
	v_readfirstlane_b32 s17, v1
	s_delay_alu instid0(VALU_DEP_2) | instskip(NEXT) | instid1(VALU_DEP_1)
	s_mul_i32 s21, s18, s12
	s_mul_hi_u32 s23, s18, s17
	s_mul_i32 s22, s19, s17
	s_add_i32 s21, s23, s21
	s_mul_i32 s24, s18, s17
	s_add_i32 s21, s21, s22
	s_mul_hi_u32 s23, s17, s24
	s_mul_hi_u32 s25, s12, s24
	s_mul_i32 s22, s12, s24
	s_mul_hi_u32 s24, s17, s21
	s_mul_i32 s17, s17, s21
	s_mul_hi_u32 s26, s12, s21
	s_add_u32 s17, s23, s17
	s_addc_u32 s23, 0, s24
	s_add_u32 s17, s17, s22
	s_mul_i32 s21, s12, s21
	s_addc_u32 s17, s23, s25
	s_addc_u32 s22, s26, 0
	s_add_u32 s17, s17, s21
	s_addc_u32 s21, 0, s22
	v_add_co_u32 v1, s17, v1, s17
	s_delay_alu instid0(VALU_DEP_1) | instskip(SKIP_1) | instid1(VALU_DEP_1)
	s_cmp_lg_u32 s17, 0
	s_addc_u32 s12, s12, s21
	v_readfirstlane_b32 s17, v1
	s_mul_i32 s21, s18, s12
	s_delay_alu instid0(VALU_DEP_1)
	s_mul_hi_u32 s22, s18, s17
	s_mul_i32 s19, s19, s17
	s_add_i32 s21, s22, s21
	s_mul_i32 s18, s18, s17
	s_add_i32 s21, s21, s19
	s_mul_hi_u32 s22, s12, s18
	s_mul_i32 s23, s12, s18
	s_mul_hi_u32 s18, s17, s18
	s_mul_hi_u32 s24, s17, s21
	s_mul_i32 s17, s17, s21
	s_mul_hi_u32 s19, s12, s21
	s_add_u32 s17, s18, s17
	s_addc_u32 s18, 0, s24
	s_add_u32 s17, s17, s23
	s_mul_i32 s21, s12, s21
	s_addc_u32 s17, s18, s22
	s_addc_u32 s18, s19, 0
	s_add_u32 s17, s17, s21
	s_addc_u32 s18, 0, s18
	v_add_co_u32 v1, s17, v1, s17
	s_delay_alu instid0(VALU_DEP_1) | instskip(SKIP_2) | instid1(SALU_CYCLE_1)
	s_cmp_lg_u32 s17, 0
	s_addc_u32 s12, s12, s18
	s_ashr_i32 s18, s3, 31
	s_add_u32 s22, s11, s18
	s_addc_u32 s23, s3, s18
	v_readfirstlane_b32 s3, v1
	s_mov_b32 s19, s18
	s_delay_alu instid0(SALU_CYCLE_1) | instskip(NEXT) | instid1(SALU_CYCLE_1)
	s_xor_b64 s[22:23], s[22:23], s[18:19]
	s_mul_i32 s21, s22, s12
	s_delay_alu instid0(VALU_DEP_1)
	s_mul_hi_u32 s24, s22, s3
	s_mul_hi_u32 s17, s22, s12
	;; [unrolled: 1-line block ×3, first 2 shown]
	s_mul_i32 s3, s23, s3
	s_add_u32 s21, s24, s21
	s_addc_u32 s17, 0, s17
	s_mul_hi_u32 s25, s23, s12
	s_add_u32 s3, s21, s3
	s_mul_i32 s12, s23, s12
	s_addc_u32 s3, s17, s26
	s_addc_u32 s17, s25, 0
	s_add_u32 s3, s3, s12
	s_addc_u32 s12, 0, s17
	s_mul_i32 s21, s20, s3
	s_add_u32 s17, s3, 1
	v_sub_co_u32 v1, s21, s22, s21
	s_mul_hi_u32 s22, s20, s3
	s_addc_u32 s24, s12, 0
	s_mul_i32 s25, s20, s12
	s_delay_alu instid0(VALU_DEP_1)
	v_sub_co_u32 v2, s26, v1, s20
	s_add_u32 s27, s3, 2
	s_addc_u32 s28, s12, 0
	s_add_i32 s22, s22, s25
	s_cmp_lg_u32 s21, 0
	v_readfirstlane_b32 s21, v2
	s_subb_u32 s22, s23, s22
	s_cmp_lg_u32 s26, 0
	s_subb_u32 s23, s22, 0
	s_delay_alu instid0(VALU_DEP_1) | instskip(SKIP_4) | instid1(SALU_CYCLE_1)
	s_cmp_ge_u32 s21, s20
	s_cselect_b32 s21, -1, 0
	s_cmp_eq_u32 s23, 0
	v_readfirstlane_b32 s23, v1
	s_cselect_b32 s21, s21, -1
	s_cmp_lg_u32 s21, 0
	s_cselect_b32 s17, s27, s17
	s_cselect_b32 s21, s28, s24
	s_cmp_ge_u32 s23, s20
	s_cselect_b32 s23, -1, 0
	s_cmp_eq_u32 s22, 0
	s_cselect_b32 s22, s23, -1
	s_delay_alu instid0(SALU_CYCLE_1) | instskip(SKIP_2) | instid1(SALU_CYCLE_1)
	s_cmp_lg_u32 s22, 0
	s_cselect_b32 s23, s21, s12
	s_cselect_b32 s22, s17, s3
	s_xor_b64 s[22:23], s[22:23], s[18:19]
	s_delay_alu instid0(SALU_CYCLE_1)
	s_sub_u32 s18, s22, s18
	s_and_not1_b32 vcc_lo, exec_lo, s2
	s_cbranch_vccnz .LBB25_6
.LBB25_5:
	v_cvt_f32_u32_e32 v1, s20
	s_sub_i32 s3, 0, s20
	s_delay_alu instid0(VALU_DEP_1) | instskip(SKIP_2) | instid1(VALU_DEP_1)
	v_rcp_iflag_f32_e32 v1, v1
	s_waitcnt_depctr 0xfff
	v_mul_f32_e32 v1, 0x4f7ffffe, v1
	v_cvt_u32_f32_e32 v1, v1
	s_delay_alu instid0(VALU_DEP_1) | instskip(NEXT) | instid1(VALU_DEP_1)
	v_readfirstlane_b32 s2, v1
	s_mul_i32 s3, s3, s2
	s_delay_alu instid0(SALU_CYCLE_1) | instskip(NEXT) | instid1(SALU_CYCLE_1)
	s_mul_hi_u32 s3, s2, s3
	s_add_i32 s2, s2, s3
	s_delay_alu instid0(SALU_CYCLE_1) | instskip(NEXT) | instid1(SALU_CYCLE_1)
	s_mul_hi_u32 s2, s11, s2
	s_mul_i32 s3, s2, s20
	s_delay_alu instid0(SALU_CYCLE_1)
	s_sub_i32 s3, s11, s3
	s_add_i32 s11, s2, 1
	s_sub_i32 s12, s3, s20
	s_cmp_ge_u32 s3, s20
	s_cselect_b32 s2, s11, s2
	s_cselect_b32 s3, s12, s3
	s_add_i32 s11, s2, 1
	s_cmp_ge_u32 s3, s20
	s_cselect_b32 s18, s11, s2
.LBB25_6:
	s_delay_alu instid0(SALU_CYCLE_1) | instskip(SKIP_3) | instid1(SALU_CYCLE_1)
	s_cmp_eq_u32 s16, s18
	s_mul_hi_u32 s2, s16, s8
	s_cselect_b32 s3, -1, 0
	s_add_i32 s2, s2, s16
	s_lshr_b32 s11, s2, s9
	s_delay_alu instid0(SALU_CYCLE_1) | instskip(NEXT) | instid1(SALU_CYCLE_1)
	s_mul_i32 s2, s11, s10
	s_cmp_eq_u32 s2, s16
	s_mul_hi_u32 s2, s18, s8
	s_cselect_b32 s12, -1, 0
	s_add_i32 s2, s2, s18
	s_delay_alu instid0(SALU_CYCLE_1) | instskip(NEXT) | instid1(SALU_CYCLE_1)
	s_lshr_b32 s2, s2, s9
	s_cmp_eq_u32 s11, s2
	s_mul_i32 s2, s2, s10
	s_cselect_b32 s17, -1, 0
	s_cmp_lg_u32 s2, s18
	s_cselect_b32 s2, -1, 0
	s_or_b32 s3, s3, s12
	s_and_b32 s2, s17, s2
	s_delay_alu instid0(SALU_CYCLE_1) | instskip(NEXT) | instid1(SALU_CYCLE_1)
	s_or_b32 s2, s3, s2
	s_and_b32 vcc_lo, exec_lo, s2
	s_cbranch_vccnz .LBB25_24
; %bb.7:
	s_load_b256 s[24:31], s[0:1], 0x20
	s_waitcnt lgkmcnt(0)
	s_mul_hi_u32 s2, s16, s24
	s_delay_alu instid0(SALU_CYCLE_1) | instskip(NEXT) | instid1(SALU_CYCLE_1)
	s_add_i32 s2, s2, s16
	s_lshr_b32 s17, s2, s25
	s_load_b32 s2, s[0:1], 0x40
	s_mul_i32 s3, s17, s26
	s_delay_alu instid0(SALU_CYCLE_1) | instskip(NEXT) | instid1(SALU_CYCLE_1)
	s_sub_i32 s3, s16, s3
	s_mul_hi_u32 s12, s3, s27
	s_delay_alu instid0(SALU_CYCLE_1) | instskip(NEXT) | instid1(SALU_CYCLE_1)
	s_add_i32 s12, s3, s12
	s_lshr_b32 s18, s12, s28
	s_delay_alu instid0(SALU_CYCLE_1) | instskip(NEXT) | instid1(SALU_CYCLE_1)
	s_mul_i32 s12, s18, s29
	s_sub_i32 s3, s3, s12
	s_delay_alu instid0(SALU_CYCLE_1) | instskip(NEXT) | instid1(SALU_CYCLE_1)
	s_mul_hi_u32 s12, s3, s30
	s_add_i32 s12, s3, s12
	s_delay_alu instid0(SALU_CYCLE_1) | instskip(SKIP_3) | instid1(SALU_CYCLE_1)
	s_lshr_b32 s21, s12, s31
	s_mov_b32 s12, 0
	s_waitcnt lgkmcnt(0)
	s_mul_i32 s2, s21, s2
	s_sub_i32 s2, s3, s2
	s_delay_alu instid0(SALU_CYCLE_1) | instskip(NEXT) | instid1(SALU_CYCLE_1)
	s_mul_hi_u32 s3, s2, s8
	s_add_i32 s2, s2, s3
	s_delay_alu instid0(SALU_CYCLE_1) | instskip(NEXT) | instid1(SALU_CYCLE_1)
	s_lshr_b32 s19, s2, s9
	s_add_i32 s19, s19, s14
	s_delay_alu instid0(SALU_CYCLE_1) | instskip(SKIP_2) | instid1(SALU_CYCLE_1)
	s_cmp_lt_i32 s19, s4
	s_cselect_b32 s2, -1, 0
	s_add_i32 s21, s21, s15
	s_cmp_lt_i32 s21, s6
	s_cselect_b32 s3, -1, 0
	s_delay_alu instid0(SALU_CYCLE_1) | instskip(NEXT) | instid1(SALU_CYCLE_1)
	s_and_b32 s2, s2, s3
	s_and_not1_b32 vcc_lo, exec_lo, s2
	s_cbranch_vccnz .LBB25_24
; %bb.8:
	s_load_b128 s[0:3], s[0:1], 0x0
	s_lshl_b32 s22, s20, 2
	s_mov_b32 s23, s12
	s_add_i32 s14, s14, s15
	s_lshl_b64 s[22:23], s[22:23], 2
	s_mul_i32 s17, s17, s4
	s_mul_i32 s18, s18, s6
	v_cvt_f32_ubyte0_e32 v4, 0
	v_cvt_f32_u32_e32 v5, s20
	s_waitcnt lgkmcnt(0)
	s_add_u32 s6, s2, s22
	s_addc_u32 s15, s3, s23
	s_add_i32 s4, s19, s17
	s_add_i32 s17, s21, s18
	s_mul_i32 s4, s4, s5
	s_delay_alu instid0(SALU_CYCLE_1) | instskip(NEXT) | instid1(SALU_CYCLE_1)
	s_add_i32 s17, s17, s4
	v_lshl_or_b32 v1, s17, 8, v0
	s_delay_alu instid0(VALU_DEP_1) | instskip(NEXT) | instid1(VALU_DEP_1)
	v_ashrrev_i32_e32 v2, 31, v1
	v_lshlrev_b64 v[1:2], 2, v[1:2]
	s_delay_alu instid0(VALU_DEP_1) | instskip(NEXT) | instid1(VALU_DEP_2)
	v_add_co_u32 v1, vcc_lo, s0, v1
	v_add_co_ci_u32_e32 v2, vcc_lo, s1, v2, vcc_lo
	s_add_i32 s0, s14, s13
	s_delay_alu instid0(SALU_CYCLE_1) | instskip(SKIP_2) | instid1(SALU_CYCLE_1)
	s_ashr_i32 s1, s0, 31
	global_load_b32 v3, v[1:2], off
	s_lshl_b64 s[0:1], s[0:1], 3
	s_add_u32 s0, s2, s0
	s_addc_u32 s1, s3, s1
	s_add_i32 s18, s13, -1
	s_load_b64 s[0:1], s[0:1], 0x0
	v_fmac_f32_e32 v5, 0x4f800000, v4
	s_sub_i32 s17, 0, s20
	s_waitcnt lgkmcnt(0)
	v_mov_b32_e32 v8, s0
	s_delay_alu instid0(VALU_DEP_2) | instskip(SKIP_2) | instid1(VALU_DEP_2)
	v_rcp_f32_e32 v4, v5
	v_cvt_f32_u32_e32 v5, s20
	v_mov_b32_e32 v7, s1
	v_rcp_iflag_f32_e32 v5, v5
	s_waitcnt_depctr 0xfff
	v_mul_f32_e32 v4, 0x5f7ffffc, v4
	s_delay_alu instid0(VALU_DEP_1) | instskip(SKIP_1) | instid1(VALU_DEP_2)
	v_mul_f32_e32 v6, 0x2f800000, v4
	v_mul_f32_e32 v9, 0x4f7ffffe, v5
	v_trunc_f32_e32 v6, v6
	s_delay_alu instid0(VALU_DEP_1) | instskip(SKIP_1) | instid1(VALU_DEP_4)
	v_fmac_f32_e32 v4, 0xcf800000, v6
	v_cvt_u32_f32_e32 v5, v6
	v_cvt_u32_f32_e32 v6, v9
	s_delay_alu instid0(VALU_DEP_3)
	v_cvt_u32_f32_e32 v4, v4
.LBB25_9:                               ; =>This Inner Loop Header: Depth=1
	s_mul_hi_i32 s13, s18, s7
	s_mul_i32 s4, s18, s7
	s_cmp_lg_u64 s[12:13], 0
	s_mov_b32 s5, -1
                                        ; implicit-def: $sgpr0_sgpr1
	s_cbranch_scc0 .LBB25_11
; %bb.10:                               ;   in Loop: Header=BB25_9 Depth=1
	v_readfirstlane_b32 s0, v4
	v_readfirstlane_b32 s1, v5
	s_sub_u32 s5, 0, s20
	s_subb_u32 s19, 0, 0
	s_delay_alu instid0(VALU_DEP_2) | instskip(NEXT) | instid1(VALU_DEP_1)
	s_mul_hi_u32 s21, s5, s0
	s_mul_i32 s22, s5, s1
	s_mul_i32 s23, s19, s0
	s_add_i32 s21, s21, s22
	s_mul_i32 s22, s5, s0
	s_add_i32 s21, s21, s23
	s_mul_hi_u32 s23, s0, s22
	s_mul_i32 s24, s0, s21
	s_mul_hi_u32 s0, s0, s21
	s_add_u32 s23, s23, s24
	s_mul_i32 s25, s1, s22
	s_addc_u32 s0, 0, s0
	s_mul_hi_u32 s22, s1, s22
	s_mul_hi_u32 s24, s1, s21
	s_add_u32 s23, s23, s25
	s_addc_u32 s0, s0, s22
	s_mul_i32 s21, s1, s21
	s_addc_u32 s22, s24, 0
	s_add_u32 s0, s0, s21
	s_addc_u32 s21, 0, s22
	v_add_co_u32 v9, s0, v4, s0
	s_delay_alu instid0(VALU_DEP_1) | instskip(SKIP_1) | instid1(VALU_DEP_1)
	s_cmp_lg_u32 s0, 0
	s_addc_u32 s1, s1, s21
	v_readfirstlane_b32 s0, v9
	s_mul_i32 s21, s5, s1
	s_delay_alu instid0(VALU_DEP_1)
	s_mul_hi_u32 s22, s5, s0
	s_mul_i32 s19, s19, s0
	s_add_i32 s21, s22, s21
	s_mul_i32 s5, s5, s0
	s_add_i32 s21, s21, s19
	s_mul_hi_u32 s19, s1, s5
	s_mul_i32 s23, s1, s5
	s_mul_i32 s24, s0, s21
	s_mul_hi_u32 s5, s0, s5
	s_mul_hi_u32 s0, s0, s21
	s_add_u32 s5, s5, s24
	s_addc_u32 s0, 0, s0
	s_mul_hi_u32 s22, s1, s21
	s_add_u32 s5, s5, s23
	s_addc_u32 s0, s0, s19
	s_mul_i32 s5, s1, s21
	s_addc_u32 s19, s22, 0
	s_add_u32 s0, s0, s5
	s_addc_u32 s5, 0, s19
	v_add_co_u32 v9, s0, v9, s0
	s_delay_alu instid0(VALU_DEP_1) | instskip(SKIP_2) | instid1(SALU_CYCLE_1)
	s_cmp_lg_u32 s0, 0
	s_addc_u32 s5, s1, s5
	s_ashr_i32 s0, s13, 31
	s_add_u32 s22, s4, s0
	s_addc_u32 s23, s13, s0
	v_readfirstlane_b32 s13, v9
	s_mov_b32 s1, s0
	s_delay_alu instid0(SALU_CYCLE_1) | instskip(NEXT) | instid1(SALU_CYCLE_1)
	s_xor_b64 s[22:23], s[22:23], s[0:1]
	s_mul_i32 s19, s22, s5
	s_delay_alu instid0(VALU_DEP_1)
	s_mul_hi_u32 s21, s22, s13
	s_mul_hi_u32 s24, s22, s5
	s_add_u32 s19, s21, s19
	s_mul_i32 s25, s23, s13
	s_addc_u32 s21, 0, s24
	s_mul_hi_u32 s13, s23, s13
	s_mul_hi_u32 s24, s23, s5
	s_add_u32 s19, s19, s25
	s_addc_u32 s13, s21, s13
	s_mul_i32 s5, s23, s5
	s_addc_u32 s19, s24, 0
	s_add_u32 s5, s13, s5
	s_addc_u32 s13, 0, s19
	s_mul_i32 s21, s20, s5
	s_add_u32 s19, s5, 1
	v_sub_co_u32 v9, s21, s22, s21
	s_addc_u32 s22, s13, 0
	s_mul_i32 s25, s20, s13
	s_mul_hi_u32 s27, s20, s5
	s_delay_alu instid0(VALU_DEP_1)
	v_sub_co_u32 v10, s26, v9, s20
	s_add_u32 s24, s5, 2
	s_addc_u32 s28, s13, 0
	s_add_i32 s27, s27, s25
	s_cmp_lg_u32 s21, 0
	v_readfirstlane_b32 s21, v10
	s_subb_u32 s23, s23, s27
	s_cmp_lg_u32 s26, 0
	s_subb_u32 s25, s23, 0
	s_delay_alu instid0(VALU_DEP_1) | instskip(SKIP_4) | instid1(SALU_CYCLE_1)
	s_cmp_ge_u32 s21, s20
	s_cselect_b32 s21, -1, 0
	s_cmp_eq_u32 s25, 0
	v_readfirstlane_b32 s25, v9
	s_cselect_b32 s21, s21, -1
	s_cmp_lg_u32 s21, 0
	s_cselect_b32 s19, s24, s19
	s_cselect_b32 s21, s28, s22
	s_cmp_ge_u32 s25, s20
	s_cselect_b32 s22, -1, 0
	s_cmp_eq_u32 s23, 0
	s_cselect_b32 s22, s22, -1
	s_delay_alu instid0(SALU_CYCLE_1) | instskip(SKIP_4) | instid1(SALU_CYCLE_1)
	s_cmp_lg_u32 s22, 0
	s_cselect_b32 s23, s21, s13
	s_cselect_b32 s22, s19, s5
	s_mov_b32 s5, 0
	s_xor_b64 s[22:23], s[22:23], s[0:1]
	s_sub_u32 s0, s22, s0
.LBB25_11:                              ;   in Loop: Header=BB25_9 Depth=1
	s_and_not1_b32 vcc_lo, exec_lo, s5
	s_cbranch_vccnz .LBB25_13
; %bb.12:                               ;   in Loop: Header=BB25_9 Depth=1
	v_readfirstlane_b32 s0, v6
	s_delay_alu instid0(VALU_DEP_1) | instskip(NEXT) | instid1(SALU_CYCLE_1)
	s_mul_i32 s1, s17, s0
	s_mul_hi_u32 s1, s0, s1
	s_delay_alu instid0(SALU_CYCLE_1) | instskip(NEXT) | instid1(SALU_CYCLE_1)
	s_add_i32 s0, s0, s1
	s_mul_hi_u32 s0, s4, s0
	s_delay_alu instid0(SALU_CYCLE_1) | instskip(NEXT) | instid1(SALU_CYCLE_1)
	s_mul_i32 s1, s0, s20
	s_sub_i32 s1, s4, s1
	s_add_i32 s4, s0, 1
	s_sub_i32 s5, s1, s20
	s_cmp_ge_u32 s1, s20
	s_cselect_b32 s0, s4, s0
	s_cselect_b32 s1, s5, s1
	s_add_i32 s4, s0, 1
	s_cmp_ge_u32 s1, s20
	s_cselect_b32 s0, s4, s0
.LBB25_13:                              ;   in Loop: Header=BB25_9 Depth=1
	s_delay_alu instid0(SALU_CYCLE_1)
	s_cmp_lg_u32 s16, s0
	s_cbranch_scc0 .LBB25_17
; %bb.14:                               ;   in Loop: Header=BB25_9 Depth=1
	s_add_i32 s21, s18, s14
	s_mov_b32 s5, s12
	s_add_i32 s4, s21, s20
	s_mul_hi_u32 s1, s0, s8
	s_lshl_b64 s[4:5], s[4:5], 3
	s_mov_b32 s19, s16
	s_add_u32 s4, s2, s4
	s_addc_u32 s5, s3, s5
	s_add_i32 s1, s1, s0
	s_delay_alu instid0(SALU_CYCLE_1) | instskip(NEXT) | instid1(SALU_CYCLE_1)
	s_lshr_b32 s1, s1, s9
	s_mul_i32 s13, s1, s10
	s_delay_alu instid0(SALU_CYCLE_1) | instskip(SKIP_3) | instid1(SALU_CYCLE_1)
	s_cmp_eq_u32 s13, s0
	s_cselect_b32 s13, -1, 0
	s_cmp_lt_u32 s1, s11
	s_cselect_b32 s1, -1, 0
	s_or_b32 s1, s1, s13
	s_mov_b32 s13, -1
	s_and_b32 vcc_lo, exec_lo, s1
	s_mov_b32 s1, s18
	s_cbranch_vccnz .LBB25_16
; %bb.15:                               ;   in Loop: Header=BB25_9 Depth=1
	s_add_i32 s1, s18, -1
	s_mov_b32 s13, 0
	s_mov_b32 s19, s0
.LBB25_16:                              ;   in Loop: Header=BB25_9 Depth=1
	v_lshl_or_b32 v9, s21, 8, v0
	s_load_b64 s[4:5], s[4:5], 0x0
	s_delay_alu instid0(VALU_DEP_1) | instskip(NEXT) | instid1(VALU_DEP_1)
	v_ashrrev_i32_e32 v10, 31, v9
	v_lshlrev_b64 v[9:10], 2, v[9:10]
	s_delay_alu instid0(VALU_DEP_1) | instskip(NEXT) | instid1(VALU_DEP_2)
	v_add_co_u32 v9, vcc_lo, s6, v9
	v_add_co_ci_u32_e32 v10, vcc_lo, s15, v10, vcc_lo
	s_waitcnt lgkmcnt(0)
	v_max_f32_e64 v11, s4, s4
	global_load_b32 v10, v[9:10], off
	v_max_f32_e32 v9, v8, v8
	s_delay_alu instid0(VALU_DEP_1) | instskip(NEXT) | instid1(VALU_DEP_1)
	v_max_f32_e32 v9, v9, v11
	v_sub_f32_e32 v12, v8, v9
	s_delay_alu instid0(VALU_DEP_1) | instskip(NEXT) | instid1(VALU_DEP_1)
	v_dual_mul_f32 v14, 0x3fb8aa3b, v12 :: v_dual_sub_f32 v11, s4, v9
	v_rndne_f32_e32 v18, v14
	s_delay_alu instid0(VALU_DEP_2) | instskip(SKIP_2) | instid1(VALU_DEP_4)
	v_mul_f32_e32 v13, 0x3fb8aa3b, v11
	v_fma_f32 v17, 0x3fb8aa3b, v12, -v14
	v_cmp_ngt_f32_e32 vcc_lo, 0xc2ce8ed0, v11
	v_sub_f32_e32 v14, v14, v18
	s_delay_alu instid0(VALU_DEP_4) | instskip(SKIP_2) | instid1(VALU_DEP_3)
	v_fma_f32 v15, 0x3fb8aa3b, v11, -v13
	v_rndne_f32_e32 v16, v13
	v_fmac_f32_e32 v17, 0x32a5705f, v12
	v_fmac_f32_e32 v15, 0x32a5705f, v11
	s_delay_alu instid0(VALU_DEP_2) | instskip(NEXT) | instid1(VALU_DEP_1)
	v_dual_sub_f32 v13, v13, v16 :: v_dual_add_f32 v14, v14, v17
	v_add_f32_e32 v13, v13, v15
	s_delay_alu instid0(VALU_DEP_2) | instskip(SKIP_2) | instid1(VALU_DEP_3)
	v_exp_f32_e32 v14, v14
	v_cvt_i32_f32_e32 v15, v16
	v_cvt_i32_f32_e32 v16, v18
	v_exp_f32_e32 v13, v13
	s_waitcnt_depctr 0xfff
	v_ldexp_f32 v14, v14, v16
	v_ldexp_f32 v13, v13, v15
	s_delay_alu instid0(VALU_DEP_1) | instskip(SKIP_1) | instid1(VALU_DEP_4)
	v_cndmask_b32_e32 v13, 0, v13, vcc_lo
	v_cmp_ngt_f32_e32 vcc_lo, 0xc2ce8ed0, v12
	v_cndmask_b32_e32 v14, 0, v14, vcc_lo
	v_cmp_nlt_f32_e32 vcc_lo, 0x42b17218, v11
	s_delay_alu instid0(VALU_DEP_4) | instskip(SKIP_1) | instid1(VALU_DEP_4)
	v_cndmask_b32_e32 v13, 0x7f800000, v13, vcc_lo
	v_cmp_nlt_f32_e32 vcc_lo, 0x42b17218, v12
	v_cndmask_b32_e32 v14, 0x7f800000, v14, vcc_lo
	v_cmp_le_f32_e32 vcc_lo, 0xc1a00000, v11
	s_delay_alu instid0(VALU_DEP_4) | instskip(SKIP_1) | instid1(VALU_DEP_4)
	v_cndmask_b32_e32 v11, 0, v13, vcc_lo
	v_cmp_le_f32_e32 vcc_lo, 0xc1a00000, v12
	v_cndmask_b32_e32 v12, 0, v14, vcc_lo
	s_waitcnt vmcnt(0)
	s_delay_alu instid0(VALU_DEP_3) | instskip(NEXT) | instid1(VALU_DEP_1)
	v_mul_f32_e32 v10, v10, v11
	v_dual_mul_f32 v11, s5, v11 :: v_dual_fmac_f32 v10, v3, v12
	s_delay_alu instid0(VALU_DEP_1)
	v_fmac_f32_e32 v11, v7, v12
	s_cbranch_execz .LBB25_18
	s_branch .LBB25_19
.LBB25_17:                              ;   in Loop: Header=BB25_9 Depth=1
                                        ; implicit-def: $sgpr13
                                        ; implicit-def: $vgpr10
                                        ; implicit-def: $vgpr9
                                        ; implicit-def: $vgpr11
                                        ; implicit-def: $sgpr1
                                        ; implicit-def: $sgpr19
.LBB25_18:                              ;   in Loop: Header=BB25_9 Depth=1
	v_mov_b32_e32 v11, v7
	s_waitcnt vmcnt(0)
	v_dual_mov_b32 v9, v8 :: v_dual_mov_b32 v10, v3
	s_add_i32 s1, s18, -1
	s_mov_b32 s13, 0
	s_mov_b32 s19, s16
.LBB25_19:                              ;   in Loop: Header=BB25_9 Depth=1
	s_and_not1_b32 vcc_lo, exec_lo, s13
	s_cbranch_vccz .LBB25_23
; %bb.20:                               ;   in Loop: Header=BB25_9 Depth=1
	v_dual_mov_b32 v7, v11 :: v_dual_mov_b32 v8, v9
	s_waitcnt vmcnt(0)
	v_mov_b32_e32 v3, v10
	s_mov_b32 s16, s19
	s_mov_b32 s18, s1
	s_branch .LBB25_9
.LBB25_21:
                                        ; implicit-def: $sgpr16_sgpr17
	s_load_b128 s[8:11], s[0:1], 0x44
	s_branch .LBB25_2
.LBB25_22:
                                        ; implicit-def: $sgpr18_sgpr19
	s_branch .LBB25_5
.LBB25_23:
	v_div_scale_f32 v0, null, v11, v11, v10
	s_waitcnt vmcnt(0)
	s_delay_alu instid0(VALU_DEP_1) | instskip(SKIP_2) | instid1(VALU_DEP_1)
	v_rcp_f32_e32 v3, v0
	s_waitcnt_depctr 0xfff
	v_fma_f32 v4, -v0, v3, 1.0
	v_fmac_f32_e32 v3, v4, v3
	v_div_scale_f32 v4, vcc_lo, v10, v11, v10
	s_delay_alu instid0(VALU_DEP_1) | instskip(NEXT) | instid1(VALU_DEP_1)
	v_mul_f32_e32 v5, v4, v3
	v_fma_f32 v6, -v0, v5, v4
	s_delay_alu instid0(VALU_DEP_1) | instskip(NEXT) | instid1(VALU_DEP_1)
	v_fmac_f32_e32 v5, v6, v3
	v_fma_f32 v0, -v0, v5, v4
	s_delay_alu instid0(VALU_DEP_1) | instskip(NEXT) | instid1(VALU_DEP_1)
	v_div_fmas_f32 v0, v0, v3, v5
	v_div_fixup_f32 v0, v0, v11, v10
	global_store_b32 v[1:2], v0, off
.LBB25_24:
	s_nop 0
	s_sendmsg sendmsg(MSG_DEALLOC_VGPRS)
	s_endpgm
	.section	.rodata,"a",@progbits
	.p2align	6, 0x0
	.amdhsa_kernel _ZL33flash_attn_stream_k_fixup_generalILi256ELi1ELi1EEvPfPK15HIP_vector_typeIfLj2EEiiiiS1_IjLj3EES5_S5_S5_
		.amdhsa_group_segment_fixed_size 0
		.amdhsa_private_segment_fixed_size 0
		.amdhsa_kernarg_size 336
		.amdhsa_user_sgpr_count 13
		.amdhsa_user_sgpr_dispatch_ptr 0
		.amdhsa_user_sgpr_queue_ptr 0
		.amdhsa_user_sgpr_kernarg_segment_ptr 1
		.amdhsa_user_sgpr_dispatch_id 0
		.amdhsa_user_sgpr_private_segment_size 0
		.amdhsa_wavefront_size32 1
		.amdhsa_uses_dynamic_stack 0
		.amdhsa_enable_private_segment 0
		.amdhsa_system_sgpr_workgroup_id_x 1
		.amdhsa_system_sgpr_workgroup_id_y 1
		.amdhsa_system_sgpr_workgroup_id_z 1
		.amdhsa_system_sgpr_workgroup_info 0
		.amdhsa_system_vgpr_workitem_id 0
		.amdhsa_next_free_vgpr 19
		.amdhsa_next_free_sgpr 32
		.amdhsa_reserve_vcc 1
		.amdhsa_float_round_mode_32 0
		.amdhsa_float_round_mode_16_64 0
		.amdhsa_float_denorm_mode_32 3
		.amdhsa_float_denorm_mode_16_64 3
		.amdhsa_dx10_clamp 1
		.amdhsa_ieee_mode 1
		.amdhsa_fp16_overflow 0
		.amdhsa_workgroup_processor_mode 1
		.amdhsa_memory_ordered 1
		.amdhsa_forward_progress 0
		.amdhsa_shared_vgpr_count 0
		.amdhsa_exception_fp_ieee_invalid_op 0
		.amdhsa_exception_fp_denorm_src 0
		.amdhsa_exception_fp_ieee_div_zero 0
		.amdhsa_exception_fp_ieee_overflow 0
		.amdhsa_exception_fp_ieee_underflow 0
		.amdhsa_exception_fp_ieee_inexact 0
		.amdhsa_exception_int_div_zero 0
	.end_amdhsa_kernel
	.section	.text._ZL33flash_attn_stream_k_fixup_generalILi256ELi1ELi1EEvPfPK15HIP_vector_typeIfLj2EEiiiiS1_IjLj3EES5_S5_S5_,"axG",@progbits,_ZL33flash_attn_stream_k_fixup_generalILi256ELi1ELi1EEvPfPK15HIP_vector_typeIfLj2EEiiiiS1_IjLj3EES5_S5_S5_,comdat
.Lfunc_end25:
	.size	_ZL33flash_attn_stream_k_fixup_generalILi256ELi1ELi1EEvPfPK15HIP_vector_typeIfLj2EEiiiiS1_IjLj3EES5_S5_S5_, .Lfunc_end25-_ZL33flash_attn_stream_k_fixup_generalILi256ELi1ELi1EEvPfPK15HIP_vector_typeIfLj2EEiiiiS1_IjLj3EES5_S5_S5_
                                        ; -- End function
	.section	.AMDGPU.csdata,"",@progbits
; Kernel info:
; codeLenInByte = 3168
; NumSgprs: 34
; NumVgprs: 19
; ScratchSize: 0
; MemoryBound: 0
; FloatMode: 240
; IeeeMode: 1
; LDSByteSize: 0 bytes/workgroup (compile time only)
; SGPRBlocks: 4
; VGPRBlocks: 2
; NumSGPRsForWavesPerEU: 34
; NumVGPRsForWavesPerEU: 19
; Occupancy: 16
; WaveLimiterHint : 0
; COMPUTE_PGM_RSRC2:SCRATCH_EN: 0
; COMPUTE_PGM_RSRC2:USER_SGPR: 13
; COMPUTE_PGM_RSRC2:TRAP_HANDLER: 0
; COMPUTE_PGM_RSRC2:TGID_X_EN: 1
; COMPUTE_PGM_RSRC2:TGID_Y_EN: 1
; COMPUTE_PGM_RSRC2:TGID_Z_EN: 1
; COMPUTE_PGM_RSRC2:TIDIG_COMP_CNT: 0
	.section	.text._ZL26flash_attn_combine_resultsILi256EEvPKfPK15HIP_vector_typeIfLj2EEPfi,"axG",@progbits,_ZL26flash_attn_combine_resultsILi256EEvPKfPK15HIP_vector_typeIfLj2EEPfi,comdat
	.globl	_ZL26flash_attn_combine_resultsILi256EEvPKfPK15HIP_vector_typeIfLj2EEPfi ; -- Begin function _ZL26flash_attn_combine_resultsILi256EEvPKfPK15HIP_vector_typeIfLj2EEPfi
	.p2align	8
	.type	_ZL26flash_attn_combine_resultsILi256EEvPKfPK15HIP_vector_typeIfLj2EEPfi,@function
_ZL26flash_attn_combine_resultsILi256EEvPKfPK15HIP_vector_typeIfLj2EEPfi: ; @_ZL26flash_attn_combine_resultsILi256EEvPKfPK15HIP_vector_typeIfLj2EEPfi
; %bb.0:
	s_clause 0x3
	s_load_b64 s[2:3], s[0:1], 0x20
	s_load_b32 s11, s[0:1], 0x18
	s_load_b128 s[4:7], s[0:1], 0x0
	s_load_b64 s[8:9], s[0:1], 0x10
	v_lshlrev_b32_e32 v5, 2, v0
	s_mov_b32 s12, exec_lo
	s_waitcnt lgkmcnt(0)
	s_mul_i32 s0, s2, s15
	s_lshl_b32 s1, s11, 1
	s_add_i32 s0, s0, s13
	s_delay_alu instid0(SALU_CYCLE_1) | instskip(NEXT) | instid1(SALU_CYCLE_1)
	s_mul_i32 s10, s0, s3
	s_add_i32 s10, s10, s14
	s_delay_alu instid0(SALU_CYCLE_1)
	s_mul_i32 s2, s10, s11
	v_cmpx_gt_i32_e64 s1, v0
	s_cbranch_execz .LBB26_3
; %bb.1:
	s_ashr_i32 s3, s2, 31
	v_dual_mov_b32 v4, v0 :: v_dual_add_nc_u32 v3, 0, v5
	s_lshl_b64 s[14:15], s[2:3], 3
	s_delay_alu instid0(SALU_CYCLE_1) | instskip(SKIP_2) | instid1(VALU_DEP_1)
	s_add_u32 s0, s6, s14
	s_addc_u32 s3, s7, s15
	v_add_co_u32 v1, s0, s0, v5
	v_add_co_ci_u32_e64 v2, null, s3, 0, s0
	s_mov_b32 s3, 0
	.p2align	6
.LBB26_2:                               ; =>This Inner Loop Header: Depth=1
	global_load_b32 v6, v[1:2], off
	v_add_nc_u32_e32 v4, 0x100, v4
	v_add_co_u32 v1, vcc_lo, 0x400, v1
	v_add_co_ci_u32_e32 v2, vcc_lo, 0, v2, vcc_lo
	s_delay_alu instid0(VALU_DEP_3) | instskip(NEXT) | instid1(VALU_DEP_1)
	v_cmp_le_i32_e64 s0, s1, v4
	s_or_b32 s3, s0, s3
	s_waitcnt vmcnt(0)
	ds_store_b32 v3, v6
	v_add_nc_u32_e32 v3, 0x400, v3
	s_and_not1_b32 exec_lo, exec_lo, s3
	s_cbranch_execnz .LBB26_2
.LBB26_3:
	s_or_b32 exec_lo, exec_lo, s12
	v_mov_b32_e32 v1, 0
	s_waitcnt lgkmcnt(0)
	s_barrier
	buffer_gl0_inv
	s_cmp_lt_i32 s11, 2
	ds_load_b32 v6, v1
	s_cbranch_scc1 .LBB26_11
; %bb.4:
	s_add_i32 s1, s11, -2
	s_add_i32 s0, s11, -1
	s_cmp_lt_u32 s1, 7
	s_cbranch_scc1 .LBB26_8
; %bb.5:
	s_mov_b32 s3, 0
	s_add_i32 s1, 0, 8
	s_and_b32 s6, s0, -8
	.p2align	6
.LBB26_6:                               ; =>This Inner Loop Header: Depth=1
	v_mov_b32_e32 v9, s1
	s_mov_b32 s7, s3
	s_add_i32 s3, s3, 8
	s_add_i32 s1, s1, 64
	s_cmp_eq_u32 s6, s3
	ds_load_2addr_b32 v[1:2], v9 offset1:2
	ds_load_2addr_b32 v[3:4], v9 offset0:4 offset1:6
	ds_load_2addr_b32 v[7:8], v9 offset0:8 offset1:10
	;; [unrolled: 1-line block ×3, first 2 shown]
	s_waitcnt lgkmcnt(3)
	v_max3_f32 v1, v6, v1, v2
	s_waitcnt lgkmcnt(2)
	s_delay_alu instid0(VALU_DEP_1) | instskip(SKIP_1) | instid1(VALU_DEP_1)
	v_max3_f32 v1, v1, v3, v4
	s_waitcnt lgkmcnt(1)
	v_max3_f32 v1, v1, v7, v8
	s_waitcnt lgkmcnt(0)
	s_delay_alu instid0(VALU_DEP_1)
	v_max3_f32 v6, v1, v9, v10
	s_cbranch_scc0 .LBB26_6
; %bb.7:
	s_add_i32 s1, s7, 9
	s_and_b32 s0, s0, 7
	s_delay_alu instid0(SALU_CYCLE_1)
	s_cmp_eq_u32 s0, 0
	s_cbranch_scc0 .LBB26_9
	s_branch .LBB26_11
.LBB26_8:
	s_mov_b32 s1, 1
	s_and_b32 s0, s0, 7
	s_delay_alu instid0(SALU_CYCLE_1)
	s_cmp_eq_u32 s0, 0
	s_cbranch_scc1 .LBB26_11
.LBB26_9:
	s_lshl_b32 s1, s1, 3
	s_delay_alu instid0(SALU_CYCLE_1)
	s_add_i32 s1, s1, 0
.LBB26_10:                              ; =>This Inner Loop Header: Depth=1
	s_waitcnt lgkmcnt(0)
	s_delay_alu instid0(VALU_DEP_1)
	v_dual_mov_b32 v1, s1 :: v_dual_max_f32 v2, v6, v6
	s_add_i32 s0, s0, -1
	s_add_i32 s1, s1, 8
	s_cmp_lg_u32 s0, 0
	ds_load_b32 v1, v1
	s_waitcnt lgkmcnt(0)
	v_max_f32_e32 v1, v1, v1
	s_delay_alu instid0(VALU_DEP_1)
	v_max_f32_e32 v6, v2, v1
	s_cbranch_scc1 .LBB26_10
.LBB26_11:
	s_cmp_lt_i32 s11, 1
	s_cbranch_scc1 .LBB26_16
; %bb.12:
	s_lshl_b32 s0, s2, 8
	v_mov_b32_e32 v7, 0
	s_ashr_i32 s1, s0, 31
	s_mov_b32 s13, 0
	s_lshl_b64 s[0:1], s[0:1], 2
	s_delay_alu instid0(SALU_CYCLE_1)
	s_add_u32 s6, s4, s0
	s_addc_u32 s7, s5, s1
	s_cmp_lt_u32 s11, 8
	s_cbranch_scc1 .LBB26_17
; %bb.13:
	v_or_b32_e32 v1, 0x700, v0
	v_dual_mov_b32 v4, 0 :: v_dual_mov_b32 v7, 0
	v_mov_b32_e32 v8, 0
	s_and_b32 s12, s11, 0x7ffffff8
	s_mov_b32 s14, 0
.LBB26_14:                              ; =>This Inner Loop Header: Depth=1
	s_delay_alu instid0(VALU_DEP_2) | instskip(SKIP_3) | instid1(VALU_DEP_2)
	v_dual_mov_b32 v2, v4 :: v_dual_add_nc_u32 v3, 0xfffff900, v1
	v_mov_b32_e32 v21, s13
	s_add_i32 s14, s14, 8
	s_add_i32 s13, s13, 64
	v_lshlrev_b64 v[9:10], 2, v[3:4]
	v_add_nc_u32_e32 v3, 0xfffffa00, v1
	v_lshlrev_b64 v[11:12], 2, v[1:2]
	s_cmp_eq_u32 s12, s14
	s_delay_alu instid0(VALU_DEP_2) | instskip(NEXT) | instid1(VALU_DEP_4)
	v_lshlrev_b64 v[13:14], 2, v[3:4]
	v_add_co_u32 v9, vcc_lo, s6, v9
	v_add_co_ci_u32_e32 v10, vcc_lo, s7, v10, vcc_lo
	v_add_nc_u32_e32 v3, 0xfffffb00, v1
	s_delay_alu instid0(VALU_DEP_4)
	v_add_co_u32 v13, vcc_lo, s6, v13
	global_load_b32 v25, v[9:10], off
	v_add_co_ci_u32_e32 v14, vcc_lo, s7, v14, vcc_lo
	v_lshlrev_b64 v[15:16], 2, v[3:4]
	v_add_nc_u32_e32 v3, 0xfffffc00, v1
	global_load_b32 v26, v[13:14], off
	v_add_co_u32 v13, vcc_lo, s6, v15
	v_add_co_ci_u32_e32 v14, vcc_lo, s7, v16, vcc_lo
	v_lshlrev_b64 v[9:10], 2, v[3:4]
	v_add_nc_u32_e32 v3, 0xfffffd00, v1
	global_load_b32 v27, v[13:14], off
	v_add_co_u32 v9, vcc_lo, s6, v9
	v_lshlrev_b64 v[15:16], 2, v[3:4]
	v_add_nc_u32_e32 v3, 0xfffffe00, v1
	v_add_co_ci_u32_e32 v10, vcc_lo, s7, v10, vcc_lo
	global_load_b32 v28, v[9:10], off
	v_lshlrev_b64 v[13:14], 2, v[3:4]
	v_add_nc_u32_e32 v3, 0xffffff00, v1
	v_add_co_u32 v9, vcc_lo, s6, v15
	v_add_co_ci_u32_e32 v10, vcc_lo, s7, v16, vcc_lo
	s_delay_alu instid0(VALU_DEP_4) | instskip(NEXT) | instid1(VALU_DEP_4)
	v_add_co_u32 v13, vcc_lo, s6, v13
	v_lshlrev_b64 v[2:3], 2, v[3:4]
	v_add_co_ci_u32_e32 v14, vcc_lo, s7, v14, vcc_lo
	s_clause 0x1
	global_load_b32 v29, v[9:10], off
	global_load_b32 v30, v[13:14], off
	v_add_co_u32 v2, vcc_lo, s6, v2
	v_add_co_ci_u32_e32 v3, vcc_lo, s7, v3, vcc_lo
	v_add_co_u32 v9, vcc_lo, s6, v11
	v_add_co_ci_u32_e32 v10, vcc_lo, s7, v12, vcc_lo
	s_clause 0x1
	global_load_b32 v2, v[2:3], off
	global_load_b32 v3, v[9:10], off
	ds_load_2addr_b64 v[9:12], v21 offset1:1
	ds_load_2addr_b64 v[13:16], v21 offset0:2 offset1:3
	ds_load_2addr_b64 v[17:20], v21 offset0:4 offset1:5
	;; [unrolled: 1-line block ×3, first 2 shown]
	v_add_nc_u32_e32 v1, 0x800, v1
	s_waitcnt lgkmcnt(1)
	v_sub_f32_e32 v19, v19, v6
	v_sub_f32_e32 v11, v11, v6
	s_waitcnt lgkmcnt(0)
	v_sub_f32_e32 v23, v23, v6
	s_delay_alu instid0(VALU_DEP_3) | instskip(NEXT) | instid1(VALU_DEP_3)
	v_dual_sub_f32 v13, v13, v6 :: v_dual_mul_f32 v36, 0x3fb8aa3b, v19
	v_mul_f32_e32 v32, 0x3fb8aa3b, v11
	s_delay_alu instid0(VALU_DEP_2) | instskip(SKIP_1) | instid1(VALU_DEP_4)
	v_dual_mul_f32 v38, 0x3fb8aa3b, v23 :: v_dual_mul_f32 v33, 0x3fb8aa3b, v13
	v_cmp_ngt_f32_e32 vcc_lo, 0xc2ce8ed0, v13
	v_fma_f32 v49, 0x3fb8aa3b, v19, -v36
	s_delay_alu instid0(VALU_DEP_4) | instskip(SKIP_4) | instid1(VALU_DEP_4)
	v_fma_f32 v41, 0x3fb8aa3b, v11, -v32
	v_rndne_f32_e32 v42, v32
	v_fma_f32 v43, 0x3fb8aa3b, v13, -v33
	v_rndne_f32_e32 v44, v33
	v_rndne_f32_e32 v50, v36
	v_dual_fmac_f32 v41, 0x32a5705f, v11 :: v_dual_sub_f32 v32, v32, v42
	v_sub_f32_e32 v15, v15, v6
	v_fmac_f32_e32 v43, 0x32a5705f, v13
	v_sub_f32_e32 v33, v33, v44
	v_cvt_i32_f32_e32 v42, v42
	v_dual_add_f32 v32, v32, v41 :: v_dual_sub_f32 v9, v9, v6
	v_mul_f32_e32 v34, 0x3fb8aa3b, v15
	s_delay_alu instid0(VALU_DEP_4) | instskip(SKIP_1) | instid1(VALU_DEP_4)
	v_add_f32_e32 v33, v33, v43
	v_cvt_i32_f32_e32 v44, v44
	v_exp_f32_e32 v32, v32
	v_mul_f32_e32 v31, 0x3fb8aa3b, v9
	v_fma_f32 v45, 0x3fb8aa3b, v15, -v34
	v_rndne_f32_e32 v46, v34
	v_exp_f32_e32 v33, v33
	v_cmp_ngt_f32_e64 s5, 0xc2ce8ed0, v9
	v_fma_f32 v39, 0x3fb8aa3b, v9, -v31
	v_rndne_f32_e32 v40, v31
	v_dual_fmac_f32 v45, 0x32a5705f, v15 :: v_dual_sub_f32 v34, v34, v46
	v_sub_f32_e32 v17, v17, v6
	s_delay_alu instid0(VALU_DEP_4) | instskip(NEXT) | instid1(VALU_DEP_4)
	v_fmac_f32_e32 v39, 0x32a5705f, v9
	v_sub_f32_e32 v31, v31, v40
	v_cvt_i32_f32_e32 v40, v40
	v_add_f32_e32 v34, v34, v45
	v_ldexp_f32 v32, v32, v42
	v_ldexp_f32 v33, v33, v44
	v_add_f32_e32 v31, v31, v39
	v_cvt_i32_f32_e32 v46, v46
	v_exp_f32_e32 v34, v34
	v_cmp_ngt_f32_e64 s0, 0xc2ce8ed0, v15
	v_fmac_f32_e32 v49, 0x32a5705f, v19
	v_exp_f32_e32 v31, v31
	v_sub_f32_e32 v36, v36, v50
	v_cvt_i32_f32_e32 v50, v50
	v_cmp_ngt_f32_e64 s1, 0xc2ce8ed0, v17
	v_rndne_f32_e32 v54, v38
	s_delay_alu instid0(VALU_DEP_4) | instskip(NEXT) | instid1(TRANS32_DEP_2)
	v_add_f32_e32 v36, v36, v49
	v_ldexp_f32 v34, v34, v46
	v_cmp_ngt_f32_e64 s2, 0xc2ce8ed0, v19
	s_delay_alu instid0(TRANS32_DEP_1) | instskip(NEXT) | instid1(VALU_DEP_4)
	v_ldexp_f32 v31, v31, v40
	v_exp_f32_e32 v36, v36
	s_delay_alu instid0(VALU_DEP_1) | instskip(SKIP_1) | instid1(VALU_DEP_1)
	v_cndmask_b32_e64 v31, 0, v31, s5
	v_cmp_ngt_f32_e64 s5, 0xc2ce8ed0, v11
	v_cndmask_b32_e64 v32, 0, v32, s5
	v_cmp_nlt_f32_e64 s5, 0x42b17218, v9
	s_waitcnt_depctr 0xfff
	v_ldexp_f32 v36, v36, v50
	v_cndmask_b32_e64 v9, 0x7f800000, v31, s5
	v_cndmask_b32_e32 v31, 0, v33, vcc_lo
	v_cmp_nlt_f32_e32 vcc_lo, 0x42b17218, v11
	s_delay_alu instid0(VALU_DEP_3) | instskip(SKIP_1) | instid1(VALU_DEP_2)
	v_dual_fmac_f32 v8, v9, v10 :: v_dual_cndmask_b32 v11, 0x7f800000, v32
	v_cmp_nlt_f32_e32 vcc_lo, 0x42b17218, v13
	v_fmac_f32_e32 v8, v11, v12
	v_cndmask_b32_e32 v10, 0x7f800000, v31, vcc_lo
	v_cmp_nlt_f32_e32 vcc_lo, 0x42b17218, v15
	v_fma_f32 v53, 0x3fb8aa3b, v23, -v38
	v_sub_f32_e32 v38, v38, v54
	v_cvt_i32_f32_e32 v54, v54
	v_fmac_f32_e32 v8, v10, v14
	v_cmp_ngt_f32_e64 s4, 0xc2ce8ed0, v23
	v_fmac_f32_e32 v53, 0x32a5705f, v23
	s_delay_alu instid0(VALU_DEP_1) | instskip(NEXT) | instid1(VALU_DEP_1)
	v_dual_sub_f32 v21, v21, v6 :: v_dual_add_f32 v38, v38, v53
	v_cmp_ngt_f32_e64 s3, 0xc2ce8ed0, v21
	s_delay_alu instid0(VALU_DEP_2)
	v_exp_f32_e32 v38, v38
	s_waitcnt_depctr 0xfff
	v_ldexp_f32 v38, v38, v54
	s_waitcnt vmcnt(7)
	v_fmac_f32_e32 v7, v25, v9
	v_cndmask_b32_e64 v9, 0, v34, s0
	s_delay_alu instid0(VALU_DEP_1) | instskip(SKIP_1) | instid1(VALU_DEP_3)
	v_cndmask_b32_e32 v9, 0x7f800000, v9, vcc_lo
	s_waitcnt vmcnt(6)
	v_fmac_f32_e32 v7, v26, v11
	v_cmp_nlt_f32_e32 vcc_lo, 0x42b17218, v17
	s_delay_alu instid0(VALU_DEP_3) | instskip(SKIP_1) | instid1(VALU_DEP_3)
	v_dual_fmac_f32 v8, v9, v16 :: v_dual_mul_f32 v35, 0x3fb8aa3b, v17
	s_waitcnt vmcnt(5)
	v_fmac_f32_e32 v7, v27, v10
	s_delay_alu instid0(VALU_DEP_2) | instskip(SKIP_2) | instid1(VALU_DEP_3)
	v_fma_f32 v47, 0x3fb8aa3b, v17, -v35
	v_rndne_f32_e32 v48, v35
	v_cndmask_b32_e64 v10, 0, v36, s2
	v_fmac_f32_e32 v47, 0x32a5705f, v17
	s_delay_alu instid0(VALU_DEP_3) | instskip(SKIP_1) | instid1(VALU_DEP_2)
	v_sub_f32_e32 v35, v35, v48
	v_cvt_i32_f32_e32 v48, v48
	v_add_f32_e32 v35, v35, v47
	s_waitcnt vmcnt(4)
	v_fmac_f32_e32 v7, v28, v9
	s_delay_alu instid0(VALU_DEP_2) | instskip(SKIP_2) | instid1(VALU_DEP_1)
	v_exp_f32_e32 v35, v35
	s_waitcnt_depctr 0xfff
	v_ldexp_f32 v35, v35, v48
	v_cndmask_b32_e64 v11, 0, v35, s1
	s_delay_alu instid0(VALU_DEP_1) | instskip(SKIP_1) | instid1(VALU_DEP_2)
	v_cndmask_b32_e32 v11, 0x7f800000, v11, vcc_lo
	v_cmp_nlt_f32_e32 vcc_lo, 0x42b17218, v19
	v_fmac_f32_e32 v8, v11, v18
	v_cndmask_b32_e32 v10, 0x7f800000, v10, vcc_lo
	v_mul_f32_e32 v37, 0x3fb8aa3b, v21
	s_waitcnt vmcnt(3)
	v_fmac_f32_e32 v7, v29, v11
	v_cmp_nlt_f32_e32 vcc_lo, 0x42b17218, v21
	v_cndmask_b32_e64 v11, 0, v38, s4
	v_fmac_f32_e32 v8, v10, v20
	v_fma_f32 v51, 0x3fb8aa3b, v21, -v37
	v_rndne_f32_e32 v52, v37
	s_waitcnt vmcnt(2)
	v_fmac_f32_e32 v7, v30, v10
	s_delay_alu instid0(VALU_DEP_3) | instskip(NEXT) | instid1(VALU_DEP_3)
	v_fmac_f32_e32 v51, 0x32a5705f, v21
	v_sub_f32_e32 v37, v37, v52
	v_cvt_i32_f32_e32 v52, v52
	s_delay_alu instid0(VALU_DEP_2) | instskip(NEXT) | instid1(VALU_DEP_1)
	v_add_f32_e32 v37, v37, v51
	v_exp_f32_e32 v37, v37
	s_waitcnt_depctr 0xfff
	v_ldexp_f32 v37, v37, v52
	s_delay_alu instid0(VALU_DEP_1) | instskip(NEXT) | instid1(VALU_DEP_1)
	v_cndmask_b32_e64 v9, 0, v37, s3
	v_cndmask_b32_e32 v9, 0x7f800000, v9, vcc_lo
	v_cmp_nlt_f32_e32 vcc_lo, 0x42b17218, v23
	s_delay_alu instid0(VALU_DEP_2) | instskip(SKIP_3) | instid1(VALU_DEP_1)
	v_fmac_f32_e32 v8, v9, v22
	s_waitcnt vmcnt(1)
	v_dual_cndmask_b32 v10, 0x7f800000, v11 :: v_dual_fmac_f32 v7, v2, v9
	s_waitcnt vmcnt(0)
	v_dual_fmac_f32 v8, v10, v24 :: v_dual_fmac_f32 v7, v3, v10
	s_cbranch_scc0 .LBB26_14
; %bb.15:
	s_and_b32 s0, s11, 7
	s_delay_alu instid0(SALU_CYCLE_1)
	s_cmp_eq_u32 s0, 0
	s_cbranch_scc0 .LBB26_18
	s_branch .LBB26_20
.LBB26_16:
	v_mov_b32_e32 v0, 0x7fc00000
	s_branch .LBB26_21
.LBB26_17:
	v_mov_b32_e32 v8, 0
	s_mov_b32 s12, 0
	s_and_b32 s0, s11, 7
	s_delay_alu instid0(SALU_CYCLE_1)
	s_cmp_eq_u32 s0, 0
	s_cbranch_scc1 .LBB26_20
.LBB26_18:
	v_lshl_or_b32 v0, s12, 8, v0
	v_mov_b32_e32 v1, 0
	s_lshl_b32 s1, s12, 3
	s_delay_alu instid0(SALU_CYCLE_1)
	s_add_i32 s1, s1, 0
	s_set_inst_prefetch_distance 0x1
	.p2align	6
.LBB26_19:                              ; =>This Inner Loop Header: Depth=1
	s_delay_alu instid0(VALU_DEP_1) | instskip(SKIP_2) | instid1(VALU_DEP_2)
	v_lshlrev_b64 v[2:3], 2, v[0:1]
	s_add_i32 s0, s0, -1
	v_add_nc_u32_e32 v0, 0x100, v0
	v_add_co_u32 v2, vcc_lo, s6, v2
	s_delay_alu instid0(VALU_DEP_3)
	v_add_co_ci_u32_e32 v3, vcc_lo, s7, v3, vcc_lo
	global_load_b32 v4, v[2:3], off
	v_mov_b32_e32 v2, s1
	s_add_i32 s1, s1, 8
	s_cmp_lg_u32 s0, 0
	ds_load_b64 v[2:3], v2
	s_waitcnt lgkmcnt(0)
	v_sub_f32_e32 v2, v2, v6
	s_delay_alu instid0(VALU_DEP_1) | instskip(SKIP_1) | instid1(VALU_DEP_2)
	v_mul_f32_e32 v9, 0x3fb8aa3b, v2
	v_cmp_ngt_f32_e32 vcc_lo, 0xc2ce8ed0, v2
	v_fma_f32 v10, 0x3fb8aa3b, v2, -v9
	v_rndne_f32_e32 v11, v9
	s_delay_alu instid0(VALU_DEP_1) | instskip(NEXT) | instid1(VALU_DEP_1)
	v_dual_fmac_f32 v10, 0x32a5705f, v2 :: v_dual_sub_f32 v9, v9, v11
	v_add_f32_e32 v9, v9, v10
	v_cvt_i32_f32_e32 v10, v11
	s_delay_alu instid0(VALU_DEP_2) | instskip(SKIP_2) | instid1(VALU_DEP_1)
	v_exp_f32_e32 v9, v9
	s_waitcnt_depctr 0xfff
	v_ldexp_f32 v9, v9, v10
	v_cndmask_b32_e32 v9, 0, v9, vcc_lo
	v_cmp_nlt_f32_e32 vcc_lo, 0x42b17218, v2
	s_delay_alu instid0(VALU_DEP_2) | instskip(SKIP_1) | instid1(VALU_DEP_1)
	v_cndmask_b32_e32 v2, 0x7f800000, v9, vcc_lo
	s_waitcnt vmcnt(0)
	v_dual_fmac_f32 v8, v2, v3 :: v_dual_fmac_f32 v7, v4, v2
	s_cbranch_scc1 .LBB26_19
.LBB26_20:
	s_set_inst_prefetch_distance 0x2
	s_delay_alu instid0(VALU_DEP_1) | instskip(NEXT) | instid1(VALU_DEP_1)
	v_div_scale_f32 v0, null, v8, v8, v7
	v_rcp_f32_e32 v1, v0
	s_waitcnt_depctr 0xfff
	v_fma_f32 v2, -v0, v1, 1.0
	s_delay_alu instid0(VALU_DEP_1) | instskip(SKIP_1) | instid1(VALU_DEP_1)
	v_fmac_f32_e32 v1, v2, v1
	v_div_scale_f32 v2, vcc_lo, v7, v8, v7
	v_mul_f32_e32 v3, v2, v1
	s_delay_alu instid0(VALU_DEP_1) | instskip(NEXT) | instid1(VALU_DEP_1)
	v_fma_f32 v4, -v0, v3, v2
	v_fmac_f32_e32 v3, v4, v1
	s_delay_alu instid0(VALU_DEP_1) | instskip(NEXT) | instid1(VALU_DEP_1)
	v_fma_f32 v0, -v0, v3, v2
	v_div_fmas_f32 v0, v0, v1, v3
	s_delay_alu instid0(VALU_DEP_1)
	v_div_fixup_f32 v0, v0, v8, v7
.LBB26_21:
	s_lshl_b32 s0, s10, 8
	s_delay_alu instid0(SALU_CYCLE_1) | instskip(NEXT) | instid1(SALU_CYCLE_1)
	s_ashr_i32 s1, s0, 31
	s_lshl_b64 s[0:1], s[0:1], 2
	s_delay_alu instid0(SALU_CYCLE_1)
	s_add_u32 s0, s8, s0
	s_addc_u32 s1, s9, s1
	global_store_b32 v5, v0, s[0:1]
	s_nop 0
	s_sendmsg sendmsg(MSG_DEALLOC_VGPRS)
	s_endpgm
	.section	.rodata,"a",@progbits
	.p2align	6, 0x0
	.amdhsa_kernel _ZL26flash_attn_combine_resultsILi256EEvPKfPK15HIP_vector_typeIfLj2EEPfi
		.amdhsa_group_segment_fixed_size 0
		.amdhsa_private_segment_fixed_size 0
		.amdhsa_kernarg_size 288
		.amdhsa_user_sgpr_count 13
		.amdhsa_user_sgpr_dispatch_ptr 0
		.amdhsa_user_sgpr_queue_ptr 0
		.amdhsa_user_sgpr_kernarg_segment_ptr 1
		.amdhsa_user_sgpr_dispatch_id 0
		.amdhsa_user_sgpr_private_segment_size 0
		.amdhsa_wavefront_size32 1
		.amdhsa_uses_dynamic_stack 0
		.amdhsa_enable_private_segment 0
		.amdhsa_system_sgpr_workgroup_id_x 1
		.amdhsa_system_sgpr_workgroup_id_y 1
		.amdhsa_system_sgpr_workgroup_id_z 1
		.amdhsa_system_sgpr_workgroup_info 0
		.amdhsa_system_vgpr_workitem_id 0
		.amdhsa_next_free_vgpr 55
		.amdhsa_next_free_sgpr 16
		.amdhsa_reserve_vcc 1
		.amdhsa_float_round_mode_32 0
		.amdhsa_float_round_mode_16_64 0
		.amdhsa_float_denorm_mode_32 3
		.amdhsa_float_denorm_mode_16_64 3
		.amdhsa_dx10_clamp 1
		.amdhsa_ieee_mode 1
		.amdhsa_fp16_overflow 0
		.amdhsa_workgroup_processor_mode 1
		.amdhsa_memory_ordered 1
		.amdhsa_forward_progress 0
		.amdhsa_shared_vgpr_count 0
		.amdhsa_exception_fp_ieee_invalid_op 0
		.amdhsa_exception_fp_denorm_src 0
		.amdhsa_exception_fp_ieee_div_zero 0
		.amdhsa_exception_fp_ieee_overflow 0
		.amdhsa_exception_fp_ieee_underflow 0
		.amdhsa_exception_fp_ieee_inexact 0
		.amdhsa_exception_int_div_zero 0
	.end_amdhsa_kernel
	.section	.text._ZL26flash_attn_combine_resultsILi256EEvPKfPK15HIP_vector_typeIfLj2EEPfi,"axG",@progbits,_ZL26flash_attn_combine_resultsILi256EEvPKfPK15HIP_vector_typeIfLj2EEPfi,comdat
.Lfunc_end26:
	.size	_ZL26flash_attn_combine_resultsILi256EEvPKfPK15HIP_vector_typeIfLj2EEPfi, .Lfunc_end26-_ZL26flash_attn_combine_resultsILi256EEvPKfPK15HIP_vector_typeIfLj2EEPfi
                                        ; -- End function
	.section	.AMDGPU.csdata,"",@progbits
; Kernel info:
; codeLenInByte = 2352
; NumSgprs: 18
; NumVgprs: 55
; ScratchSize: 0
; MemoryBound: 0
; FloatMode: 240
; IeeeMode: 1
; LDSByteSize: 0 bytes/workgroup (compile time only)
; SGPRBlocks: 2
; VGPRBlocks: 6
; NumSGPRsForWavesPerEU: 18
; NumVGPRsForWavesPerEU: 55
; Occupancy: 16
; WaveLimiterHint : 0
; COMPUTE_PGM_RSRC2:SCRATCH_EN: 0
; COMPUTE_PGM_RSRC2:USER_SGPR: 13
; COMPUTE_PGM_RSRC2:TRAP_HANDLER: 0
; COMPUTE_PGM_RSRC2:TGID_X_EN: 1
; COMPUTE_PGM_RSRC2:TGID_Y_EN: 1
; COMPUTE_PGM_RSRC2:TGID_Z_EN: 1
; COMPUTE_PGM_RSRC2:TIDIG_COMP_CNT: 0
	.section	.text._ZL18flash_attn_ext_vecILi256ELi1EL9ggml_type3ELS0_3ELb1EEvPKcS2_S2_S2_S2_PKiPfP15HIP_vector_typeIfLj2EEffffjfiS6_IjLj3EEiiiiiiiiiiiliiliiiiil,"axG",@progbits,_ZL18flash_attn_ext_vecILi256ELi1EL9ggml_type3ELS0_3ELb1EEvPKcS2_S2_S2_S2_PKiPfP15HIP_vector_typeIfLj2EEffffjfiS6_IjLj3EEiiiiiiiiiiiliiliiiiil,comdat
	.globl	_ZL18flash_attn_ext_vecILi256ELi1EL9ggml_type3ELS0_3ELb1EEvPKcS2_S2_S2_S2_PKiPfP15HIP_vector_typeIfLj2EEffffjfiS6_IjLj3EEiiiiiiiiiiiliiliiiiil ; -- Begin function _ZL18flash_attn_ext_vecILi256ELi1EL9ggml_type3ELS0_3ELb1EEvPKcS2_S2_S2_S2_PKiPfP15HIP_vector_typeIfLj2EEffffjfiS6_IjLj3EEiiiiiiiiiiiliiliiiiil
	.p2align	8
	.type	_ZL18flash_attn_ext_vecILi256ELi1EL9ggml_type3ELS0_3ELb1EEvPKcS2_S2_S2_S2_PKiPfP15HIP_vector_typeIfLj2EEffffjfiS6_IjLj3EEiiiiiiiiiiiliiliiiiil,@function
_ZL18flash_attn_ext_vecILi256ELi1EL9ggml_type3ELS0_3ELb1EEvPKcS2_S2_S2_S2_PKiPfP15HIP_vector_typeIfLj2EEffffjfiS6_IjLj3EEiiiiiiiiiiiliiliiiiil: ; @_ZL18flash_attn_ext_vecILi256ELi1EL9ggml_type3ELS0_3ELb1EEvPKcS2_S2_S2_S2_PKiPfP15HIP_vector_typeIfLj2EEffffjfiS6_IjLj3EEiiiiiiiiiiiliiliiiiil
; %bb.0:
	s_clause 0x2
	s_load_b64 s[84:85], s[0:1], 0x64
	s_load_b64 s[88:89], s[0:1], 0x80
	;; [unrolled: 1-line block ×3, first 2 shown]
	v_mov_b32_e32 v3, 1.0
	s_load_b64 s[90:91], s[0:1], 0x50
	scratch_store_b32 off, v3, off offset:572 ; 4-byte Folded Spill
	s_waitcnt lgkmcnt(0)
	v_cvt_f32_u32_e32 v1, s85
	s_sub_i32 s3, 0, s85
	s_delay_alu instid0(VALU_DEP_1) | instskip(SKIP_2) | instid1(VALU_DEP_1)
	v_rcp_iflag_f32_e32 v1, v1
	s_waitcnt_depctr 0xfff
	v_mul_f32_e32 v1, 0x4f7ffffe, v1
	v_cvt_u32_f32_e32 v1, v1
	s_delay_alu instid0(VALU_DEP_1) | instskip(NEXT) | instid1(VALU_DEP_1)
	v_readfirstlane_b32 s2, v1
	s_mul_i32 s3, s3, s2
	s_delay_alu instid0(SALU_CYCLE_1) | instskip(NEXT) | instid1(SALU_CYCLE_1)
	s_mul_hi_u32 s3, s2, s3
	s_add_i32 s2, s2, s3
	s_delay_alu instid0(SALU_CYCLE_1) | instskip(NEXT) | instid1(SALU_CYCLE_1)
	s_mul_hi_u32 s2, s15, s2
	s_mul_i32 s3, s2, s85
	s_add_i32 s4, s2, 1
	s_sub_i32 s3, s15, s3
	s_delay_alu instid0(SALU_CYCLE_1)
	s_sub_i32 s5, s3, s85
	s_cmp_ge_u32 s3, s85
	s_cselect_b32 s2, s4, s2
	s_cselect_b32 s3, s5, s3
	s_add_i32 s4, s2, 1
	s_cmp_ge_u32 s3, s85
	s_cselect_b32 s96, s4, s2
	s_abs_i32 s2, s89
	s_abs_i32 s8, s85
	v_cvt_f32_u32_e32 v1, s2
	s_sub_i32 s4, 0, s2
	s_xor_b32 s5, s85, s89
	s_delay_alu instid0(SALU_CYCLE_1) | instskip(NEXT) | instid1(VALU_DEP_1)
	s_ashr_i32 s5, s5, 31
	v_rcp_iflag_f32_e32 v1, v1
	s_waitcnt_depctr 0xfff
	v_mul_f32_e32 v1, 0x4f7ffffe, v1
	s_delay_alu instid0(VALU_DEP_1) | instskip(NEXT) | instid1(VALU_DEP_1)
	v_cvt_u32_f32_e32 v1, v1
	v_readfirstlane_b32 s3, v1
	s_delay_alu instid0(VALU_DEP_1) | instskip(NEXT) | instid1(SALU_CYCLE_1)
	s_mul_i32 s4, s4, s3
	s_mul_hi_u32 s4, s3, s4
	s_delay_alu instid0(SALU_CYCLE_1) | instskip(SKIP_4) | instid1(SALU_CYCLE_1)
	s_add_i32 s3, s3, s4
	s_mul_i32 s4, s96, s85
	s_mul_hi_u32 s3, s8, s3
	s_sub_i32 s86, s15, s4
	s_mul_i32 s9, s3, s2
	s_sub_i32 s4, s8, s9
	s_add_i32 s8, s3, 1
	s_sub_i32 s9, s4, s2
	s_cmp_ge_u32 s4, s2
	s_cselect_b32 s3, s8, s3
	s_cselect_b32 s4, s9, s4
	s_add_i32 s8, s3, 1
	s_cmp_ge_u32 s4, s2
	s_cselect_b32 s2, s8, s3
	s_abs_i32 s12, s6
	s_xor_b32 s2, s2, s5
	v_cvt_f32_u32_e32 v1, s12
	s_sub_i32 s17, s2, s5
	s_load_b128 s[8:11], s[0:1], 0x40
	s_abs_i32 s15, s17
	s_abs_i32 s16, s86
	v_cvt_f32_u32_e32 v2, s15
	v_rcp_iflag_f32_e32 v1, v1
	s_sub_i32 s3, 0, s15
	s_delay_alu instid0(VALU_DEP_1) | instskip(SKIP_2) | instid1(VALU_DEP_1)
	v_rcp_iflag_f32_e32 v2, v2
	s_waitcnt_depctr 0xfff
	v_dual_mul_f32 v1, 0x4f7ffffe, v1 :: v_dual_mul_f32 v2, 0x4f7ffffe, v2
	v_cvt_u32_f32_e32 v1, v1
	s_waitcnt lgkmcnt(0)
	v_cmp_le_f32_e64 s2, s9, 0
	s_abs_i32 s9, s96
	v_cvt_u32_f32_e32 v2, v2
	v_readfirstlane_b32 s5, v1
	s_delay_alu instid0(VALU_DEP_3) | instskip(SKIP_1) | instid1(VALU_DEP_2)
	s_and_b32 vcc_lo, exec_lo, s2
	s_sub_i32 s2, 0, s12
	v_readfirstlane_b32 s6, v2
	s_delay_alu instid0(VALU_DEP_2) | instskip(NEXT) | instid1(SALU_CYCLE_1)
	s_mul_i32 s2, s2, s5
	s_mul_hi_u32 s2, s5, s2
	s_delay_alu instid0(VALU_DEP_1) | instskip(SKIP_2) | instid1(SALU_CYCLE_1)
	s_mul_i32 s3, s3, s6
	s_add_i32 s5, s5, s2
	s_mul_hi_u32 s3, s6, s3
	s_add_i32 s6, s6, s3
	s_cbranch_vccnz .LBB27_2
; %bb.1:
	s_sub_i32 s2, s86, s90
	s_add_i32 s3, s86, 1
	s_lshl_b32 s2, s2, 1
	v_mov_b32_e32 v1, s10
	s_or_b32 s2, s2, 1
	s_cmp_lt_u32 s86, s90
	s_cselect_b32 vcc_lo, -1, 0
	s_delay_alu instid0(VALU_DEP_1)
	v_cndmask_b32_e32 v3, s11, v1, vcc_lo
	s_and_b32 s4, vcc_lo, exec_lo
	s_cselect_b32 s2, s3, s2
	s_mov_b32 s3, 0x3e76c4e1
	v_cvt_f32_i32_e32 v1, s2
	v_cmp_neq_f32_e32 vcc_lo, 1.0, v3
	s_delay_alu instid0(VALU_DEP_2) | instskip(NEXT) | instid1(VALU_DEP_1)
	v_cndmask_b32_e32 v4, 1.0, v1, vcc_lo
	v_cmp_eq_f32_e32 vcc_lo, 0, v4
	v_cndmask_b32_e64 v5, |v3|, 1.0, vcc_lo
	s_delay_alu instid0(VALU_DEP_1) | instskip(NEXT) | instid1(VALU_DEP_1)
	v_frexp_mant_f32_e32 v1, v5
	v_cmp_gt_f32_e64 s2, 0x3f2aaaab, v1
	s_delay_alu instid0(VALU_DEP_1) | instskip(NEXT) | instid1(VALU_DEP_1)
	v_cndmask_b32_e64 v2, 1.0, 2.0, s2
	v_mul_f32_e32 v1, v1, v2
	s_delay_alu instid0(VALU_DEP_1) | instskip(SKIP_1) | instid1(VALU_DEP_2)
	v_add_f32_e32 v2, 1.0, v1
	v_add_f32_e32 v7, -1.0, v1
	v_rcp_f32_e32 v6, v2
	s_waitcnt_depctr 0xfff
	v_mul_f32_e32 v8, v7, v6
	s_delay_alu instid0(VALU_DEP_1) | instskip(NEXT) | instid1(VALU_DEP_1)
	v_dual_add_f32 v9, -1.0, v2 :: v_dual_mul_f32 v10, v2, v8
	v_sub_f32_e32 v1, v1, v9
	v_cndmask_b32_e64 v3, v3, 1.0, vcc_lo
	s_delay_alu instid0(VALU_DEP_3) | instskip(NEXT) | instid1(VALU_DEP_2)
	v_fma_f32 v2, v8, v2, -v10
	v_cmp_eq_f32_e64 s4, 0, v3
	s_delay_alu instid0(VALU_DEP_2) | instskip(NEXT) | instid1(VALU_DEP_1)
	v_fmac_f32_e32 v2, v8, v1
	v_add_f32_e32 v1, v10, v2
	s_delay_alu instid0(VALU_DEP_1) | instskip(NEXT) | instid1(VALU_DEP_1)
	v_dual_sub_f32 v10, v1, v10 :: v_dual_sub_f32 v9, v7, v1
	v_dual_sub_f32 v2, v10, v2 :: v_dual_sub_f32 v7, v7, v9
	s_delay_alu instid0(VALU_DEP_1) | instskip(NEXT) | instid1(VALU_DEP_1)
	v_sub_f32_e32 v1, v7, v1
	v_add_f32_e32 v1, v2, v1
	s_delay_alu instid0(VALU_DEP_1) | instskip(NEXT) | instid1(VALU_DEP_1)
	v_add_f32_e32 v1, v9, v1
	v_mul_f32_e32 v1, v6, v1
	s_delay_alu instid0(VALU_DEP_1) | instskip(NEXT) | instid1(VALU_DEP_1)
	v_add_f32_e32 v6, v8, v1
	v_sub_f32_e32 v2, v6, v8
	v_mul_f32_e32 v7, v6, v6
	s_delay_alu instid0(VALU_DEP_2) | instskip(NEXT) | instid1(VALU_DEP_2)
	v_sub_f32_e32 v8, v1, v2
	v_fma_f32 v9, v6, v6, -v7
	s_delay_alu instid0(VALU_DEP_2) | instskip(NEXT) | instid1(VALU_DEP_1)
	v_add_f32_e32 v1, v8, v8
	v_fmac_f32_e32 v9, v6, v1
	v_cvt_f64_f32_e32 v[1:2], v5
	s_delay_alu instid0(VALU_DEP_2) | instskip(NEXT) | instid1(VALU_DEP_1)
	v_add_f32_e32 v10, v7, v9
	v_fmaak_f32 v11, s3, v10, 0x3e91f4c4
	v_sub_f32_e32 v7, v10, v7
	v_mul_f32_e32 v14, v6, v10
	s_delay_alu instid0(VALU_DEP_3) | instskip(NEXT) | instid1(VALU_DEP_3)
	v_fmaak_f32 v11, v10, v11, 0x3ecccdef
	v_sub_f32_e32 v7, v9, v7
	s_delay_alu instid0(VALU_DEP_2) | instskip(NEXT) | instid1(VALU_DEP_1)
	v_mul_f32_e32 v12, v10, v11
	v_fma_f32 v9, v10, v11, -v12
	s_delay_alu instid0(VALU_DEP_1) | instskip(NEXT) | instid1(VALU_DEP_1)
	v_fmac_f32_e32 v9, v7, v11
	v_add_f32_e32 v11, v12, v9
	v_frexp_exp_i32_f64_e32 v1, v[1:2]
	s_delay_alu instid0(VALU_DEP_2) | instskip(NEXT) | instid1(VALU_DEP_1)
	v_sub_f32_e32 v12, v11, v12
	v_sub_f32_e32 v2, v9, v12
	v_fma_f32 v12, v10, v6, -v14
	s_delay_alu instid0(VALU_DEP_2) | instskip(NEXT) | instid1(VALU_DEP_2)
	v_add_f32_e32 v2, 0x31739010, v2
	v_dual_add_f32 v13, 0x3f2aaaaa, v11 :: v_dual_fmac_f32 v12, v10, v8
	v_ldexp_f32 v8, v8, 1
	s_delay_alu instid0(VALU_DEP_2) | instskip(NEXT) | instid1(VALU_DEP_1)
	v_dual_add_f32 v9, 0xbf2aaaaa, v13 :: v_dual_fmac_f32 v12, v7, v6
	v_sub_f32_e32 v9, v11, v9
	s_delay_alu instid0(VALU_DEP_1) | instskip(NEXT) | instid1(VALU_DEP_3)
	v_add_f32_e32 v2, v2, v9
	v_add_f32_e32 v9, v14, v12
	s_delay_alu instid0(VALU_DEP_2) | instskip(NEXT) | instid1(VALU_DEP_1)
	v_add_f32_e32 v7, v13, v2
	v_sub_f32_e32 v10, v13, v7
	s_delay_alu instid0(VALU_DEP_3) | instskip(SKIP_2) | instid1(VALU_DEP_4)
	v_mul_f32_e32 v11, v9, v7
	v_sub_f32_e32 v13, v9, v14
	v_subrev_co_ci_u32_e64 v1, s2, 0, v1, s2
	v_add_f32_e32 v2, v2, v10
	s_delay_alu instid0(VALU_DEP_4) | instskip(NEXT) | instid1(VALU_DEP_4)
	v_fma_f32 v10, v9, v7, -v11
	v_sub_f32_e32 v12, v12, v13
	s_delay_alu instid0(VALU_DEP_4) | instskip(NEXT) | instid1(VALU_DEP_3)
	v_cvt_f32_i32_e32 v1, v1
	v_fmac_f32_e32 v10, v9, v2
	v_ldexp_f32 v2, v6, 1
	s_delay_alu instid0(VALU_DEP_2) | instskip(NEXT) | instid1(VALU_DEP_1)
	v_fmac_f32_e32 v10, v12, v7
	v_add_f32_e32 v6, v11, v10
	s_delay_alu instid0(VALU_DEP_1) | instskip(NEXT) | instid1(VALU_DEP_1)
	v_add_f32_e32 v7, v2, v6
	v_dual_sub_f32 v2, v7, v2 :: v_dual_sub_f32 v9, v6, v11
	s_delay_alu instid0(VALU_DEP_1) | instskip(NEXT) | instid1(VALU_DEP_2)
	v_sub_f32_e32 v2, v6, v2
	v_sub_f32_e32 v9, v10, v9
	s_delay_alu instid0(VALU_DEP_1) | instskip(NEXT) | instid1(VALU_DEP_1)
	v_add_f32_e32 v6, v8, v9
	v_dual_mul_f32 v11, 0x3f317218, v1 :: v_dual_add_f32 v2, v6, v2
	s_delay_alu instid0(VALU_DEP_1) | instskip(NEXT) | instid1(VALU_DEP_2)
	v_fma_f32 v10, 0x3f317218, v1, -v11
	v_add_f32_e32 v8, v7, v2
	s_delay_alu instid0(VALU_DEP_1) | instskip(NEXT) | instid1(VALU_DEP_1)
	v_sub_f32_e32 v7, v8, v7
	v_dual_fmamk_f32 v1, v1, 0xb102e308, v10 :: v_dual_sub_f32 v2, v2, v7
	s_delay_alu instid0(VALU_DEP_1) | instskip(NEXT) | instid1(VALU_DEP_1)
	v_add_f32_e32 v6, v11, v1
	v_add_f32_e32 v9, v6, v8
	s_delay_alu instid0(VALU_DEP_1) | instskip(NEXT) | instid1(VALU_DEP_1)
	v_dual_sub_f32 v11, v6, v11 :: v_dual_sub_f32 v10, v9, v6
	v_sub_f32_e32 v12, v9, v10
	s_delay_alu instid0(VALU_DEP_2) | instskip(NEXT) | instid1(VALU_DEP_2)
	v_sub_f32_e32 v1, v1, v11
	v_dual_sub_f32 v7, v8, v10 :: v_dual_sub_f32 v6, v6, v12
	s_delay_alu instid0(VALU_DEP_2) | instskip(NEXT) | instid1(VALU_DEP_2)
	v_add_f32_e32 v8, v1, v2
	v_add_f32_e32 v6, v7, v6
	s_delay_alu instid0(VALU_DEP_1) | instskip(NEXT) | instid1(VALU_DEP_1)
	v_add_f32_e32 v6, v8, v6
	v_dual_sub_f32 v7, v8, v1 :: v_dual_add_f32 v10, v9, v6
	s_delay_alu instid0(VALU_DEP_1) | instskip(SKIP_1) | instid1(VALU_DEP_3)
	v_sub_f32_e32 v8, v8, v7
	v_sub_f32_e32 v2, v2, v7
	;; [unrolled: 1-line block ×3, first 2 shown]
	s_delay_alu instid0(VALU_DEP_3) | instskip(NEXT) | instid1(VALU_DEP_1)
	v_sub_f32_e32 v1, v1, v8
	v_add_f32_e32 v1, v2, v1
	s_delay_alu instid0(VALU_DEP_3) | instskip(NEXT) | instid1(VALU_DEP_1)
	v_sub_f32_e32 v2, v6, v7
	v_add_f32_e32 v1, v1, v2
	s_delay_alu instid0(VALU_DEP_1) | instskip(NEXT) | instid1(VALU_DEP_1)
	v_add_f32_e32 v2, v10, v1
	v_mul_f32_e32 v7, v4, v2
	v_sub_f32_e32 v6, v2, v10
	s_delay_alu instid0(VALU_DEP_2) | instskip(NEXT) | instid1(VALU_DEP_2)
	v_fma_f32 v2, v4, v2, -v7
	v_sub_f32_e32 v1, v1, v6
	v_cmp_class_f32_e64 s2, v7, 0x204
	s_delay_alu instid0(VALU_DEP_2) | instskip(NEXT) | instid1(VALU_DEP_1)
	v_fmac_f32_e32 v2, v4, v1
	v_add_f32_e32 v1, v7, v2
	s_delay_alu instid0(VALU_DEP_1) | instskip(NEXT) | instid1(VALU_DEP_1)
	v_cndmask_b32_e64 v6, v1, v7, s2
	v_cmp_eq_f32_e64 s2, 0x42b17218, v6
	s_delay_alu instid0(VALU_DEP_1) | instskip(SKIP_1) | instid1(VALU_DEP_2)
	v_cndmask_b32_e64 v8, 0, 0x37000000, s2
	v_cmp_neq_f32_e64 s2, 0x7f800000, |v6|
	v_sub_f32_e32 v9, v6, v8
	v_trunc_f32_e32 v6, v4
	s_delay_alu instid0(VALU_DEP_2) | instskip(NEXT) | instid1(VALU_DEP_1)
	v_mul_f32_e32 v10, 0x3fb8aa3b, v9
	v_fma_f32 v11, 0x3fb8aa3b, v9, -v10
	v_rndne_f32_e32 v12, v10
	s_delay_alu instid0(VALU_DEP_1) | instskip(NEXT) | instid1(VALU_DEP_1)
	v_dual_fmamk_f32 v11, v9, 0x32a5705f, v11 :: v_dual_sub_f32 v10, v10, v12
	v_add_f32_e32 v10, v10, v11
	v_sub_f32_e32 v1, v1, v7
	v_cvt_i32_f32_e32 v7, v12
	s_delay_alu instid0(VALU_DEP_3) | instskip(NEXT) | instid1(VALU_DEP_2)
	v_exp_f32_e32 v10, v10
	v_sub_f32_e32 v1, v2, v1
	s_delay_alu instid0(VALU_DEP_1)
	v_cndmask_b32_e64 v1, 0, v1, s2
	v_cmp_ngt_f32_e64 s2, 0xc2ce8ed0, v9
	s_waitcnt_depctr 0xfff
	v_ldexp_f32 v2, v10, v7
	v_mul_f32_e32 v7, 0.5, v4
	v_add_f32_e32 v1, v8, v1
	s_delay_alu instid0(VALU_DEP_3) | instskip(NEXT) | instid1(VALU_DEP_3)
	v_cndmask_b32_e64 v2, 0, v2, s2
	v_trunc_f32_e32 v10, v7
	v_cmp_nlt_f32_e64 s2, 0x42b17218, v9
	s_delay_alu instid0(VALU_DEP_2) | instskip(NEXT) | instid1(VALU_DEP_2)
	v_cmp_neq_f32_e64 s3, v10, v7
	v_cndmask_b32_e64 v2, 0x7f800000, v2, s2
	v_cmp_eq_f32_e64 s2, v6, v4
	s_delay_alu instid0(VALU_DEP_2) | instskip(NEXT) | instid1(VALU_DEP_2)
	v_fma_f32 v1, v2, v1, v2
	s_and_b32 vcc_lo, s2, s3
	v_cmp_class_f32_e64 s3, v2, 0x204
	v_cndmask_b32_e32 v6, 1.0, v3, vcc_lo
	s_delay_alu instid0(VALU_DEP_2) | instskip(SKIP_1) | instid1(VALU_DEP_2)
	v_cndmask_b32_e64 v1, v1, v2, s3
	v_cmp_gt_f32_e64 s3, 0, v4
	v_bfi_b32 v1, 0x7fffffff, v1, v6
	v_cndmask_b32_e32 v6, 0, v3, vcc_lo
	s_delay_alu instid0(VALU_DEP_3)
	s_xor_b32 s3, s3, s4
	v_cmp_eq_f32_e32 vcc_lo, 0x7f800000, v5
	v_cndmask_b32_e64 v2, 0x7f800000, 0, s3
	v_cndmask_b32_e64 v4, 0x7fc00000, v1, s2
	v_cmp_gt_f32_e64 s2, 0, v3
	s_or_b32 vcc_lo, vcc_lo, s4
	s_delay_alu instid0(VALU_DEP_3) | instskip(NEXT) | instid1(VALU_DEP_2)
	v_bfi_b32 v2, 0x7fffffff, v2, v6
	v_cndmask_b32_e64 v1, v1, v4, s2
	s_delay_alu instid0(VALU_DEP_1) | instskip(SKIP_1) | instid1(VALU_DEP_2)
	v_cndmask_b32_e32 v1, v1, v2, vcc_lo
	v_cmp_o_f32_e32 vcc_lo, v3, v3
	v_cndmask_b32_e32 v1, 0x7fc00000, v1, vcc_lo
	scratch_store_b32 off, v1, off offset:572 ; 4-byte Folded Spill
.LBB27_2:
	s_load_b512 s[64:79], s[0:1], 0x0
	v_bfe_u32 v32, v0, 10, 10
	v_and_b32_e32 v33, 0x3ff, v0
	s_mul_hi_u32 s10, s16, s6
	s_mul_hi_u32 s11, s9, s5
	s_delay_alu instid0(VALU_DEP_2) | instskip(NEXT) | instid1(VALU_DEP_1)
	v_cmp_eq_u32_e64 s2, 0, v32
	s_and_saveexec_b32 s18, s2
	s_cbranch_execz .LBB27_11
; %bb.3:
	s_load_b128 s[20:23], s[0:1], 0x70
	v_lshlrev_b32_e32 v0, 4, v33
	v_mbcnt_lo_u32_b32 v8, -1, 0
	s_mov_b32 s6, exec_lo
	s_delay_alu instid0(VALU_DEP_1) | instskip(SKIP_1) | instid1(VALU_DEP_2)
	v_xor_b32_e32 v1, 4, v8
	v_xor_b32_e32 v5, 2, v8
	v_cmp_gt_i32_e32 vcc_lo, 32, v1
	v_cndmask_b32_e32 v1, v8, v1, vcc_lo
	s_delay_alu instid0(VALU_DEP_3)
	v_cmp_gt_i32_e32 vcc_lo, 32, v5
	s_waitcnt lgkmcnt(0)
	s_mul_i32 s3, s96, s22
	s_mul_i32 s4, s13, s20
	;; [unrolled: 1-line block ×3, first 2 shown]
	s_add_i32 s3, s3, s4
	v_lshlrev_b32_e32 v4, 2, v1
	s_add_i32 s3, s3, s5
	s_delay_alu instid0(SALU_CYCLE_1)
	s_ashr_i32 s5, s3, 31
	s_add_u32 s4, s64, s3
	s_addc_u32 s5, s65, s5
	global_load_b128 v[11:14], v0, s[4:5]
	v_cndmask_b32_e32 v5, v8, v5, vcc_lo
	s_waitcnt vmcnt(0)
	v_mul_f32_e32 v3, s8, v11
	v_dual_mul_f32 v7, s8, v12 :: v_dual_mul_f32 v10, s8, v14
	v_mul_f32_e32 v11, s8, v13
	v_add_co_u32 v0, s3, s4, v0
	s_delay_alu instid0(VALU_DEP_4) | instskip(NEXT) | instid1(VALU_DEP_1)
	v_max_f32_e64 v2, |v3|, |v3|
	v_max_f32_e64 v2, v2, |v7|
	s_delay_alu instid0(VALU_DEP_1) | instskip(SKIP_3) | instid1(VALU_DEP_1)
	v_max3_f32 v1, v2, |v11|, |v10|
	ds_bpermute_b32 v2, v4, v1
	s_waitcnt lgkmcnt(0)
	v_max_f32_e32 v2, v2, v2
	v_dual_max_f32 v1, v1, v2 :: v_dual_lshlrev_b32 v6, 2, v5
	v_xor_b32_e32 v5, 1, v8
	ds_bpermute_b32 v2, v6, v1
	v_cmp_gt_i32_e32 vcc_lo, 32, v5
	v_cndmask_b32_e32 v5, v8, v5, vcc_lo
	v_fma_f32 v8, s8, v12, v3
	s_waitcnt lgkmcnt(0)
	s_delay_alu instid0(VALU_DEP_2) | instskip(NEXT) | instid1(VALU_DEP_1)
	v_dual_max_f32 v2, v2, v2 :: v_dual_lshlrev_b32 v5, 2, v5
	v_max_f32_e32 v1, v1, v2
	ds_bpermute_b32 v2, v5, v1
	s_waitcnt lgkmcnt(0)
	v_max_f32_e32 v2, v2, v2
	s_delay_alu instid0(VALU_DEP_1) | instskip(NEXT) | instid1(VALU_DEP_1)
	v_dual_fmac_f32 v8, s8, v13 :: v_dual_max_f32 v1, v1, v2
	v_fmac_f32_e32 v8, s8, v14
	s_delay_alu instid0(VALU_DEP_2)
	v_div_scale_f32 v2, null, 0x42fe0000, 0x42fe0000, v1
	ds_bpermute_b32 v9, v4, v8
	v_div_scale_f32 v14, vcc_lo, v1, 0x42fe0000, v1
	v_rcp_f32_e32 v12, v2
	s_waitcnt lgkmcnt(0)
	v_add_f32_e32 v8, v8, v9
	s_waitcnt_depctr 0xfff
	v_fma_f32 v9, -v2, v12, 1.0
	s_delay_alu instid0(VALU_DEP_1) | instskip(NEXT) | instid1(VALU_DEP_1)
	v_fmac_f32_e32 v12, v9, v12
	v_mul_f32_e32 v15, v14, v12
	ds_bpermute_b32 v13, v6, v8
	v_fma_f32 v9, -v2, v15, v14
	s_waitcnt lgkmcnt(0)
	s_delay_alu instid0(VALU_DEP_1) | instskip(NEXT) | instid1(VALU_DEP_1)
	v_dual_fmac_f32 v15, v9, v12 :: v_dual_add_f32 v8, v8, v13
	v_fma_f32 v2, -v2, v15, v14
	ds_bpermute_b32 v9, v5, v8
	v_div_fmas_f32 v2, v2, v12, v15
	v_mov_b32_e32 v12, 0
	s_delay_alu instid0(VALU_DEP_2) | instskip(SKIP_1) | instid1(VALU_DEP_2)
	v_div_fixup_f32 v2, v2, 0x42fe0000, v1
	v_add_co_ci_u32_e64 v1, null, s5, 0, s3
	v_cmpx_neq_f32_e32 0, v2
	s_cbranch_execz .LBB27_5
; %bb.4:
	v_div_scale_f32 v12, null, v2, v2, v3
	v_div_scale_f32 v13, null, v2, v2, v7
	;; [unrolled: 1-line block ×3, first 2 shown]
	s_delay_alu instid0(VALU_DEP_3) | instskip(SKIP_1) | instid1(VALU_DEP_3)
	v_rcp_f32_e32 v14, v12
	v_div_scale_f32 v16, null, v2, v2, v10
	v_rcp_f32_e32 v17, v13
	s_delay_alu instid0(VALU_DEP_2) | instskip(SKIP_1) | instid1(VALU_DEP_2)
	v_rcp_f32_e32 v18, v15
	v_div_scale_f32 v22, vcc_lo, v3, v2, v3
	v_rcp_f32_e32 v19, v16
	v_fma_f32 v20, -v12, v14, 1.0
	s_delay_alu instid0(TRANS32_DEP_3)
	v_fma_f32 v21, -v13, v17, 1.0
	s_waitcnt_depctr 0xfff
	v_fma_f32 v23, -v15, v18, 1.0
	v_fmac_f32_e32 v14, v20, v14
	v_div_scale_f32 v20, s3, v7, v2, v7
	v_fmac_f32_e32 v17, v21, v17
	v_fma_f32 v24, -v16, v19, 1.0
	v_fmac_f32_e32 v18, v23, v18
	v_div_scale_f32 v21, s4, v11, v2, v11
	s_delay_alu instid0(VALU_DEP_4) | instskip(NEXT) | instid1(VALU_DEP_4)
	v_mul_f32_e32 v25, v20, v17
	v_dual_fmac_f32 v19, v24, v19 :: v_dual_mul_f32 v24, v22, v14
	v_div_scale_f32 v23, s5, v10, v2, v10
	s_delay_alu instid0(VALU_DEP_4) | instskip(NEXT) | instid1(VALU_DEP_4)
	v_mul_f32_e32 v26, v21, v18
	v_fma_f32 v29, -v13, v25, v20
	s_delay_alu instid0(VALU_DEP_4) | instskip(NEXT) | instid1(VALU_DEP_4)
	v_fma_f32 v28, -v12, v24, v22
	v_mul_f32_e32 v27, v23, v19
	s_delay_alu instid0(VALU_DEP_4) | instskip(NEXT) | instid1(VALU_DEP_3)
	v_fma_f32 v30, -v15, v26, v21
	v_dual_fmac_f32 v25, v29, v17 :: v_dual_fmac_f32 v24, v28, v14
	s_delay_alu instid0(VALU_DEP_3) | instskip(NEXT) | instid1(VALU_DEP_3)
	v_fma_f32 v31, -v16, v27, v23
	v_fmac_f32_e32 v26, v30, v18
	s_delay_alu instid0(VALU_DEP_3) | instskip(NEXT) | instid1(VALU_DEP_4)
	v_fma_f32 v13, -v13, v25, v20
	v_fma_f32 v12, -v12, v24, v22
	s_delay_alu instid0(VALU_DEP_4) | instskip(NEXT) | instid1(VALU_DEP_4)
	v_fmac_f32_e32 v27, v31, v19
	v_fma_f32 v15, -v15, v26, v21
	s_delay_alu instid0(VALU_DEP_3) | instskip(SKIP_3) | instid1(VALU_DEP_2)
	v_div_fmas_f32 v12, v12, v14, v24
	s_mov_b32 vcc_lo, s3
	v_div_fmas_f32 v13, v13, v17, v25
	s_mov_b32 vcc_lo, s4
	v_div_fixup_f32 v3, v12, v2, v3
	v_div_fmas_f32 v14, v15, v18, v26
	v_fma_f32 v15, -v16, v27, v23
	s_mov_b32 vcc_lo, s5
	v_div_fixup_f32 v7, v13, v2, v7
	v_trunc_f32_e32 v17, v3
	v_div_fixup_f32 v11, v14, v2, v11
	v_div_fmas_f32 v14, v15, v19, v27
	s_delay_alu instid0(VALU_DEP_2) | instskip(NEXT) | instid1(VALU_DEP_2)
	v_trunc_f32_e32 v13, v11
	v_div_fixup_f32 v10, v14, v2, v10
	v_trunc_f32_e32 v14, v7
	s_delay_alu instid0(VALU_DEP_2) | instskip(NEXT) | instid1(VALU_DEP_1)
	v_trunc_f32_e32 v12, v10
	v_dual_sub_f32 v15, v11, v13 :: v_dual_sub_f32 v18, v10, v12
	s_delay_alu instid0(VALU_DEP_1) | instskip(NEXT) | instid1(VALU_DEP_1)
	v_cmp_ge_f32_e64 s3, |v15|, 0.5
	v_cndmask_b32_e64 v15, 0, 1.0, s3
	s_delay_alu instid0(VALU_DEP_1) | instskip(NEXT) | instid1(VALU_DEP_1)
	v_bfi_b32 v11, 0x7fffffff, v15, v11
	v_dual_sub_f32 v16, v7, v14 :: v_dual_add_f32 v11, v13, v11
	s_delay_alu instid0(VALU_DEP_1) | instskip(NEXT) | instid1(VALU_DEP_2)
	v_cmp_ge_f32_e64 s3, |v16|, 0.5
	v_cvt_i32_f32_e32 v11, v11
	s_delay_alu instid0(VALU_DEP_2) | instskip(SKIP_1) | instid1(VALU_DEP_3)
	v_cndmask_b32_e64 v16, 0, 1.0, s3
	v_cmp_ge_f32_e64 s3, |v18|, 0.5
	v_and_b32_e32 v11, 0xff, v11
	s_delay_alu instid0(VALU_DEP_3) | instskip(NEXT) | instid1(VALU_DEP_3)
	v_bfi_b32 v7, 0x7fffffff, v16, v7
	v_cndmask_b32_e64 v18, 0, 1.0, s3
	s_delay_alu instid0(VALU_DEP_3) | instskip(NEXT) | instid1(VALU_DEP_3)
	v_lshlrev_b32_e32 v11, 16, v11
	v_add_f32_e32 v7, v14, v7
	s_delay_alu instid0(VALU_DEP_3) | instskip(SKIP_1) | instid1(VALU_DEP_3)
	v_bfi_b32 v10, 0x7fffffff, v18, v10
	v_sub_f32_e32 v15, v3, v17
	v_cvt_i32_f32_e32 v7, v7
	s_delay_alu instid0(VALU_DEP_3) | instskip(NEXT) | instid1(VALU_DEP_3)
	v_add_f32_e32 v10, v12, v10
	v_cmp_ge_f32_e64 s3, |v15|, 0.5
	s_delay_alu instid0(VALU_DEP_3) | instskip(NEXT) | instid1(VALU_DEP_3)
	v_and_b32_e32 v7, 0xff, v7
	v_cvt_i32_f32_e32 v10, v10
	s_delay_alu instid0(VALU_DEP_3) | instskip(NEXT) | instid1(VALU_DEP_3)
	v_cndmask_b32_e64 v13, 0, 1.0, s3
	v_lshlrev_b32_e32 v7, 8, v7
	s_delay_alu instid0(VALU_DEP_3) | instskip(NEXT) | instid1(VALU_DEP_3)
	v_lshl_or_b32 v10, v10, 24, v11
	v_bfi_b32 v3, 0x7fffffff, v13, v3
	s_delay_alu instid0(VALU_DEP_1) | instskip(NEXT) | instid1(VALU_DEP_1)
	v_add_f32_e32 v3, v17, v3
	v_cvt_i32_f32_e32 v3, v3
	s_delay_alu instid0(VALU_DEP_1) | instskip(NEXT) | instid1(VALU_DEP_1)
	v_and_b32_e32 v3, 0xff, v3
	v_or3_b32 v12, v10, v7, v3
.LBB27_5:
	s_or_b32 exec_lo, exec_lo, s6
	v_and_b32_e32 v3, 7, v33
	v_lshlrev_b32_e32 v7, 2, v33
	s_delay_alu instid0(VALU_DEP_2)
	v_cmp_eq_u32_e64 s3, 0, v3
	ds_store_b32 v7, v12
	s_and_saveexec_b32 s4, s3
	s_cbranch_execz .LBB27_7
; %bb.6:
	s_waitcnt lgkmcnt(1)
	v_add_f32_e32 v3, v8, v9
	ds_store_b64 v33, v[2:3] offset:256
.LBB27_7:
	s_or_b32 exec_lo, exec_lo, s4
	global_load_b128 v[10:13], v[0:1], off offset:512
	s_waitcnt vmcnt(0)
	v_dual_mul_f32 v3, s8, v10 :: v_dual_mul_f32 v8, s8, v11
	s_waitcnt lgkmcnt(1)
	v_dual_mul_f32 v10, s8, v12 :: v_dual_mul_f32 v9, s8, v13
	s_delay_alu instid0(VALU_DEP_2) | instskip(SKIP_1) | instid1(VALU_DEP_2)
	v_max_f32_e64 v0, |v3|, |v3|
	v_fma_f32 v2, s8, v11, v3
	v_max_f32_e64 v0, v0, |v8|
	s_delay_alu instid0(VALU_DEP_2) | instskip(NEXT) | instid1(VALU_DEP_2)
	v_fmac_f32_e32 v2, s8, v12
	v_max3_f32 v0, v0, |v10|, |v9|
	s_delay_alu instid0(VALU_DEP_2)
	v_fmac_f32_e32 v2, s8, v13
	s_mov_b32 s8, exec_lo
	ds_bpermute_b32 v1, v4, v0
	ds_bpermute_b32 v4, v4, v2
	s_waitcnt lgkmcnt(1)
	v_max_f32_e32 v1, v1, v1
	s_delay_alu instid0(VALU_DEP_1) | instskip(SKIP_3) | instid1(VALU_DEP_1)
	v_max_f32_e32 v0, v0, v1
	ds_bpermute_b32 v1, v6, v0
	s_waitcnt lgkmcnt(0)
	v_max_f32_e32 v1, v1, v1
	v_max_f32_e32 v0, v0, v1
	ds_bpermute_b32 v1, v5, v0
	s_waitcnt lgkmcnt(0)
	v_max_f32_e32 v1, v1, v1
	s_delay_alu instid0(VALU_DEP_1) | instskip(NEXT) | instid1(VALU_DEP_1)
	v_dual_max_f32 v0, v0, v1 :: v_dual_add_f32 v1, v2, v4
	v_div_scale_f32 v11, null, 0x42fe0000, 0x42fe0000, v0
	ds_bpermute_b32 v4, v6, v1
	v_div_scale_f32 v6, vcc_lo, v0, 0x42fe0000, v0
	v_rcp_f32_e32 v12, v11
	s_waitcnt_depctr 0xfff
	v_fma_f32 v2, -v11, v12, 1.0
	s_delay_alu instid0(VALU_DEP_1) | instskip(SKIP_2) | instid1(VALU_DEP_2)
	v_fmac_f32_e32 v12, v2, v12
	s_waitcnt lgkmcnt(0)
	v_add_f32_e32 v1, v1, v4
	v_mul_f32_e32 v13, v6, v12
	s_delay_alu instid0(VALU_DEP_1) | instskip(NEXT) | instid1(VALU_DEP_1)
	v_fma_f32 v2, -v11, v13, v6
	v_fmac_f32_e32 v13, v2, v12
	ds_bpermute_b32 v2, v5, v1
	v_fma_f32 v4, -v11, v13, v6
	s_delay_alu instid0(VALU_DEP_1) | instskip(NEXT) | instid1(VALU_DEP_1)
	v_div_fmas_f32 v4, v4, v12, v13
	v_div_fixup_f32 v0, v4, 0x42fe0000, v0
	v_mov_b32_e32 v4, 0
	s_delay_alu instid0(VALU_DEP_2)
	v_cmpx_neq_f32_e32 0, v0
	s_cbranch_execz .LBB27_9
; %bb.8:
	v_div_scale_f32 v4, null, v0, v0, v3
	v_div_scale_f32 v5, null, v0, v0, v8
	;; [unrolled: 1-line block ×3, first 2 shown]
	s_delay_alu instid0(VALU_DEP_3) | instskip(SKIP_1) | instid1(VALU_DEP_3)
	v_rcp_f32_e32 v6, v4
	v_div_scale_f32 v12, null, v0, v0, v9
	v_rcp_f32_e32 v13, v5
	s_delay_alu instid0(VALU_DEP_2) | instskip(SKIP_1) | instid1(VALU_DEP_2)
	v_rcp_f32_e32 v14, v11
	v_div_scale_f32 v18, vcc_lo, v3, v0, v3
	v_rcp_f32_e32 v15, v12
	v_fma_f32 v16, -v4, v6, 1.0
	s_delay_alu instid0(TRANS32_DEP_3)
	v_fma_f32 v17, -v5, v13, 1.0
	s_waitcnt_depctr 0xfff
	v_fma_f32 v19, -v11, v14, 1.0
	v_fmac_f32_e32 v6, v16, v6
	v_div_scale_f32 v16, s4, v8, v0, v8
	v_fmac_f32_e32 v13, v17, v13
	v_fma_f32 v20, -v12, v15, 1.0
	v_fmac_f32_e32 v14, v19, v14
	v_div_scale_f32 v17, s5, v10, v0, v10
	s_delay_alu instid0(VALU_DEP_4) | instskip(NEXT) | instid1(VALU_DEP_4)
	v_mul_f32_e32 v21, v16, v13
	v_dual_fmac_f32 v15, v20, v15 :: v_dual_mul_f32 v20, v18, v6
	v_div_scale_f32 v19, s6, v9, v0, v9
	s_delay_alu instid0(VALU_DEP_4) | instskip(NEXT) | instid1(VALU_DEP_4)
	v_mul_f32_e32 v22, v17, v14
	v_fma_f32 v25, -v5, v21, v16
	s_delay_alu instid0(VALU_DEP_4) | instskip(NEXT) | instid1(VALU_DEP_4)
	v_fma_f32 v24, -v4, v20, v18
	v_mul_f32_e32 v23, v19, v15
	s_delay_alu instid0(VALU_DEP_4) | instskip(NEXT) | instid1(VALU_DEP_3)
	v_fma_f32 v26, -v11, v22, v17
	v_dual_fmac_f32 v21, v25, v13 :: v_dual_fmac_f32 v20, v24, v6
	s_delay_alu instid0(VALU_DEP_3) | instskip(NEXT) | instid1(VALU_DEP_3)
	v_fma_f32 v27, -v12, v23, v19
	v_fmac_f32_e32 v22, v26, v14
	s_delay_alu instid0(VALU_DEP_3) | instskip(NEXT) | instid1(VALU_DEP_4)
	v_fma_f32 v5, -v5, v21, v16
	v_fma_f32 v4, -v4, v20, v18
	s_delay_alu instid0(VALU_DEP_4) | instskip(NEXT) | instid1(VALU_DEP_4)
	v_fmac_f32_e32 v23, v27, v15
	v_fma_f32 v11, -v11, v22, v17
	s_delay_alu instid0(VALU_DEP_3) | instskip(SKIP_3) | instid1(VALU_DEP_2)
	v_div_fmas_f32 v4, v4, v6, v20
	s_mov_b32 vcc_lo, s4
	v_div_fmas_f32 v5, v5, v13, v21
	s_mov_b32 vcc_lo, s5
	v_div_fixup_f32 v3, v4, v0, v3
	v_div_fmas_f32 v6, v11, v14, v22
	v_fma_f32 v11, -v12, v23, v19
	s_mov_b32 vcc_lo, s6
	v_div_fixup_f32 v5, v5, v0, v8
	v_trunc_f32_e32 v13, v3
	v_div_fixup_f32 v6, v6, v0, v10
	v_div_fmas_f32 v10, v11, v15, v23
	s_delay_alu instid0(VALU_DEP_2) | instskip(NEXT) | instid1(VALU_DEP_2)
	v_trunc_f32_e32 v8, v6
	v_div_fixup_f32 v9, v10, v0, v9
	v_trunc_f32_e32 v10, v5
	s_delay_alu instid0(VALU_DEP_3) | instskip(NEXT) | instid1(VALU_DEP_3)
	v_sub_f32_e32 v11, v6, v8
	v_trunc_f32_e32 v4, v9
	s_delay_alu instid0(VALU_DEP_3) | instskip(NEXT) | instid1(VALU_DEP_3)
	v_sub_f32_e32 v12, v5, v10
	v_cmp_ge_f32_e64 s4, |v11|, 0.5
	s_delay_alu instid0(VALU_DEP_3) | instskip(NEXT) | instid1(VALU_DEP_2)
	v_sub_f32_e32 v14, v9, v4
	v_cndmask_b32_e64 v11, 0, 1.0, s4
	s_delay_alu instid0(VALU_DEP_4) | instskip(NEXT) | instid1(VALU_DEP_2)
	v_cmp_ge_f32_e64 s4, |v12|, 0.5
	v_bfi_b32 v6, 0x7fffffff, v11, v6
	v_sub_f32_e32 v11, v3, v13
	s_delay_alu instid0(VALU_DEP_3) | instskip(SKIP_1) | instid1(VALU_DEP_2)
	v_cndmask_b32_e64 v12, 0, 1.0, s4
	v_cmp_ge_f32_e64 s4, |v14|, 0.5
	v_bfi_b32 v5, 0x7fffffff, v12, v5
	s_delay_alu instid0(VALU_DEP_2) | instskip(SKIP_1) | instid1(VALU_DEP_3)
	v_cndmask_b32_e64 v14, 0, 1.0, s4
	v_cmp_ge_f32_e64 s4, |v11|, 0.5
	v_dual_add_f32 v6, v8, v6 :: v_dual_add_f32 v5, v10, v5
	s_delay_alu instid0(VALU_DEP_3) | instskip(NEXT) | instid1(VALU_DEP_3)
	v_bfi_b32 v9, 0x7fffffff, v14, v9
	v_cndmask_b32_e64 v8, 0, 1.0, s4
	s_delay_alu instid0(VALU_DEP_3) | instskip(NEXT) | instid1(VALU_DEP_4)
	v_cvt_i32_f32_e32 v6, v6
	v_cvt_i32_f32_e32 v5, v5
	s_delay_alu instid0(VALU_DEP_3) | instskip(SKIP_1) | instid1(VALU_DEP_4)
	v_bfi_b32 v3, 0x7fffffff, v8, v3
	v_add_f32_e32 v4, v4, v9
	v_and_b32_e32 v6, 0xff, v6
	s_delay_alu instid0(VALU_DEP_4) | instskip(NEXT) | instid1(VALU_DEP_4)
	v_and_b32_e32 v5, 0xff, v5
	v_add_f32_e32 v3, v13, v3
	s_delay_alu instid0(VALU_DEP_4) | instskip(NEXT) | instid1(VALU_DEP_4)
	v_cvt_i32_f32_e32 v4, v4
	v_lshlrev_b32_e32 v6, 16, v6
	s_delay_alu instid0(VALU_DEP_4) | instskip(NEXT) | instid1(VALU_DEP_4)
	v_lshlrev_b32_e32 v5, 8, v5
	v_cvt_i32_f32_e32 v3, v3
	s_delay_alu instid0(VALU_DEP_3) | instskip(NEXT) | instid1(VALU_DEP_2)
	v_lshl_or_b32 v4, v4, 24, v6
	v_and_b32_e32 v3, 0xff, v3
	s_delay_alu instid0(VALU_DEP_1)
	v_or3_b32 v4, v4, v5, v3
.LBB27_9:
	s_or_b32 exec_lo, exec_lo, s8
	ds_store_b32 v7, v4 offset:128
	s_and_b32 exec_lo, exec_lo, s3
	s_cbranch_execz .LBB27_11
; %bb.10:
	s_waitcnt lgkmcnt(1)
	v_add_f32_e32 v1, v1, v2
	ds_store_b64 v33, v[0:1] offset:288
.LBB27_11:
	s_or_b32 exec_lo, exec_lo, s18
	s_waitcnt lgkmcnt(0)
	v_and_b32_e32 v2, 1, v33
	v_mov_b32_e32 v90, 0
	s_waitcnt_vscnt null, 0x0
	s_barrier
	buffer_gl0_inv
	v_lshlrev_b32_e32 v0, 2, v2
	s_ashr_i32 s87, s86, 31
	s_ashr_i32 s3, s17, 31
	;; [unrolled: 1-line block ×3, first 2 shown]
	s_cmp_eq_u64 s[74:75], 0
	ds_load_2addr_b32 v[4:5], v0 offset1:2
	ds_load_2addr_b32 v[6:7], v0 offset0:4 offset1:6
	ds_load_2addr_b32 v[8:9], v0 offset0:8 offset1:10
	;; [unrolled: 1-line block ×3, first 2 shown]
	ds_load_b128 v[16:19], v90 offset:256
	ds_load_b128 v[12:15], v90 offset:272
	s_waitcnt lgkmcnt(0)
	scratch_store_b128 off, v[12:15], off offset:8 ; 16-byte Folded Spill
	ds_load_b128 v[12:15], v90 offset:288
	s_waitcnt lgkmcnt(0)
	scratch_store_b128 off, v[12:15], off offset:24 ; 16-byte Folded Spill
	ds_load_b128 v[20:23], v90 offset:304
	ds_load_2addr_b32 v[12:13], v0 offset0:16 offset1:18
	s_waitcnt lgkmcnt(0)
	scratch_store_b64 off, v[12:13], off offset:40 ; 8-byte Folded Spill
	ds_load_2addr_b32 v[12:13], v0 offset0:20 offset1:22
	s_waitcnt lgkmcnt(0)
	scratch_store_b64 off, v[12:13], off offset:48 ; 8-byte Folded Spill
	;; [unrolled: 3-line block ×9, first 2 shown]
	ds_load_2addr_b32 v[12:13], v0 offset0:52 offset1:54
	ds_load_2addr_b32 v[14:15], v0 offset0:56 offset1:58
	;; [unrolled: 1-line block ×3, first 2 shown]
	s_waitcnt lgkmcnt(1)
	scratch_store_b64 off, v[14:15], off offset:112 ; 8-byte Folded Spill
	s_waitcnt lgkmcnt(0)
	s_waitcnt_vscnt null, 0x0
	s_barrier
	buffer_gl0_inv
	s_cbranch_scc1 .LBB27_13
; %bb.12:
	s_load_b32 s4, s[0:1], 0xd0
	s_mov_b32 s5, 0
	s_waitcnt lgkmcnt(0)
	s_mul_i32 s4, s4, s96
	s_delay_alu instid0(SALU_CYCLE_1) | instskip(NEXT) | instid1(SALU_CYCLE_1)
	s_add_i32 s4, s4, s13
	s_lshl_b64 s[4:5], s[4:5], 2
	s_delay_alu instid0(SALU_CYCLE_1)
	s_add_u32 s4, s74, s4
	s_addc_u32 s5, s75, s5
	s_load_b32 s88, s[4:5], 0x0
.LBB27_13:
	v_dual_mov_b32 v26, 0xfeffffff :: v_dual_lshlrev_b32 v1, 5, v32
	v_dual_mov_b32 v96, 0 :: v_dual_lshlrev_b32 v15, 2, v33
	s_delay_alu instid0(VALU_DEP_2) | instskip(SKIP_3) | instid1(VALU_DEP_2)
	v_dual_mov_b32 v95, 0 :: v_dual_add_nc_u32 v14, v1, v33
	v_dual_mov_b32 v97, 0 :: v_dual_mov_b32 v94, 0
	s_lshl_b32 s74, s14, 7
	s_mov_b32 s75, 0
	v_lshlrev_b32_e32 v3, 1, v14
	s_waitcnt lgkmcnt(0)
	s_cmp_ge_i32 s74, s88
	scratch_store_b32 off, v3, off offset:576 ; 4-byte Folded Spill
	s_cbranch_scc1 .LBB27_30
; %bb.14:
	s_clause 0x9
	scratch_store_b64 off, v[24:25], off offset:652
	scratch_store_b64 off, v[12:13], off offset:644
	scratch_store_b128 off, v[20:23], off offset:628
	scratch_store_b128 off, v[16:19], off offset:612
	scratch_store_b64 off, v[10:11], off offset:604
	scratch_store_b64 off, v[8:9], off offset:596
	;; [unrolled: 1-line block ×4, first 2 shown]
	scratch_store_b32 off, v14, off offset:688
	scratch_store_b32 off, v32, off offset:680
	s_clause 0x1
	s_load_b128 s[80:83], s[0:1], 0x98
	s_load_b64 s[94:95], s[0:1], 0x8c
	s_mul_i32 s17, s10, s15
	s_xor_b32 s8, s87, s3
	s_sub_i32 s16, s16, s17
	s_add_i32 s20, s10, 1
	s_clause 0x2
	s_load_b64 s[4:5], s[0:1], 0xa8
	s_load_b64 s[18:19], s[0:1], 0xc8
	s_load_b32 s21, s[0:1], 0xd4
	s_mul_i32 s11, s11, s12
	s_mul_i32 s7, s13, s7
	v_and_b32_e32 v3, 0x7e, v33
	v_cmp_eq_u32_e64 s3, 0, v2
	v_bfe_u32 v2, v33, 3, 27
	v_add_nc_u32_e32 v4, 0x80, v15
	scratch_store_b32 off, v15, off offset:692 ; 4-byte Folded Spill
	v_add_nc_u32_e32 v84, v1, v3
	s_mov_b32 s93, s75
	v_mul_hi_u32_u24_e32 v3, 20, v2
	v_lshrrev_b32_e32 v6, 5, v4
	v_and_b32_e32 v9, 12, v4
	v_lshlrev_b32_e32 v4, 1, v84
	s_waitcnt lgkmcnt(0)
	s_mul_i32 s17, s96, s81
	s_mul_hi_u32 s22, s96, s80
	s_mul_i32 s23, s6, s80
	s_add_i32 s89, s22, s17
	s_sub_i32 s17, s16, s15
	s_add_i32 s89, s89, s23
	s_cmp_ge_u32 s16, s15
	v_mul_u32_u24_e32 v2, 20, v2
	s_cselect_b32 s10, s20, s10
	s_cselect_b32 s16, s17, s16
	s_add_i32 s17, s10, 1
	s_cmp_ge_u32 s16, s15
	v_mul_lo_u32 v7, v1, s82
	s_cselect_b32 s10, s17, s10
	s_sub_i32 s9, s9, s11
	s_xor_b32 s10, s10, s8
	s_mul_i32 s5, s96, s5
	s_sub_i32 s8, s10, s8
	s_sub_i32 s10, s9, s12
	s_mul_i32 s90, s8, s95
	s_mul_i32 s95, s8, s83
	s_ashr_i32 s83, s90, 31
	s_ashr_i32 s97, s95, 31
	s_cmp_ge_u32 s9, s12
	v_ashrrev_i32_e32 v11, 31, v7
	s_cselect_b32 s8, s10, s9
	v_add_nc_u32_e32 v8, s82, v7
	s_sub_i32 s9, s8, s12
	s_cmp_ge_u32 s8, s12
	s_cselect_b32 s8, s9, s8
	s_delay_alu instid0(VALU_DEP_1)
	v_ashrrev_i32_e32 v12, 31, v8
	s_xor_b32 s8, s8, s6
	v_add_nc_u32_e32 v10, s82, v8
	s_sub_i32 s8, s8, s6
	s_mul_i32 s6, s6, s4
	s_mul_i32 s9, s8, s19
	s_mul_hi_u32 s10, s8, s18
	s_ashr_i32 s11, s8, 31
	s_add_i32 s9, s10, s9
	s_mul_i32 s11, s11, s18
	s_ashr_i32 s10, s7, 31
	s_add_i32 s11, s9, s11
	s_cmp_lg_u64 s[70:71], 0
	s_mul_i32 s12, s8, s18
	s_cselect_b32 s81, -1, 0
	s_lshl_b32 s92, s21, 7
	s_add_u32 s98, s66, s90
	s_addc_u32 s99, s67, s83
	s_lshl_b64 s[8:9], s[74:75], 1
	v_ashrrev_i32_e32 v13, 31, v10
	s_add_u32 s8, s12, s8
	s_addc_u32 s9, s11, s9
	s_add_u32 s7, s70, s7
	s_addc_u32 s10, s71, s10
	;; [unrolled: 2-line block ×3, first 2 shown]
	v_add_co_u32 v14, s7, s7, v4
	v_mad_u64_u32 v[4:5], null, s96, s4, v[2:3]
	v_add_co_ci_u32_e64 v15, null, s8, 0, s7
	s_add_i32 s5, s5, s6
	v_mul_hi_u32_u24_e32 v3, 20, v6
	v_mul_u32_u24_e32 v2, 20, v6
	v_add_co_u32 v140, vcc_lo, v14, 2
	v_add_nc_u32_e32 v14, s5, v5
	v_add_co_ci_u32_e32 v141, vcc_lo, 0, v15, vcc_lo
	s_delay_alu instid0(VALU_DEP_4) | instskip(SKIP_1) | instid1(VALU_DEP_4)
	v_mad_u64_u32 v[5:6], null, s96, s4, v[2:3]
	v_add_co_u32 v57, vcc_lo, v4, v7
	v_add_co_ci_u32_e32 v92, vcc_lo, v14, v11, vcc_lo
	v_add_co_u32 v2, vcc_lo, v4, v9
	v_add_co_ci_u32_e32 v3, vcc_lo, 0, v14, vcc_lo
	v_add_nc_u32_e32 v6, s5, v6
	s_delay_alu instid0(VALU_DEP_3) | instskip(NEXT) | instid1(VALU_DEP_3)
	v_add_co_u32 v93, vcc_lo, v2, v7
	v_add_co_ci_u32_e32 v146, vcc_lo, v3, v11, vcc_lo
	v_add_co_u32 v9, vcc_lo, v5, v9
	s_delay_alu instid0(VALU_DEP_4) | instskip(SKIP_2) | instid1(VALU_DEP_4)
	v_add_co_ci_u32_e32 v15, vcc_lo, 0, v6, vcc_lo
	v_add_co_u32 v149, vcc_lo, v5, v7
	v_add_co_ci_u32_e32 v150, vcc_lo, v6, v11, vcc_lo
	v_add_co_u32 v7, vcc_lo, v9, v7
	v_add_nc_u32_e32 v17, s82, v10
	scratch_store_b32 off, v7, off offset:124 ; 4-byte Folded Spill
	v_add_co_ci_u32_e32 v7, vcc_lo, v15, v11, vcc_lo
	v_add_co_u32 v45, vcc_lo, v4, s95
	v_add_co_ci_u32_e32 v19, vcc_lo, s97, v14, vcc_lo
	v_add_co_u32 v50, vcc_lo, v2, s95
	v_add_co_ci_u32_e32 v29, vcc_lo, s97, v3, vcc_lo
	s_delay_alu instid0(VALU_DEP_4) | instskip(SKIP_1) | instid1(VALU_DEP_4)
	v_add_co_u32 v2, vcc_lo, v45, v8
	v_add_nc_u32_e32 v83, s82, v17
	v_add_co_u32 v110, s61, v50, v17
	scratch_store_b32 off, v2, off offset:148 ; 4-byte Folded Spill
	v_add_co_ci_u32_e32 v2, vcc_lo, v19, v12, vcc_lo
	v_add_nc_u32_e32 v79, s82, v83
	v_add_co_u32 v109, s56, v50, v83
	scratch_store_b32 off, v2, off offset:152 ; 4-byte Folded Spill
	v_add_co_u32 v2, vcc_lo, v50, v8
	scratch_store_b32 off, v7, off offset:128 ; 4-byte Folded Spill
	v_add_nc_u32_e32 v75, s82, v79
	v_add_co_u32 v145, s52, v50, v79
	scratch_store_b32 off, v2, off offset:132 ; 4-byte Folded Spill
	v_add_co_ci_u32_e32 v2, vcc_lo, v29, v12, vcc_lo
	v_add_co_u32 v60, vcc_lo, v5, s95
	v_add_co_ci_u32_e32 v36, vcc_lo, s97, v6, vcc_lo
	v_add_co_u32 v61, vcc_lo, v9, s95
	v_add_co_ci_u32_e32 v39, vcc_lo, s97, v15, vcc_lo
	scratch_store_b32 off, v2, off offset:136 ; 4-byte Folded Spill
	v_add_co_u32 v2, vcc_lo, v60, v8
	v_add_nc_u32_e32 v71, s82, v75
	v_add_co_u32 v77, s47, v60, v75
	scratch_store_b32 off, v2, off offset:140 ; 4-byte Folded Spill
	v_add_co_ci_u32_e32 v2, vcc_lo, v36, v12, vcc_lo
	v_add_co_u32 v3, vcc_lo, v61, v8
	v_add_nc_u32_e32 v20, s82, v71
	v_add_co_u32 v155, s43, v60, v71
	scratch_store_b32 off, v3, off offset:160 ; 4-byte Folded Spill
	v_add_co_ci_u32_e32 v3, vcc_lo, v39, v12, vcc_lo
	v_add_nc_u32_e32 v14, s82, v20
	v_add_co_u32 v88, s38, v61, v20
	scratch_store_b32 off, v3, off offset:164 ; 4-byte Folded Spill
	v_add_co_u32 v3, vcc_lo, v45, v10
	scratch_store_b32 off, v2, off offset:144 ; 4-byte Folded Spill
	v_add_nc_u32_e32 v2, 31, v1
	v_ashrrev_i32_e32 v136, 31, v14
	scratch_store_b32 off, v3, off offset:156 ; 4-byte Folded Spill
	v_add_co_ci_u32_e32 v3, vcc_lo, v19, v13, vcc_lo
	v_mul_lo_u32 v2, s82, v2
	v_add_co_u32 v162, s34, v61, v14
	scratch_store_b32 off, v3, off offset:176 ; 4-byte Folded Spill
	v_add_co_u32 v3, vcc_lo, v50, v10
	v_add_co_u32 v78, s35, v60, v14
	v_ashrrev_i32_e32 v4, 31, v2
	scratch_store_b32 off, v3, off offset:180 ; 4-byte Folded Spill
	v_add_co_ci_u32_e32 v3, vcc_lo, v29, v13, vcc_lo
	v_add_co_u32 v158, s6, v61, v2
	s_delay_alu instid0(VALU_DEP_1)
	v_add_co_ci_u32_e64 v255, s6, v39, v4, s6
	scratch_store_b32 off, v3, off offset:184 ; 4-byte Folded Spill
	v_add_co_u32 v3, vcc_lo, v60, v10
	v_add_co_u32 v82, s36, v50, v14
	v_add_co_u32 v81, s37, v45, v14
	scratch_store_b32 off, v3, off offset:168 ; 4-byte Folded Spill
	v_add_co_ci_u32_e32 v3, vcc_lo, v36, v13, vcc_lo
	v_add_co_u32 v153, vcc_lo, v61, v10
	v_add_co_ci_u32_e32 v154, vcc_lo, v39, v13, vcc_lo
	v_add_co_u32 v5, vcc_lo, v60, v2
	v_add_nc_u32_e32 v10, s82, v14
	v_add_co_u32 v86, s39, v60, v20
	scratch_store_b32 off, v5, off offset:192 ; 4-byte Folded Spill
	v_add_co_u32 v5, s4, v50, v2
	v_add_nc_u32_e32 v8, s82, v10
	v_add_co_u32 v85, s40, v50, v20
	scratch_store_b32 off, v5, off offset:200 ; 4-byte Folded Spill
	v_add_co_u32 v5, s5, v45, v2
	v_add_co_ci_u32_e32 v2, vcc_lo, v36, v4, vcc_lo
	scratch_store_b32 off, v3, off offset:172 ; 4-byte Folded Spill
	v_add_nc_u32_e32 v3, 30, v1
	v_add_co_u32 v56, s41, v45, v20
	scratch_store_b32 off, v2, off offset:204 ; 4-byte Folded Spill
	v_add_co_ci_u32_e64 v2, vcc_lo, v29, v4, s4
	v_mul_lo_u32 v3, s82, v3
	v_ashrrev_i32_e32 v132, 31, v8
	v_add_co_u32 v13, s25, v61, v8
	scratch_store_b32 off, v2, off offset:208 ; 4-byte Folded Spill
	v_add_co_ci_u32_e64 v2, vcc_lo, v19, v4, s5
	scratch_store_b32 off, v5, off offset:188 ; 4-byte Folded Spill
	v_ashrrev_i32_e32 v4, 31, v3
	v_add_co_u32 v161, vcc_lo, v60, v3
	scratch_store_b32 off, v2, off offset:196 ; 4-byte Folded Spill
	v_add_nc_u32_e32 v2, 29, v1
	v_add_co_u32 v163, s4, v50, v3
	v_add_co_u32 v160, s5, v45, v3
	s_delay_alu instid0(VALU_DEP_3) | instskip(SKIP_4) | instid1(VALU_DEP_3)
	v_mul_lo_u32 v2, s82, v2
	v_add_co_u32 v166, s6, v61, v3
	v_add_nc_u32_e32 v3, 28, v1
	v_add_co_ci_u32_e64 v168, s6, v39, v4, s6
	v_add_co_ci_u32_e32 v164, vcc_lo, v36, v4, vcc_lo
	v_mul_lo_u32 v3, s82, v3
	v_add_co_ci_u32_e64 v165, vcc_lo, v29, v4, s4
	v_add_co_ci_u32_e64 v159, vcc_lo, v19, v4, s5
	v_ashrrev_i32_e32 v4, 31, v2
	v_add_co_u32 v167, vcc_lo, v60, v2
	v_add_co_u32 v170, s4, v50, v2
	v_add_co_u32 v169, s5, v45, v2
	v_add_co_u32 v174, s6, v61, v2
	v_add_nc_u32_e32 v2, 27, v1
	v_add_co_ci_u32_e64 v177, s6, v39, v4, s6
	v_add_co_ci_u32_e32 v157, vcc_lo, v36, v4, vcc_lo
	v_add_co_ci_u32_e64 v172, vcc_lo, v29, v4, s4
	v_add_co_ci_u32_e64 v173, vcc_lo, v19, v4, s5
	v_mul_lo_u32 v2, s82, v2
	v_ashrrev_i32_e32 v4, 31, v3
	v_add_co_u32 v176, vcc_lo, v60, v3
	v_add_co_u32 v178, s4, v50, v3
	v_add_co_u32 v73, s5, v45, v3
	v_add_co_u32 v179, s6, v61, v3
	v_add_nc_u32_e32 v3, 26, v1
	v_add_co_ci_u32_e64 v185, s6, v39, v4, s6
	v_add_co_ci_u32_e32 v180, vcc_lo, v36, v4, vcc_lo
	s_delay_alu instid0(VALU_DEP_3)
	v_mul_lo_u32 v3, s82, v3
	v_add_co_ci_u32_e64 v182, vcc_lo, v29, v4, s4
	v_add_co_ci_u32_e64 v181, vcc_lo, v19, v4, s5
	v_ashrrev_i32_e32 v4, 31, v2
	v_add_co_u32 v186, vcc_lo, v60, v2
	v_add_co_u32 v188, s4, v50, v2
	v_add_co_u32 v189, s5, v45, v2
	v_add_co_u32 v192, s6, v61, v2
	v_add_nc_u32_e32 v2, 25, v1
	v_add_co_ci_u32_e64 v187, s6, v39, v4, s6
	v_add_co_ci_u32_e32 v183, vcc_lo, v36, v4, vcc_lo
	v_add_co_ci_u32_e64 v190, vcc_lo, v29, v4, s4
	v_add_co_ci_u32_e64 v142, vcc_lo, v19, v4, s5
	v_mul_lo_u32 v2, s82, v2
	v_ashrrev_i32_e32 v4, 31, v3
	v_add_co_u32 v184, vcc_lo, v60, v3
	v_add_co_u32 v197, s4, v50, v3
	v_add_co_u32 v193, s5, v45, v3
	v_add_co_u32 v199, s6, v61, v3
	v_add_nc_u32_e32 v3, 24, v1
	v_add_co_ci_u32_e64 v208, s6, v39, v4, s6
	v_add_co_ci_u32_e32 v191, vcc_lo, v36, v4, vcc_lo
	s_delay_alu instid0(VALU_DEP_3)
	;; [unrolled: 23-line block ×4, first 2 shown]
	v_mul_lo_u32 v3, s82, v3
	v_add_co_ci_u32_e64 v235, vcc_lo, v29, v4, s4
	v_add_co_ci_u32_e64 v232, vcc_lo, v19, v4, s5
	v_ashrrev_i32_e32 v4, 31, v2
	v_add_co_u32 v238, vcc_lo, v60, v2
	v_add_co_u32 v239, s4, v50, v2
	v_add_co_u32 v236, s5, v45, v2
	;; [unrolled: 1-line block ×3, first 2 shown]
	v_add_nc_u32_e32 v2, 19, v1
	v_add_co_ci_u32_e64 v241, s6, v39, v4, s6
	v_add_co_ci_u32_e32 v240, vcc_lo, v36, v4, vcc_lo
	v_add_co_ci_u32_e64 v222, vcc_lo, v29, v4, s4
	v_add_co_ci_u32_e64 v237, vcc_lo, v19, v4, s5
	v_ashrrev_i32_e32 v4, 31, v3
	v_mul_lo_u32 v2, s82, v2
	v_add_co_u32 v244, vcc_lo, v60, v3
	v_add_co_u32 v247, s4, v50, v3
	v_add_co_u32 v242, s5, v45, v3
	;; [unrolled: 1-line block ×3, first 2 shown]
	s_delay_alu instid0(VALU_DEP_1)
	v_add_co_ci_u32_e64 v64, s6, v39, v4, s6
	v_add_co_ci_u32_e32 v246, vcc_lo, v36, v4, vcc_lo
	v_add_co_ci_u32_e64 v249, vcc_lo, v29, v4, s4
	v_add_co_ci_u32_e64 v245, vcc_lo, v19, v4, s5
	v_add_nc_u32_e32 v4, s82, v8
	v_ashrrev_i32_e32 v3, 31, v2
	v_add_co_u32 v248, vcc_lo, v60, v2
	v_add_co_u32 v58, s4, v50, v2
	v_add_co_u32 v253, s5, v45, v2
	;; [unrolled: 1-line block ×3, first 2 shown]
	v_add_nc_u32_e32 v2, s82, v4
	v_add_co_ci_u32_e64 v69, s6, v39, v3, s6
	v_add_co_ci_u32_e32 v66, vcc_lo, v36, v3, vcc_lo
	v_add_co_ci_u32_e64 v254, vcc_lo, v29, v3, s4
	v_add_co_ci_u32_e64 v59, vcc_lo, v19, v3, s5
	v_add_nc_u32_e32 v3, s82, v2
	v_ashrrev_i32_e32 v131, 31, v4
	v_add_co_u32 v54, s21, v61, v4
	v_add_co_u32 v52, s22, v60, v4
	s_delay_alu instid0(VALU_DEP_4) | instskip(SKIP_2) | instid1(VALU_DEP_3)
	v_add_nc_u32_e32 v5, s82, v3
	v_add_co_u32 v55, s23, v50, v4
	v_add_co_u32 v12, s24, v45, v4
	v_add_nc_u32_e32 v6, s82, v5
	v_ashrrev_i32_e32 v4, 31, v20
	v_ashrrev_i32_e32 v129, 31, v3
	v_add_co_u32 v44, s11, v61, v3
	s_delay_alu instid0(VALU_DEP_4) | instskip(SKIP_3) | instid1(VALU_DEP_4)
	v_add_nc_u32_e32 v126, s82, v6
	v_ashrrev_i32_e32 v127, 31, v6
	v_add_co_u32 v38, s12, v60, v3
	v_add_co_u32 v49, s15, v50, v3
	v_add_nc_u32_e32 v7, s82, v126
	v_add_co_u32 v47, s16, v45, v3
	v_ashrrev_i32_e32 v130, 31, v2
	v_add_co_u32 v46, s17, v61, v2
	s_delay_alu instid0(VALU_DEP_4) | instskip(SKIP_3) | instid1(VALU_DEP_4)
	v_ashrrev_i32_e32 v9, 31, v7
	v_add_co_u32 v67, vcc_lo, v60, v7
	v_add_co_u32 v63, s4, v50, v7
	v_add_co_u32 v65, s5, v45, v7
	v_add_co_ci_u32_e32 v26, vcc_lo, v36, v9, vcc_lo
	v_add_co_ci_u32_e64 v27, vcc_lo, v29, v9, s4
	v_add_co_ci_u32_e64 v70, vcc_lo, v19, v9, s5
	v_add_co_u32 v32, vcc_lo, v61, v6
	v_add_co_u32 v28, s6, v61, v7
	v_add_co_u32 v51, s18, v60, v2
	;; [unrolled: 1-line block ×4, first 2 shown]
	v_add_co_ci_u32_e32 v221, vcc_lo, v39, v127, vcc_lo
	v_add_co_ci_u32_e64 v134, vcc_lo, v39, v136, s34
	v_add_co_ci_u32_e64 v122, vcc_lo, v36, v136, s35
	;; [unrolled: 1-line block ×8, first 2 shown]
	scratch_load_b32 v4, off, off offset:124 ; 4-byte Folded Reload
	v_ashrrev_i32_e32 v151, 31, v126
	v_add_co_ci_u32_e64 v30, s6, v39, v9, s6
	v_add_co_u32 v34, s4, v60, v6
	v_add_co_u32 v35, s5, v50, v6
	;; [unrolled: 1-line block ×3, first 2 shown]
	v_ashrrev_i32_e32 v128, 31, v5
	v_add_co_u32 v42, s7, v61, v5
	v_add_co_u32 v40, s8, v60, v5
	;; [unrolled: 1-line block ×24, first 2 shown]
	v_ashrrev_i32_e32 v135, 31, v10
	v_add_co_u32 v74, s29, v61, v10
	v_ashrrev_i32_e32 v143, 31, v71
	v_add_co_u32 v80, s42, v61, v71
	;; [unrolled: 2-line block ×6, first 2 shown]
	v_add_co_ci_u32_e64 v61, s65, v39, v151, s65
	v_add_co_ci_u32_e64 v218, s58, v36, v151, s58
	;; [unrolled: 1-line block ×4, first 2 shown]
	v_add_co_ci_u32_e64 v151, vcc_lo, v36, v127, s4
	v_add_co_ci_u32_e64 v139, vcc_lo, v29, v127, s5
	;; [unrolled: 1-line block ×3, first 2 shown]
	v_mbcnt_lo_u32_b32 v127, -1, 0
	v_add_co_ci_u32_e64 v68, vcc_lo, v29, v128, s9
	v_add_co_ci_u32_e64 v156, vcc_lo, v29, v129, s15
	;; [unrolled: 1-line block ×14, first 2 shown]
	v_and_b32_e32 v29, 30, v127
	v_add_co_ci_u32_e64 v125, vcc_lo, v36, v128, s8
	v_add_co_ci_u32_e64 v243, vcc_lo, v36, v129, s12
	;; [unrolled: 1-line block ×12, first 2 shown]
	v_add_nc_u32_e32 v29, 2, v29
	v_xor_b32_e32 v36, 1, v127
	v_add_co_ci_u32_e64 v124, vcc_lo, v39, v128, s7
	v_add_co_ci_u32_e64 v133, vcc_lo, v19, v128, s10
	;; [unrolled: 1-line block ×18, first 2 shown]
	v_cmp_lt_i32_e32 vcc_lo, v36, v29
	v_lshlrev_b32_e32 v1, 1, v1
	v_xor_b32_e32 v39, 8, v127
	v_xor_b32_e32 v126, 16, v127
	s_mul_i32 s10, s96, s80
	v_cndmask_b32_e32 v29, v127, v36, vcc_lo
	v_xor_b32_e32 v36, 4, v127
	scratch_store_b32 off, v1, off offset:676 ; 4-byte Folded Spill
	v_add_co_u32 v0, s4, s10, v0
	v_dual_mov_b32 v128, v33 :: v_dual_lshlrev_b32 v29, 2, v29
	s_mul_i32 s6, s74, s82
	s_mul_i32 s7, s74, s94
	;; [unrolled: 1-line block ×3, first 2 shown]
	scratch_store_b32 off, v29, off offset:120 ; 4-byte Folded Spill
	v_xor_b32_e32 v29, 2, v127
	s_mul_i32 s9, s92, s82
	scratch_store_b32 off, v128, off offset:684 ; 4-byte Folded Spill
	v_cmp_gt_i32_e32 vcc_lo, 32, v29
	v_cndmask_b32_e32 v29, v127, v29, vcc_lo
	v_cmp_gt_i32_e32 vcc_lo, 32, v36
	s_delay_alu instid0(VALU_DEP_2)
	v_dual_cndmask_b32 v36, v127, v36 :: v_dual_lshlrev_b32 v29, 2, v29
	v_cmp_gt_i32_e32 vcc_lo, 32, v39
	scratch_store_b32 off, v29, off offset:660 ; 4-byte Folded Spill
	v_lshlrev_b32_e32 v29, 2, v36
	v_cndmask_b32_e32 v39, v127, v39, vcc_lo
	v_cmp_gt_i32_e32 vcc_lo, 32, v126
	v_add_co_ci_u32_e64 v36, null, s89, 0, s4
	scratch_store_b32 off, v29, off offset:664 ; 4-byte Folded Spill
	v_dual_cndmask_b32 v126, v127, v126 :: v_dual_lshlrev_b32 v29, 2, v39
	v_mul_lo_u32 v127, v84, s94
	s_lshl_b64 s[4:5], s[92:93], 1
	s_add_u32 s11, s68, s95
	scratch_store_b32 off, v29, off offset:668 ; 4-byte Folded Spill
	v_lshlrev_b32_e32 v29, 2, v126
	s_addc_u32 s12, s69, s97
	v_add_nc_u32_e32 v1, s94, v127
	scratch_store_b32 off, v29, off offset:672 ; 4-byte Folded Spill
	v_ashrrev_i32_e32 v29, 31, v1
	v_add_co_u32 v39, vcc_lo, v0, v1
	s_delay_alu instid0(VALU_DEP_2) | instskip(NEXT) | instid1(VALU_DEP_2)
	v_add_co_ci_u32_e32 v126, vcc_lo, v36, v29, vcc_lo
	v_add_co_u32 v39, vcc_lo, s98, v39
	scratch_store_b32 off, v39, off         ; 4-byte Folded Spill
	v_add_co_ci_u32_e32 v39, vcc_lo, s99, v126, vcc_lo
	scratch_store_b32 off, v39, off offset:4 ; 4-byte Folded Spill
	v_add_co_u32 v39, vcc_lo, s11, v93
	v_add_co_ci_u32_e32 v126, vcc_lo, s12, v146, vcc_lo
	v_add_co_u32 v129, vcc_lo, s11, v57
	scratch_store_b32 off, v129, off offset:296 ; 4-byte Folded Spill
	v_add_co_ci_u32_e32 v129, vcc_lo, s12, v92, vcc_lo
	v_add_co_u32 v39, vcc_lo, v39, 4
	s_clause 0x1
	scratch_store_b32 off, v129, off offset:300
	scratch_store_b32 off, v39, off offset:304
	v_add_co_ci_u32_e32 v39, vcc_lo, 0, v126, vcc_lo
	scratch_store_b32 off, v39, off offset:308 ; 4-byte Folded Spill
	s_waitcnt vmcnt(0)
	v_add_co_u32 v39, vcc_lo, s11, v4
	scratch_load_b32 v4, off, off offset:128 ; 4-byte Folded Reload
	s_waitcnt vmcnt(0)
	v_add_co_ci_u32_e32 v126, vcc_lo, s12, v4, vcc_lo
	scratch_load_b32 v4, off, off offset:148 ; 4-byte Folded Reload
	v_add_co_u32 v129, vcc_lo, s11, v149
	s_add_u32 s11, s98, s10
	scratch_store_b32 off, v129, off offset:312 ; 4-byte Folded Spill
	v_add_co_ci_u32_e32 v129, vcc_lo, s12, v150, vcc_lo
	v_add_co_u32 v92, vcc_lo, v39, 4
	v_add_co_ci_u32_e32 v93, vcc_lo, 0, v126, vcc_lo
	s_addc_u32 s12, s99, s89
	s_add_u32 s10, s10, s90
	s_waitcnt vmcnt(0)
	v_add_co_u32 v39, vcc_lo, s68, v4
	scratch_load_b32 v4, off, off offset:152 ; 4-byte Folded Reload
	s_clause 0x1
	scratch_store_b32 off, v129, off offset:316
	scratch_store_b32 off, v39, off offset:124
	s_waitcnt vmcnt(0)
	v_add_co_ci_u32_e32 v39, vcc_lo, s69, v4, vcc_lo
	scratch_load_b32 v4, off, off offset:132 ; 4-byte Folded Reload
	v_add_co_u32 v143, vcc_lo, s11, v1
	v_add_co_ci_u32_e32 v126, vcc_lo, s12, v29, vcc_lo
	v_add_co_u32 v0, vcc_lo, v0, s90
	v_add_co_ci_u32_e32 v1, vcc_lo, s83, v36, vcc_lo
	v_ashrrev_i32_e32 v29, 31, v127
	s_delay_alu instid0(VALU_DEP_3)
	v_add_co_u32 v0, vcc_lo, v0, v127
	scratch_store_b32 off, v39, off offset:128 ; 4-byte Folded Spill
	s_addc_u32 s11, s89, s83
	v_add_co_ci_u32_e32 v1, vcc_lo, v1, v29, vcc_lo
	s_add_u32 s10, s66, s10
	s_addc_u32 s11, s67, s11
	s_waitcnt vmcnt(0)
	v_add_co_u32 v36, vcc_lo, v4, s68
	scratch_load_b32 v4, off, off offset:136 ; 4-byte Folded Reload
	s_waitcnt vmcnt(0)
	v_add_co_ci_u32_e32 v39, vcc_lo, s69, v4, vcc_lo
	v_add_co_u32 v129, vcc_lo, s66, v0
	v_add_co_ci_u32_e32 v130, vcc_lo, s67, v1, vcc_lo
	v_add_co_u32 v0, vcc_lo, v36, 4
	s_clause 0x1
	scratch_load_b32 v1, off, off offset:164
	scratch_load_b32 v4, off, off offset:140
	scratch_store_b32 off, v0, off offset:132 ; 4-byte Folded Spill
	v_add_co_ci_u32_e32 v0, vcc_lo, 0, v39, vcc_lo
	scratch_store_b32 off, v0, off offset:136 ; 4-byte Folded Spill
	scratch_load_b32 v0, off, off offset:160 ; 4-byte Folded Reload
	s_waitcnt vmcnt(0)
	v_add_co_u32 v0, vcc_lo, v0, s68
	v_add_co_ci_u32_e32 v1, vcc_lo, s69, v1, vcc_lo
	v_add_co_u32 v36, vcc_lo, s68, v4
	scratch_load_b32 v4, off, off offset:144 ; 4-byte Folded Reload
	scratch_store_b32 off, v36, off offset:140 ; 4-byte Folded Spill
	s_waitcnt vmcnt(0)
	v_add_co_ci_u32_e32 v36, vcc_lo, s69, v4, vcc_lo
	v_add_co_u32 v147, vcc_lo, v0, 4
	scratch_load_b32 v0, off, off offset:180 ; 4-byte Folded Reload
	v_add_co_ci_u32_e32 v146, vcc_lo, 0, v1, vcc_lo
	s_clause 0x1
	scratch_load_b32 v1, off, off offset:184
	scratch_load_b32 v4, off, off offset:156
	scratch_store_b32 off, v36, off offset:144 ; 4-byte Folded Spill
	s_waitcnt vmcnt(2)
	v_add_co_u32 v0, vcc_lo, v0, s68
	s_waitcnt vmcnt(1)
	v_add_co_ci_u32_e32 v1, vcc_lo, s69, v1, vcc_lo
	s_waitcnt vmcnt(0)
	v_add_co_u32 v36, vcc_lo, s68, v4
	scratch_load_b32 v4, off, off offset:176 ; 4-byte Folded Reload
	scratch_store_b32 off, v36, off offset:148 ; 4-byte Folded Spill
	s_waitcnt vmcnt(0)
	v_add_co_ci_u32_e32 v36, vcc_lo, s69, v4, vcc_lo
	scratch_load_b32 v4, off, off offset:168 ; 4-byte Folded Reload
	v_add_co_u32 v149, vcc_lo, v0, 4
	v_add_co_ci_u32_e32 v150, vcc_lo, 0, v1, vcc_lo
	v_add_co_u32 v0, vcc_lo, v153, s68
	v_add_co_ci_u32_e32 v1, vcc_lo, s69, v154, vcc_lo
	scratch_store_b32 off, v36, off offset:152 ; 4-byte Folded Spill
	s_waitcnt vmcnt(0)
	v_add_co_u32 v36, vcc_lo, s68, v4
	scratch_load_b32 v4, off, off offset:172 ; 4-byte Folded Reload
	scratch_store_b32 off, v36, off offset:156 ; 4-byte Folded Spill
	s_waitcnt vmcnt(0)
	v_add_co_ci_u32_e32 v36, vcc_lo, s69, v4, vcc_lo
	v_add_co_u32 v153, vcc_lo, v0, 4
	v_add_co_ci_u32_e32 v154, vcc_lo, 0, v1, vcc_lo
	v_add_co_u32 v0, vcc_lo, s10, v127
	v_add_co_ci_u32_e32 v1, vcc_lo, s11, v29, vcc_lo
	v_add_co_u32 v29, vcc_lo, v158, s68
	scratch_store_b32 off, v36, off offset:160 ; 4-byte Folded Spill
	v_add_co_ci_u32_e32 v36, vcc_lo, s69, v255, vcc_lo
	v_add_co_u32 v127, vcc_lo, 0x8c, v0
	v_add_co_ci_u32_e32 v131, vcc_lo, 0, v1, vcc_lo
	v_add_co_u32 v0, vcc_lo, v29, 4
	s_clause 0x1
	scratch_load_b32 v1, off, off offset:208
	scratch_load_b32 v4, off, off offset:192
	s_mov_b32 s10, 0xbbbac73d
	scratch_store_b32 off, v0, off offset:348 ; 4-byte Folded Spill
	v_add_co_ci_u32_e32 v0, vcc_lo, 0, v36, vcc_lo
	scratch_store_b32 off, v0, off offset:352 ; 4-byte Folded Spill
	scratch_load_b32 v0, off, off offset:200 ; 4-byte Folded Reload
	s_waitcnt vmcnt(0)
	v_add_co_u32 v0, vcc_lo, v0, s68
	v_add_co_ci_u32_e32 v1, vcc_lo, s69, v1, vcc_lo
	v_add_co_u32 v29, vcc_lo, s68, v4
	scratch_load_b32 v4, off, off offset:204 ; 4-byte Folded Reload
	scratch_store_b32 off, v29, off offset:356 ; 4-byte Folded Spill
	s_waitcnt vmcnt(0)
	v_add_co_ci_u32_e32 v29, vcc_lo, s69, v4, vcc_lo
	scratch_load_b32 v4, off, off offset:188 ; 4-byte Folded Reload
	v_add_co_u32 v0, vcc_lo, v0, 4
	s_clause 0x1
	scratch_store_b32 off, v29, off offset:360
	scratch_store_b32 off, v0, off offset:364
	v_add_co_ci_u32_e32 v0, vcc_lo, 0, v1, vcc_lo
	scratch_store_b32 off, v0, off offset:368 ; 4-byte Folded Spill
	v_add_co_u32 v0, vcc_lo, v166, s68
	v_add_co_ci_u32_e32 v1, vcc_lo, s69, v168, vcc_lo
	s_waitcnt vmcnt(0)
	v_add_co_u32 v29, vcc_lo, s68, v4
	scratch_load_b32 v4, off, off offset:196 ; 4-byte Folded Reload
	scratch_store_b32 off, v29, off offset:372 ; 4-byte Folded Spill
	s_waitcnt vmcnt(0)
	v_add_co_ci_u32_e32 v29, vcc_lo, s69, v4, vcc_lo
	v_add_co_u32 v0, vcc_lo, v0, 4
	s_clause 0x1
	scratch_store_b32 off, v29, off offset:376
	scratch_store_b32 off, v0, off offset:380
	v_add_co_ci_u32_e32 v0, vcc_lo, 0, v1, vcc_lo
	scratch_store_b32 off, v0, off offset:384 ; 4-byte Folded Spill
	v_add_co_u32 v0, vcc_lo, v163, s68
	v_add_co_ci_u32_e32 v1, vcc_lo, s69, v165, vcc_lo
	v_add_co_u32 v29, vcc_lo, s68, v161
	scratch_store_b32 off, v29, off offset:388 ; 4-byte Folded Spill
	v_add_co_ci_u32_e32 v29, vcc_lo, s69, v164, vcc_lo
	v_add_co_u32 v0, vcc_lo, v0, 4
	s_clause 0x1
	scratch_store_b32 off, v29, off offset:392
	scratch_store_b32 off, v0, off offset:396
	v_add_co_ci_u32_e32 v0, vcc_lo, 0, v1, vcc_lo
	scratch_store_b32 off, v0, off offset:400 ; 4-byte Folded Spill
	v_add_co_u32 v0, vcc_lo, v174, s68
	v_add_co_ci_u32_e32 v1, vcc_lo, s69, v177, vcc_lo
	v_add_co_u32 v29, vcc_lo, s68, v160
	scratch_store_b32 off, v29, off offset:404 ; 4-byte Folded Spill
	;; [unrolled: 11-line block ×3, first 2 shown]
	v_add_co_ci_u32_e32 v29, vcc_lo, s69, v157, vcc_lo
	v_add_co_u32 v0, vcc_lo, v0, 4
	scratch_store_b32 off, v0, off offset:180 ; 4-byte Folded Spill
	v_add_co_ci_u32_e32 v0, vcc_lo, 0, v1, vcc_lo
	s_clause 0x1
	scratch_store_b32 off, v29, off offset:164
	scratch_store_b32 off, v0, off offset:176
	v_add_co_u32 v0, vcc_lo, v179, s68
	v_add_co_ci_u32_e32 v1, vcc_lo, s69, v185, vcc_lo
	v_add_co_u32 v29, vcc_lo, s68, v169
	scratch_store_b32 off, v29, off offset:168 ; 4-byte Folded Spill
	v_add_co_ci_u32_e32 v29, vcc_lo, s69, v173, vcc_lo
	v_add_co_u32 v0, vcc_lo, v0, 4
	scratch_store_b32 off, v0, off offset:204 ; 4-byte Folded Spill
	v_add_co_ci_u32_e32 v0, vcc_lo, 0, v1, vcc_lo
	s_clause 0x1
	scratch_store_b32 off, v29, off offset:172
	scratch_store_b32 off, v0, off offset:192
	v_add_co_u32 v0, vcc_lo, v178, s68
	v_add_co_ci_u32_e32 v1, vcc_lo, s69, v182, vcc_lo
	v_add_co_u32 v29, vcc_lo, s68, v176
	scratch_store_b32 off, v29, off offset:184 ; 4-byte Folded Spill
	v_add_co_ci_u32_e32 v29, vcc_lo, s69, v180, vcc_lo
	v_add_co_u32 v0, vcc_lo, v0, 4
	scratch_store_b32 off, v0, off offset:208 ; 4-byte Folded Spill
	v_add_co_ci_u32_e32 v0, vcc_lo, 0, v1, vcc_lo
	scratch_store_b32 off, v0, off offset:212 ; 4-byte Folded Spill
	v_add_co_u32 v0, vcc_lo, v192, s68
	v_add_co_ci_u32_e32 v1, vcc_lo, s69, v187, vcc_lo
	v_add_co_u32 v4, vcc_lo, s68, v73
	s_clause 0x1
	scratch_store_b32 off, v29, off offset:188
	scratch_store_b32 off, v4, off offset:196
	v_add_co_ci_u32_e32 v4, vcc_lo, s69, v181, vcc_lo
	v_add_co_u32 v0, vcc_lo, v0, 4
	s_clause 0x1
	scratch_store_b32 off, v4, off offset:200
	scratch_store_b32 off, v0, off offset:224
	v_add_co_ci_u32_e32 v0, vcc_lo, 0, v1, vcc_lo
	scratch_store_b32 off, v0, off offset:228 ; 4-byte Folded Spill
	v_add_co_u32 v0, vcc_lo, v188, s68
	v_add_co_ci_u32_e32 v1, vcc_lo, s69, v190, vcc_lo
	v_add_co_u32 v4, vcc_lo, s68, v186
	scratch_store_b32 off, v4, off offset:216 ; 4-byte Folded Spill
	v_add_co_ci_u32_e32 v4, vcc_lo, s69, v183, vcc_lo
	v_add_co_u32 v0, vcc_lo, v0, 4
	s_clause 0x1
	scratch_store_b32 off, v4, off offset:220
	scratch_store_b32 off, v0, off offset:240
	v_add_co_ci_u32_e32 v0, vcc_lo, 0, v1, vcc_lo
	scratch_store_b32 off, v0, off offset:244 ; 4-byte Folded Spill
	v_add_co_u32 v0, vcc_lo, v199, s68
	v_add_co_ci_u32_e32 v1, vcc_lo, s69, v208, vcc_lo
	v_add_co_u32 v4, vcc_lo, s68, v189
	scratch_store_b32 off, v4, off offset:232 ; 4-byte Folded Spill
	v_add_co_ci_u32_e32 v4, vcc_lo, s69, v142, vcc_lo
	v_add_co_u32 v0, vcc_lo, v0, 4
	v_mov_b32_e32 v142, v126
	s_clause 0x1
	scratch_store_b32 off, v4, off offset:236
	scratch_store_b32 off, v0, off offset:256
	v_add_co_ci_u32_e32 v0, vcc_lo, 0, v1, vcc_lo
	scratch_store_b32 off, v0, off offset:260 ; 4-byte Folded Spill
	v_add_co_u32 v0, vcc_lo, v197, s68
	v_add_co_ci_u32_e32 v1, vcc_lo, s69, v204, vcc_lo
	v_add_co_u32 v4, vcc_lo, s68, v184
	scratch_store_b32 off, v4, off offset:248 ; 4-byte Folded Spill
	v_add_co_ci_u32_e32 v4, vcc_lo, s69, v191, vcc_lo
	v_add_co_u32 v0, vcc_lo, v0, 4
	s_clause 0x1
	scratch_store_b32 off, v4, off offset:252
	scratch_store_b32 off, v0, off offset:272
	v_add_co_ci_u32_e32 v0, vcc_lo, 0, v1, vcc_lo
	scratch_store_b32 off, v0, off offset:276 ; 4-byte Folded Spill
	v_add_co_u32 v0, vcc_lo, v209, s68
	v_add_co_ci_u32_e32 v1, vcc_lo, s69, v206, vcc_lo
	v_add_co_u32 v4, vcc_lo, s68, v193
	scratch_store_b32 off, v4, off offset:264 ; 4-byte Folded Spill
	v_add_co_ci_u32_e32 v4, vcc_lo, s69, v195, vcc_lo
	v_add_co_u32 v158, vcc_lo, v0, 4
	v_add_co_ci_u32_e32 v0, vcc_lo, 0, v1, vcc_lo
	s_clause 0x1
	scratch_store_b32 off, v4, off offset:268
	scratch_store_b32 off, v0, off offset:280
	v_add_co_u32 v0, vcc_lo, v196, s68
	v_add_co_ci_u32_e32 v1, vcc_lo, s69, v205, vcc_lo
	v_add_co_u32 v4, vcc_lo, s68, v198
	scratch_store_b32 off, v4, off offset:284 ; 4-byte Folded Spill
	v_add_co_ci_u32_e32 v4, vcc_lo, s69, v202, vcc_lo
	v_add_co_u32 v0, vcc_lo, v0, 4
	v_add_co_ci_u32_e32 v186, vcc_lo, 0, v1, vcc_lo
	s_clause 0x1
	scratch_store_b32 off, v4, off offset:288
	scratch_store_b32 off, v0, off offset:292
	v_add_co_u32 v0, vcc_lo, v225, s68
	v_add_co_ci_u32_e32 v1, vcc_lo, s69, v216, vcc_lo
	v_add_co_u32 v188, vcc_lo, s68, v194
	v_add_co_ci_u32_e32 v183, vcc_lo, s69, v201, vcc_lo
	s_delay_alu instid0(VALU_DEP_4) | instskip(NEXT) | instid1(VALU_DEP_4)
	v_add_co_u32 v190, vcc_lo, v0, 4
	v_add_co_ci_u32_e32 v192, vcc_lo, 0, v1, vcc_lo
	v_add_co_u32 v0, vcc_lo, v207, s68
	v_add_co_ci_u32_e32 v1, vcc_lo, s69, v224, vcc_lo
	v_add_co_u32 v180, vcc_lo, s68, v200
	v_add_co_ci_u32_e32 v184, vcc_lo, s69, v223, vcc_lo
	s_delay_alu instid0(VALU_DEP_4) | instskip(NEXT) | instid1(VALU_DEP_4)
	v_add_co_u32 v197, vcc_lo, v0, 4
	v_add_co_ci_u32_e32 v193, vcc_lo, 0, v1, vcc_lo
	;; [unrolled: 7-line block ×44, first 2 shown]
	v_add_co_u32 v152, vcc_lo, s68, v121
	v_add_co_ci_u32_e32 v182, vcc_lo, s69, v19, vcc_lo
	v_dual_mov_b32 v144, 0 :: v_dual_and_b32 v89, 4, v128
	v_mov_b32_e32 v18, 0xfeffffff
	v_mov_b32_e32 v16, 0
	;; [unrolled: 1-line block ×3, first 2 shown]
	v_dual_mov_b32 v148, 0 :: v_dual_mov_b32 v145, 0
	scratch_store_b32 off, v16, off offset:496 ; 4-byte Folded Spill
.LBB27_15:                              ; =>This Inner Loop Header: Depth=1
	v_add_co_u32 v16, vcc_lo, v127, s7
	v_add_co_ci_u32_e32 v17, vcc_lo, 0, v131, vcc_lo
	s_clause 0x1
	scratch_store_b32 off, v127, off offset:340
	scratch_store_b32 off, v131, off offset:344
	s_clause 0x7
	global_load_b32 v19, v[16:17], off offset:-140
	global_load_b32 v20, v[16:17], off offset:-120
	;; [unrolled: 1-line block ×7, first 2 shown]
	global_load_b32 v95, v[16:17], off
	v_add_co_u32 v16, vcc_lo, v129, s7
	v_add_co_ci_u32_e32 v17, vcc_lo, 0, v130, vcc_lo
	s_clause 0x1
	scratch_store_b32 off, v129, off offset:328
	scratch_store_b32 off, v130, off offset:332
	s_clause 0x7
	global_load_b32 v97, v[16:17], off offset:4
	global_load_b32 v98, v[16:17], off offset:12
	;; [unrolled: 1-line block ×8, first 2 shown]
	s_clause 0x5
	scratch_load_b64 v[120:121], off, off offset:580
	scratch_load_b64 v[122:123], off, off offset:588
	;; [unrolled: 1-line block ×3, first 2 shown]
	scratch_load_b128 v[128:131], off, off offset:612
	scratch_load_b64 v[126:127], off, off offset:604
	scratch_load_b64 v[112:113], off, off offset:40
	s_waitcnt vmcnt(21)
	v_cvt_f32_f16_e32 v96, v19
	v_lshrrev_b32_e32 v19, 16, v19
	s_delay_alu instid0(VALU_DEP_1)
	v_cvt_f32_f16_e32 v19, v19
	s_waitcnt vmcnt(13)
	v_and_b32_e32 v105, 0xf0f0f0f, v97
	v_lshrrev_b32_e32 v97, 4, v97
	s_waitcnt vmcnt(12)
	v_lshrrev_b32_e32 v106, 4, v98
	v_and_b32_e32 v98, 0xf0f0f0f, v98
	s_waitcnt vmcnt(10)
	v_lshrrev_b32_e32 v107, 4, v100
	v_and_b32_e32 v100, 0xf0f0f0f, v100
	v_and_b32_e32 v97, 0xf0f0f0f, v97
	;; [unrolled: 1-line block ×3, first 2 shown]
	s_waitcnt vmcnt(8)
	v_lshrrev_b32_e32 v108, 4, v102
	v_and_b32_e32 v107, 0xf0f0f0f, v107
	s_waitcnt vmcnt(3)
	v_dot4_i32_iu8 v100, v100, v125, 0 neg_lo:[1,1,0]
	s_waitcnt vmcnt(2)
	v_mul_f32_e32 v96, v128, v96
	v_dot4_i32_iu8 v105, v105, v120, 0 neg_lo:[1,1,0]
	v_mul_f32_e32 v19, v129, v19
	v_dot4_i32_iu8 v98, v98, v121, 0 neg_lo:[1,1,0]
	v_dot4_i32_iu8 v97, v97, v122, 0 neg_lo:[1,1,0]
	;; [unrolled: 1-line block ×3, first 2 shown]
	v_cvt_f32_i32_e32 v105, v105
	v_mul_f32_e32 v19, 0x3e000000, v19
	v_cvt_f32_i32_e32 v98, v98
	v_cvt_f32_i32_e32 v97, v97
	;; [unrolled: 1-line block ×3, first 2 shown]
	s_waitcnt vmcnt(1)
	v_dot4_i32_iu8 v107, v107, v127, 0 neg_lo:[1,1,0]
	v_fma_f32 v105, v96, v105, v19
	v_fma_f32 v98, v96, v98, v19
	;; [unrolled: 1-line block ×3, first 2 shown]
	v_dual_fmac_f32 v19, v96, v106 :: v_dual_and_b32 v106, 0xf0f0f0f, v99
	v_cvt_f32_f16_e32 v96, v20
	v_lshrrev_b32_e32 v20, 16, v20
	v_lshrrev_b32_e32 v99, 4, v99
	v_cvt_f32_i32_e32 v100, v100
	v_dot4_i32_iu8 v106, v106, v124, 0 neg_lo:[1,1,0]
	v_mul_f32_e32 v96, v130, v96
	v_cvt_f32_f16_e32 v20, v20
	v_and_b32_e32 v99, 0xf0f0f0f, v99
	v_cvt_f32_i32_e32 v107, v107
	v_cvt_f32_i32_e32 v106, v106
	v_and_b32_e32 v102, 0xf0f0f0f, v102
	v_mul_f32_e32 v20, v131, v20
	v_dot4_i32_iu8 v99, v99, v126, 0 neg_lo:[1,1,0]
	v_and_b32_e32 v108, 0xf0f0f0f, v108
	s_waitcnt vmcnt(0)
	v_dot4_i32_iu8 v102, v102, v113, 0 neg_lo:[1,1,0]
	v_mul_f32_e32 v20, 0x3e000000, v20
	v_cvt_f32_i32_e32 v99, v99
	scratch_load_b64 v[113:114], off, off offset:56 ; 8-byte Folded Reload
	v_cvt_f32_i32_e32 v102, v102
	v_fma_f32 v106, v96, v106, v20
	v_fma_f32 v100, v96, v100, v20
	;; [unrolled: 1-line block ×3, first 2 shown]
	v_dual_fmac_f32 v20, v96, v107 :: v_dual_and_b32 v107, 0xf0f0f0f, v101
	v_cvt_f32_f16_e32 v96, v21
	v_lshrrev_b32_e32 v21, 16, v21
	v_lshrrev_b32_e32 v101, 4, v101
	s_delay_alu instid0(VALU_DEP_4)
	v_dot4_i32_iu8 v107, v107, v112, 0 neg_lo:[1,1,0]
	scratch_load_b128 v[109:112], off, off offset:8 ; 16-byte Folded Reload
	v_cvt_f32_f16_e32 v21, v21
	v_and_b32_e32 v101, 0xf0f0f0f, v101
	v_cvt_f32_i32_e32 v107, v107
	s_waitcnt vmcnt(0)
	s_delay_alu instid0(VALU_DEP_3) | instskip(SKIP_2) | instid1(VALU_DEP_1)
	v_dual_mul_f32 v96, v109, v96 :: v_dual_mul_f32 v21, v110, v21
	scratch_load_b64 v[109:110], off, off offset:48 ; 8-byte Folded Reload
	v_mul_f32_e32 v21, 0x3e000000, v21
	v_fma_f32 v107, v96, v107, v21
	v_fma_f32 v102, v96, v102, v21
	s_waitcnt vmcnt(0)
	v_dot4_i32_iu8 v101, v101, v109, 0 neg_lo:[1,1,0]
	v_dot4_i32_iu8 v108, v108, v110, 0 neg_lo:[1,1,0]
	v_lshrrev_b32_e32 v109, 4, v104
	v_and_b32_e32 v104, 0xf0f0f0f, v104
	s_delay_alu instid0(VALU_DEP_4) | instskip(NEXT) | instid1(VALU_DEP_4)
	v_cvt_f32_i32_e32 v101, v101
	v_cvt_f32_i32_e32 v108, v108
	s_delay_alu instid0(VALU_DEP_4) | instskip(NEXT) | instid1(VALU_DEP_4)
	v_and_b32_e32 v109, 0xf0f0f0f, v109
	v_dot4_i32_iu8 v104, v104, v114, 0 neg_lo:[1,1,0]
	s_delay_alu instid0(VALU_DEP_4) | instskip(NEXT) | instid1(VALU_DEP_4)
	v_fma_f32 v101, v96, v101, v21
	v_fmac_f32_e32 v21, v96, v108
	v_cvt_f32_f16_e32 v96, v22
	v_lshrrev_b32_e32 v22, 16, v22
	v_and_b32_e32 v108, 0xf0f0f0f, v103
	v_lshrrev_b32_e32 v103, 4, v103
	v_cvt_f32_i32_e32 v104, v104
	v_mul_f32_e32 v96, v111, v96
	scratch_load_b64 v[110:111], off, off offset:64 ; 8-byte Folded Reload
	v_cvt_f32_f16_e32 v22, v22
	v_dot4_i32_iu8 v108, v108, v113, 0 neg_lo:[1,1,0]
	s_delay_alu instid0(VALU_DEP_2) | instskip(NEXT) | instid1(VALU_DEP_2)
	v_mul_f32_e32 v22, v112, v22
	v_cvt_f32_i32_e32 v108, v108
	s_delay_alu instid0(VALU_DEP_2) | instskip(NEXT) | instid1(VALU_DEP_1)
	v_mul_f32_e32 v22, 0x3e000000, v22
	v_fma_f32 v108, v96, v108, v22
	v_fma_f32 v104, v96, v104, v22
	s_waitcnt vmcnt(0)
	v_dot4_i32_iu8 v109, v109, v111, 0 neg_lo:[1,1,0]
	s_delay_alu instid0(VALU_DEP_1) | instskip(SKIP_1) | instid1(VALU_DEP_1)
	v_cvt_f32_i32_e32 v109, v109
	v_and_b32_e32 v103, 0xf0f0f0f, v103
	v_dot4_i32_iu8 v103, v103, v110, 0 neg_lo:[1,1,0]
	s_delay_alu instid0(VALU_DEP_1) | instskip(NEXT) | instid1(VALU_DEP_1)
	v_cvt_f32_i32_e32 v103, v103
	v_fma_f32 v103, v96, v103, v22
	v_fmac_f32_e32 v22, v96, v109
	s_clause 0x7
	global_load_b32 v96, v[16:17], off offset:84
	global_load_b32 v109, v[16:17], off offset:92
	;; [unrolled: 1-line block ×8, first 2 shown]
	s_clause 0x1
	scratch_load_b64 v[117:118], off, off offset:72
	scratch_load_b128 v[132:135], off, off offset:24
	v_cvt_f32_f16_e32 v17, v23
	v_lshrrev_b32_e32 v23, 16, v23
	s_clause 0x1
	scratch_load_b64 v[136:137], off, off offset:104
	scratch_load_b64 v[138:139], off, off offset:112
	v_cvt_f32_f16_e32 v23, v23
	s_waitcnt vmcnt(11)
	v_and_b32_e32 v115, 0xf0f0f0f, v96
	s_waitcnt vmcnt(10)
	v_lshrrev_b32_e32 v116, 4, v109
	v_and_b32_e32 v109, 0xf0f0f0f, v109
	v_lshrrev_b32_e32 v96, 4, v96
	s_delay_alu instid0(VALU_DEP_3)
	v_and_b32_e32 v116, 0xf0f0f0f, v116
	s_waitcnt vmcnt(3)
	v_dot4_i32_iu8 v115, v115, v117, 0 neg_lo:[1,1,0]
	v_dot4_i32_iu8 v109, v109, v118, 0 neg_lo:[1,1,0]
	scratch_load_b64 v[117:118], off, off offset:80 ; 8-byte Folded Reload
	s_waitcnt vmcnt(3)
	v_dual_mul_f32 v23, v133, v23 :: v_dual_and_b32 v96, 0xf0f0f0f, v96
	v_mul_f32_e32 v17, v132, v17
	v_cvt_f32_i32_e32 v115, v115
	v_cvt_f32_i32_e32 v109, v109
	s_delay_alu instid0(VALU_DEP_4) | instskip(NEXT) | instid1(VALU_DEP_1)
	v_mul_f32_e32 v23, 0x3e000000, v23
	v_fma_f32 v115, v17, v115, v23
	s_delay_alu instid0(VALU_DEP_3)
	v_fma_f32 v109, v17, v109, v23
	s_waitcnt vmcnt(0)
	v_dot4_i32_iu8 v116, v116, v118, 0 neg_lo:[1,1,0]
	scratch_load_b64 v[118:119], off, off offset:88 ; 8-byte Folded Reload
	v_dot4_i32_iu8 v96, v96, v117, 0 neg_lo:[1,1,0]
	v_lshrrev_b32_e32 v117, 4, v111
	v_and_b32_e32 v111, 0xf0f0f0f, v111
	v_cvt_f32_i32_e32 v116, v116
	s_delay_alu instid0(VALU_DEP_4) | instskip(NEXT) | instid1(VALU_DEP_4)
	v_cvt_f32_i32_e32 v96, v96
	v_and_b32_e32 v117, 0xf0f0f0f, v117
	s_delay_alu instid0(VALU_DEP_2) | instskip(NEXT) | instid1(VALU_DEP_4)
	v_fma_f32 v96, v17, v96, v23
	v_dual_fmac_f32 v23, v17, v116 :: v_dual_and_b32 v116, 0xf0f0f0f, v110
	v_cvt_f32_f16_e32 v17, v90
	v_lshrrev_b32_e32 v90, 16, v90
	v_lshrrev_b32_e32 v110, 4, v110
	s_delay_alu instid0(VALU_DEP_3) | instskip(NEXT) | instid1(VALU_DEP_3)
	v_mul_f32_e32 v17, v134, v17
	v_cvt_f32_f16_e32 v90, v90
	s_delay_alu instid0(VALU_DEP_1)
	v_mul_f32_e32 v90, v135, v90
	scratch_load_b128 v[132:135], off, off offset:628 ; 16-byte Folded Reload
	v_and_b32_e32 v110, 0xf0f0f0f, v110
	v_mul_f32_e32 v90, 0x3e000000, v90
	s_waitcnt vmcnt(1)
	v_dot4_i32_iu8 v116, v116, v118, 0 neg_lo:[1,1,0]
	v_dot4_i32_iu8 v111, v111, v119, 0 neg_lo:[1,1,0]
	scratch_load_b64 v[118:119], off, off offset:96 ; 8-byte Folded Reload
	v_cvt_f32_i32_e32 v116, v116
	v_cvt_f32_i32_e32 v111, v111
	s_delay_alu instid0(VALU_DEP_2) | instskip(NEXT) | instid1(VALU_DEP_2)
	v_fma_f32 v116, v17, v116, v90
	v_fma_f32 v111, v17, v111, v90
	s_waitcnt vmcnt(0)
	v_dot4_i32_iu8 v110, v110, v118, 0 neg_lo:[1,1,0]
	v_dot4_i32_iu8 v117, v117, v119, 0 neg_lo:[1,1,0]
	v_lshrrev_b32_e32 v118, 4, v113
	v_and_b32_e32 v113, 0xf0f0f0f, v113
	v_lshrrev_b32_e32 v119, 4, v16
	v_cvt_f32_i32_e32 v110, v110
	v_cvt_f32_i32_e32 v117, v117
	v_and_b32_e32 v118, 0xf0f0f0f, v118
	v_dot4_i32_iu8 v113, v113, v137, 0 neg_lo:[1,1,0]
	v_and_b32_e32 v16, 0xf0f0f0f, v16
	v_fma_f32 v110, v17, v110, v90
	v_dual_fmac_f32 v90, v17, v117 :: v_dual_and_b32 v117, 0xf0f0f0f, v112
	v_cvt_f32_f16_e32 v17, v91
	v_lshrrev_b32_e32 v91, 16, v91
	v_lshrrev_b32_e32 v112, 4, v112
	v_cvt_f32_i32_e32 v113, v113
	v_dot4_i32_iu8 v117, v117, v136, 0 neg_lo:[1,1,0]
	scratch_load_b64 v[136:137], off, off offset:644 ; 8-byte Folded Reload
	v_cvt_f32_f16_e32 v91, v91
	v_mul_f32_e32 v17, v132, v17
	v_dot4_i32_iu8 v16, v16, v139, 0 neg_lo:[1,1,0]
	v_cvt_f32_i32_e32 v117, v117
	v_and_b32_e32 v119, 0xf0f0f0f, v119
	v_mul_f32_e32 v91, v133, v91
	s_delay_alu instid0(VALU_DEP_4) | instskip(NEXT) | instid1(VALU_DEP_2)
	v_cvt_f32_i32_e32 v16, v16
	v_mul_f32_e32 v91, 0x3e000000, v91
	s_delay_alu instid0(VALU_DEP_1) | instskip(SKIP_3) | instid1(VALU_DEP_1)
	v_fma_f32 v117, v17, v117, v91
	v_fma_f32 v113, v17, v113, v91
	s_waitcnt vmcnt(0)
	v_dot4_i32_iu8 v118, v118, v137, 0 neg_lo:[1,1,0]
	v_cvt_f32_i32_e32 v118, v118
	v_and_b32_e32 v112, 0xf0f0f0f, v112
	s_delay_alu instid0(VALU_DEP_1) | instskip(NEXT) | instid1(VALU_DEP_1)
	v_dot4_i32_iu8 v112, v112, v136, 0 neg_lo:[1,1,0]
	v_cvt_f32_i32_e32 v112, v112
	s_delay_alu instid0(VALU_DEP_1)
	v_fma_f32 v112, v17, v112, v91
	v_fmac_f32_e32 v91, v17, v118
	v_and_b32_e32 v118, 0xf0f0f0f, v114
	v_cvt_f32_f16_e32 v17, v95
	v_lshrrev_b32_e32 v95, 16, v95
	v_lshrrev_b32_e32 v114, 4, v114
	s_delay_alu instid0(VALU_DEP_4) | instskip(SKIP_4) | instid1(VALU_DEP_3)
	v_dot4_i32_iu8 v118, v118, v138, 0 neg_lo:[1,1,0]
	scratch_load_b64 v[138:139], off, off offset:652 ; 8-byte Folded Reload
	v_cvt_f32_f16_e32 v95, v95
	v_dual_mul_f32 v17, v134, v17 :: v_dual_and_b32 v114, 0xf0f0f0f, v114
	v_cvt_f32_i32_e32 v118, v118
	v_mul_f32_e32 v95, v135, v95
	s_delay_alu instid0(VALU_DEP_1) | instskip(NEXT) | instid1(VALU_DEP_1)
	v_mul_f32_e32 v95, 0x3e000000, v95
	v_fma_f32 v118, v17, v118, v95
	v_fma_f32 v16, v17, v16, v95
	s_waitcnt vmcnt(0)
	v_dot4_i32_iu8 v114, v114, v138, 0 neg_lo:[1,1,0]
	v_dot4_i32_iu8 v119, v119, v139, 0 neg_lo:[1,1,0]
	s_delay_alu instid0(VALU_DEP_2) | instskip(NEXT) | instid1(VALU_DEP_2)
	v_cvt_f32_i32_e32 v114, v114
	v_cvt_f32_i32_e32 v119, v119
	s_delay_alu instid0(VALU_DEP_2) | instskip(NEXT) | instid1(VALU_DEP_2)
	v_fma_f32 v114, v17, v114, v95
	v_fmac_f32_e32 v95, v17, v119
	v_add_f32_e32 v17, 0, v105
	s_delay_alu instid0(VALU_DEP_1) | instskip(NEXT) | instid1(VALU_DEP_1)
	v_add_f32_e32 v17, v17, v98
	v_add_f32_e32 v17, v17, v97
	s_delay_alu instid0(VALU_DEP_1) | instskip(NEXT) | instid1(VALU_DEP_1)
	v_add_f32_e32 v17, v17, v19
	;; [unrolled: 3-line block ×14, first 2 shown]
	v_add_f32_e32 v17, v17, v118
	s_delay_alu instid0(VALU_DEP_1) | instskip(SKIP_2) | instid1(VALU_DEP_1)
	v_add_f32_e32 v16, v17, v16
	scratch_load_b32 v17, off, off offset:120 ; 4-byte Folded Reload
	v_add_f32_e32 v16, v16, v114
	v_add_f32_e32 v16, v16, v95
	s_waitcnt vmcnt(0)
	ds_bpermute_b32 v17, v17, v16
	s_waitcnt lgkmcnt(0)
	v_add_f32_e32 v16, v16, v17
                                        ; implicit-def: $vgpr17
	s_delay_alu instid0(VALU_DEP_1) | instskip(NEXT) | instid1(VALU_DEP_1)
	v_cmp_ngt_f32_e64 s11, 0x3f200000, |v16|
	s_and_saveexec_b32 s12, s11
	s_delay_alu instid0(SALU_CYCLE_1)
	s_xor_b32 s11, exec_lo, s12
	s_cbranch_execz .LBB27_17
; %bb.16:                               ;   in Loop: Header=BB27_15 Depth=1
	v_add_f32_e64 v17, |v16|, |v16|
	s_delay_alu instid0(VALU_DEP_1) | instskip(SKIP_1) | instid1(VALU_DEP_2)
	v_mul_f32_e32 v19, 0x3fb8aa3b, v17
	v_cmp_ngt_f32_e32 vcc_lo, 0xc2ce8ed0, v17
	v_rndne_f32_e32 v20, v19
	v_fma_f32 v21, 0x3fb8aa3b, v17, -v19
	s_delay_alu instid0(VALU_DEP_2) | instskip(NEXT) | instid1(VALU_DEP_2)
	v_sub_f32_e32 v19, v19, v20
	v_fmac_f32_e32 v21, 0x32a5705f, v17
	v_cvt_i32_f32_e32 v20, v20
	s_delay_alu instid0(VALU_DEP_2) | instskip(NEXT) | instid1(VALU_DEP_1)
	v_add_f32_e32 v19, v19, v21
	v_exp_f32_e32 v19, v19
	s_waitcnt_depctr 0xfff
	v_ldexp_f32 v19, v19, v20
	s_delay_alu instid0(VALU_DEP_1) | instskip(SKIP_1) | instid1(VALU_DEP_2)
	v_cndmask_b32_e32 v19, 0, v19, vcc_lo
	v_cmp_nlt_f32_e32 vcc_lo, 0x42b17218, v17
	v_cndmask_b32_e32 v17, 0x7f800000, v19, vcc_lo
	s_delay_alu instid0(VALU_DEP_1) | instskip(NEXT) | instid1(VALU_DEP_1)
	v_add_f32_e32 v17, 1.0, v17
	v_rcp_f32_e32 v17, v17
	s_waitcnt_depctr 0xfff
	v_fma_f32 v17, v17, -2.0, 1.0
.LBB27_17:                              ;   in Loop: Header=BB27_15 Depth=1
	s_and_not1_saveexec_b32 s11, s11
; %bb.18:                               ;   in Loop: Header=BB27_15 Depth=1
	v_mul_f32_e32 v17, v16, v16
	s_delay_alu instid0(VALU_DEP_1) | instskip(NEXT) | instid1(VALU_DEP_1)
	v_fmaak_f32 v19, s10, v17, 0x3ca908c9
	v_fmaak_f32 v19, v17, v19, 0xbd5c1c4e
	s_delay_alu instid0(VALU_DEP_1) | instskip(NEXT) | instid1(VALU_DEP_1)
	v_fmaak_f32 v19, v17, v19, 0x3e088382
	v_fmaak_f32 v19, v17, v19, 0xbeaaaa99
	s_delay_alu instid0(VALU_DEP_1) | instskip(NEXT) | instid1(VALU_DEP_1)
	v_mul_f32_e64 v19, |v16|, v19
	v_fma_f32 v17, v17, v19, |v16|
; %bb.19:                               ;   in Loop: Header=BB27_15 Depth=1
	s_or_b32 exec_lo, exec_lo, s11
	s_delay_alu instid0(VALU_DEP_1) | instskip(SKIP_1) | instid1(VALU_DEP_1)
	v_bfi_b32 v16, 0x7fffffff, v17, v16
	s_and_not1_b32 vcc_lo, exec_lo, s81
	v_mul_f32_e32 v19, s91, v16
	s_cbranch_vccnz .LBB27_21
; %bb.20:                               ;   in Loop: Header=BB27_15 Depth=1
	global_load_u16 v16, v[140:141], off offset:-2
	scratch_load_b32 v17, off, off offset:572 ; 4-byte Folded Reload
	s_waitcnt vmcnt(0)
	v_fma_mix_f32 v19, v17, v16, v19 op_sel_hi:[0,1,0]
.LBB27_21:                              ;   in Loop: Header=BB27_15 Depth=1
	v_add_co_u32 v16, vcc_lo, v143, s7
	v_add_co_ci_u32_e32 v17, vcc_lo, 0, v142, vcc_lo
	s_clause 0x7
	global_load_b32 v20, v[16:17], off
	global_load_b32 v21, v[16:17], off offset:20
	global_load_b32 v22, v[16:17], off offset:40
	;; [unrolled: 1-line block ×7, first 2 shown]
	s_clause 0x1
	scratch_load_b32 v16, off, off
	scratch_load_b32 v17, off, off offset:4
	s_waitcnt vmcnt(9)
	v_cvt_f32_f16_e32 v97, v20
	v_lshrrev_b32_e32 v20, 16, v20
	s_delay_alu instid0(VALU_DEP_2) | instskip(NEXT) | instid1(VALU_DEP_2)
	v_mul_f32_e32 v97, v128, v97
	v_cvt_f32_f16_e32 v20, v20
	s_waitcnt vmcnt(1)
	v_add_co_u32 v16, vcc_lo, v16, s7
	s_waitcnt vmcnt(0)
	v_add_co_ci_u32_e32 v17, vcc_lo, 0, v17, vcc_lo
	s_clause 0x7
	global_load_b32 v98, v[16:17], off offset:4
	global_load_b32 v99, v[16:17], off offset:12
	;; [unrolled: 1-line block ×8, first 2 shown]
	scratch_load_b64 v[113:114], off, off offset:40 ; 8-byte Folded Reload
	v_mul_f32_e32 v20, v129, v20
	s_delay_alu instid0(VALU_DEP_1)
	v_mul_f32_e32 v20, 0x3e000000, v20
	s_waitcnt vmcnt(8)
	v_and_b32_e32 v106, 0xf0f0f0f, v98
	v_lshrrev_b32_e32 v98, 4, v98
	s_waitcnt vmcnt(7)
	v_lshrrev_b32_e32 v107, 4, v99
	v_and_b32_e32 v99, 0xf0f0f0f, v99
	s_waitcnt vmcnt(5)
	v_lshrrev_b32_e32 v108, 4, v101
	v_dot4_i32_iu8 v106, v106, v120, 0 neg_lo:[1,1,0]
	v_and_b32_e32 v98, 0xf0f0f0f, v98
	v_and_b32_e32 v107, 0xf0f0f0f, v107
	v_dot4_i32_iu8 v99, v99, v121, 0 neg_lo:[1,1,0]
	v_and_b32_e32 v101, 0xf0f0f0f, v101
	v_cvt_f32_i32_e32 v106, v106
	v_dot4_i32_iu8 v98, v98, v122, 0 neg_lo:[1,1,0]
	v_dot4_i32_iu8 v107, v107, v123, 0 neg_lo:[1,1,0]
	v_cvt_f32_i32_e32 v99, v99
	v_and_b32_e32 v108, 0xf0f0f0f, v108
	v_fma_f32 v106, v97, v106, v20
	v_cvt_f32_i32_e32 v98, v98
	v_cvt_f32_i32_e32 v107, v107
	v_fma_f32 v99, v97, v99, v20
	v_dot4_i32_iu8 v101, v101, v125, 0 neg_lo:[1,1,0]
	v_dot4_i32_iu8 v108, v108, v127, 0 neg_lo:[1,1,0]
	v_fma_f32 v98, v97, v98, v20
	v_dual_fmac_f32 v20, v97, v107 :: v_dual_and_b32 v107, 0xf0f0f0f, v100
	v_cvt_f32_f16_e32 v97, v21
	v_lshrrev_b32_e32 v21, 16, v21
	v_lshrrev_b32_e32 v100, 4, v100
	v_cvt_f32_i32_e32 v101, v101
	v_dot4_i32_iu8 v107, v107, v124, 0 neg_lo:[1,1,0]
	v_mul_f32_e32 v97, v130, v97
	v_cvt_f32_f16_e32 v21, v21
	v_and_b32_e32 v100, 0xf0f0f0f, v100
	v_cvt_f32_i32_e32 v108, v108
	v_cvt_f32_i32_e32 v107, v107
	s_waitcnt vmcnt(3)
	v_lshrrev_b32_e32 v109, 4, v103
	v_mul_f32_e32 v21, v131, v21
	v_dot4_i32_iu8 v100, v100, v126, 0 neg_lo:[1,1,0]
	v_and_b32_e32 v103, 0xf0f0f0f, v103
	s_delay_alu instid0(VALU_DEP_4) | instskip(NEXT) | instid1(VALU_DEP_4)
	v_and_b32_e32 v109, 0xf0f0f0f, v109
	v_mul_f32_e32 v21, 0x3e000000, v21
	s_delay_alu instid0(VALU_DEP_4)
	v_cvt_f32_i32_e32 v100, v100
	s_waitcnt vmcnt(0)
	v_dot4_i32_iu8 v103, v103, v114, 0 neg_lo:[1,1,0]
	scratch_load_b64 v[114:115], off, off offset:56 ; 8-byte Folded Reload
	v_fma_f32 v107, v97, v107, v21
	v_fma_f32 v101, v97, v101, v21
	;; [unrolled: 1-line block ×3, first 2 shown]
	v_dual_fmac_f32 v21, v97, v108 :: v_dual_and_b32 v108, 0xf0f0f0f, v102
	v_cvt_f32_f16_e32 v97, v22
	v_lshrrev_b32_e32 v22, 16, v22
	v_lshrrev_b32_e32 v102, 4, v102
	v_cvt_f32_i32_e32 v103, v103
	v_dot4_i32_iu8 v108, v108, v113, 0 neg_lo:[1,1,0]
	scratch_load_b128 v[110:113], off, off offset:8 ; 16-byte Folded Reload
	v_cvt_f32_f16_e32 v22, v22
	v_and_b32_e32 v102, 0xf0f0f0f, v102
	v_cvt_f32_i32_e32 v108, v108
	s_waitcnt vmcnt(0)
	s_delay_alu instid0(VALU_DEP_3) | instskip(SKIP_2) | instid1(VALU_DEP_1)
	v_dual_mul_f32 v97, v110, v97 :: v_dual_mul_f32 v22, v111, v22
	scratch_load_b64 v[110:111], off, off offset:48 ; 8-byte Folded Reload
	v_mul_f32_e32 v22, 0x3e000000, v22
	v_fma_f32 v108, v97, v108, v22
	v_fma_f32 v103, v97, v103, v22
	s_waitcnt vmcnt(0)
	v_dot4_i32_iu8 v102, v102, v110, 0 neg_lo:[1,1,0]
	v_dot4_i32_iu8 v109, v109, v111, 0 neg_lo:[1,1,0]
	v_lshrrev_b32_e32 v110, 4, v105
	v_and_b32_e32 v105, 0xf0f0f0f, v105
	s_delay_alu instid0(VALU_DEP_4) | instskip(NEXT) | instid1(VALU_DEP_4)
	v_cvt_f32_i32_e32 v102, v102
	v_cvt_f32_i32_e32 v109, v109
	s_delay_alu instid0(VALU_DEP_4) | instskip(NEXT) | instid1(VALU_DEP_4)
	v_and_b32_e32 v110, 0xf0f0f0f, v110
	v_dot4_i32_iu8 v105, v105, v115, 0 neg_lo:[1,1,0]
	s_delay_alu instid0(VALU_DEP_4) | instskip(NEXT) | instid1(VALU_DEP_4)
	v_fma_f32 v102, v97, v102, v22
	v_fmac_f32_e32 v22, v97, v109
	v_cvt_f32_f16_e32 v97, v23
	v_lshrrev_b32_e32 v23, 16, v23
	v_and_b32_e32 v109, 0xf0f0f0f, v104
	v_lshrrev_b32_e32 v104, 4, v104
	v_cvt_f32_i32_e32 v105, v105
	v_mul_f32_e32 v97, v112, v97
	scratch_load_b64 v[111:112], off, off offset:64 ; 8-byte Folded Reload
	v_cvt_f32_f16_e32 v23, v23
	v_dot4_i32_iu8 v109, v109, v114, 0 neg_lo:[1,1,0]
	s_delay_alu instid0(VALU_DEP_2) | instskip(NEXT) | instid1(VALU_DEP_2)
	v_mul_f32_e32 v23, v113, v23
	v_cvt_f32_i32_e32 v109, v109
	s_delay_alu instid0(VALU_DEP_2) | instskip(NEXT) | instid1(VALU_DEP_1)
	v_mul_f32_e32 v23, 0x3e000000, v23
	v_fma_f32 v109, v97, v109, v23
	v_fma_f32 v105, v97, v105, v23
	s_waitcnt vmcnt(0)
	v_dot4_i32_iu8 v110, v110, v112, 0 neg_lo:[1,1,0]
	s_delay_alu instid0(VALU_DEP_1) | instskip(SKIP_1) | instid1(VALU_DEP_1)
	v_cvt_f32_i32_e32 v110, v110
	v_and_b32_e32 v104, 0xf0f0f0f, v104
	v_dot4_i32_iu8 v104, v104, v111, 0 neg_lo:[1,1,0]
	s_delay_alu instid0(VALU_DEP_1) | instskip(NEXT) | instid1(VALU_DEP_1)
	v_cvt_f32_i32_e32 v104, v104
	v_fma_f32 v104, v97, v104, v23
	v_fmac_f32_e32 v23, v97, v110
	s_clause 0x7
	global_load_b32 v97, v[16:17], off offset:84
	global_load_b32 v110, v[16:17], off offset:92
	;; [unrolled: 1-line block ×8, first 2 shown]
	scratch_load_b64 v[121:122], off, off offset:72 ; 8-byte Folded Reload
	v_cvt_f32_f16_e32 v17, v90
	v_lshrrev_b32_e32 v90, 16, v90
	s_delay_alu instid0(VALU_DEP_1)
	v_cvt_f32_f16_e32 v90, v90
	s_waitcnt vmcnt(8)
	v_and_b32_e32 v116, 0xf0f0f0f, v97
	s_waitcnt vmcnt(7)
	v_lshrrev_b32_e32 v117, 4, v110
	v_lshrrev_b32_e32 v97, 4, v97
	s_delay_alu instid0(VALU_DEP_2) | instskip(NEXT) | instid1(VALU_DEP_2)
	v_and_b32_e32 v117, 0xf0f0f0f, v117
	v_and_b32_e32 v97, 0xf0f0f0f, v97
	s_waitcnt vmcnt(0)
	v_dot4_i32_iu8 v116, v116, v121, 0 neg_lo:[1,1,0]
	scratch_load_b128 v[118:121], off, off offset:24 ; 16-byte Folded Reload
	v_and_b32_e32 v110, 0xf0f0f0f, v110
	v_cvt_f32_i32_e32 v116, v116
	s_delay_alu instid0(VALU_DEP_2)
	v_dot4_i32_iu8 v110, v110, v122, 0 neg_lo:[1,1,0]
	scratch_load_b64 v[122:123], off, off offset:88 ; 8-byte Folded Reload
	v_cvt_f32_i32_e32 v110, v110
	s_waitcnt vmcnt(1)
	v_dual_mul_f32 v17, v118, v17 :: v_dual_mul_f32 v90, v119, v90
	scratch_load_b64 v[118:119], off, off offset:80 ; 8-byte Folded Reload
	v_mul_f32_e32 v90, 0x3e000000, v90
	s_delay_alu instid0(VALU_DEP_1)
	v_fma_f32 v116, v17, v116, v90
	v_fma_f32 v110, v17, v110, v90
	s_waitcnt vmcnt(0)
	v_dot4_i32_iu8 v97, v97, v118, 0 neg_lo:[1,1,0]
	v_dot4_i32_iu8 v117, v117, v119, 0 neg_lo:[1,1,0]
	v_lshrrev_b32_e32 v118, 4, v112
	s_delay_alu instid0(VALU_DEP_3) | instskip(NEXT) | instid1(VALU_DEP_3)
	v_cvt_f32_i32_e32 v97, v97
	v_cvt_f32_i32_e32 v117, v117
	s_delay_alu instid0(VALU_DEP_3) | instskip(NEXT) | instid1(VALU_DEP_3)
	v_and_b32_e32 v118, 0xf0f0f0f, v118
	v_fma_f32 v97, v17, v97, v90
	s_delay_alu instid0(VALU_DEP_3) | instskip(SKIP_4) | instid1(VALU_DEP_4)
	v_fmac_f32_e32 v90, v17, v117
	v_cvt_f32_f16_e32 v17, v91
	v_lshrrev_b32_e32 v91, 16, v91
	v_and_b32_e32 v117, 0xf0f0f0f, v111
	v_lshrrev_b32_e32 v111, 4, v111
	v_mul_f32_e32 v17, v120, v17
	scratch_load_b64 v[119:120], off, off offset:96 ; 8-byte Folded Reload
	v_cvt_f32_f16_e32 v91, v91
	v_and_b32_e32 v111, 0xf0f0f0f, v111
	v_dot4_i32_iu8 v117, v117, v122, 0 neg_lo:[1,1,0]
	s_delay_alu instid0(VALU_DEP_3) | instskip(NEXT) | instid1(VALU_DEP_2)
	v_mul_f32_e32 v91, v121, v91
	v_cvt_f32_i32_e32 v117, v117
	s_delay_alu instid0(VALU_DEP_2) | instskip(NEXT) | instid1(VALU_DEP_1)
	v_mul_f32_e32 v91, 0x3e000000, v91
	v_fma_f32 v117, v17, v117, v91
	s_waitcnt vmcnt(0)
	v_dot4_i32_iu8 v118, v118, v120, 0 neg_lo:[1,1,0]
	scratch_load_b64 v[120:121], off, off offset:104 ; 8-byte Folded Reload
	v_dot4_i32_iu8 v111, v111, v119, 0 neg_lo:[1,1,0]
	v_lshrrev_b32_e32 v119, 4, v114
	v_cvt_f32_i32_e32 v118, v118
	v_and_b32_e32 v112, 0xf0f0f0f, v112
	s_delay_alu instid0(VALU_DEP_4) | instskip(NEXT) | instid1(VALU_DEP_4)
	v_cvt_f32_i32_e32 v111, v111
	v_and_b32_e32 v119, 0xf0f0f0f, v119
	s_delay_alu instid0(VALU_DEP_3) | instskip(NEXT) | instid1(VALU_DEP_3)
	v_dot4_i32_iu8 v112, v112, v123, 0 neg_lo:[1,1,0]
	v_fma_f32 v111, v17, v111, v91
	s_delay_alu instid0(VALU_DEP_3) | instskip(NEXT) | instid1(VALU_DEP_3)
	v_dot4_i32_iu8 v119, v119, v137, 0 neg_lo:[1,1,0]
	v_cvt_f32_i32_e32 v112, v112
	s_delay_alu instid0(VALU_DEP_2) | instskip(NEXT) | instid1(VALU_DEP_2)
	v_cvt_f32_i32_e32 v119, v119
	v_fma_f32 v112, v17, v112, v91
	v_fmac_f32_e32 v91, v17, v118
	v_cvt_f32_f16_e32 v17, v95
	v_lshrrev_b32_e32 v95, 16, v95
	s_delay_alu instid0(VALU_DEP_2) | instskip(NEXT) | instid1(VALU_DEP_2)
	v_mul_f32_e32 v17, v132, v17
	v_cvt_f32_f16_e32 v95, v95
	v_and_b32_e32 v118, 0xf0f0f0f, v113
	v_lshrrev_b32_e32 v113, 4, v113
	s_delay_alu instid0(VALU_DEP_3) | instskip(NEXT) | instid1(VALU_DEP_2)
	v_mul_f32_e32 v95, v133, v95
	v_and_b32_e32 v113, 0xf0f0f0f, v113
	s_delay_alu instid0(VALU_DEP_2) | instskip(SKIP_1) | instid1(VALU_DEP_3)
	v_mul_f32_e32 v95, 0x3e000000, v95
	v_and_b32_e32 v114, 0xf0f0f0f, v114
	v_dot4_i32_iu8 v113, v113, v136, 0 neg_lo:[1,1,0]
	s_delay_alu instid0(VALU_DEP_1) | instskip(NEXT) | instid1(VALU_DEP_1)
	v_cvt_f32_i32_e32 v113, v113
	v_fma_f32 v113, v17, v113, v95
	s_waitcnt vmcnt(0)
	v_dot4_i32_iu8 v114, v114, v121, 0 neg_lo:[1,1,0]
	scratch_load_b64 v[121:122], off, off offset:112 ; 8-byte Folded Reload
	v_dot4_i32_iu8 v118, v118, v120, 0 neg_lo:[1,1,0]
	v_lshrrev_b32_e32 v120, 4, v16
	v_cvt_f32_i32_e32 v114, v114
	s_delay_alu instid0(VALU_DEP_3) | instskip(NEXT) | instid1(VALU_DEP_3)
	v_cvt_f32_i32_e32 v118, v118
	v_and_b32_e32 v120, 0xf0f0f0f, v120
	s_delay_alu instid0(VALU_DEP_3) | instskip(NEXT) | instid1(VALU_DEP_3)
	v_fma_f32 v114, v17, v114, v95
	v_fma_f32 v118, v17, v118, v95
	v_fmac_f32_e32 v95, v17, v119
	v_cvt_f32_f16_e32 v17, v96
	v_lshrrev_b32_e32 v96, 16, v96
	v_and_b32_e32 v119, 0xf0f0f0f, v115
	v_lshrrev_b32_e32 v115, 4, v115
	s_delay_alu instid0(VALU_DEP_4) | instskip(NEXT) | instid1(VALU_DEP_4)
	v_dual_mul_f32 v17, v134, v17 :: v_dual_and_b32 v16, 0xf0f0f0f, v16
	v_cvt_f32_f16_e32 v96, v96
	v_dot4_i32_iu8 v120, v120, v139, 0 neg_lo:[1,1,0]
	s_delay_alu instid0(VALU_DEP_2) | instskip(NEXT) | instid1(VALU_DEP_2)
	v_dual_mul_f32 v96, v135, v96 :: v_dual_and_b32 v115, 0xf0f0f0f, v115
	v_cvt_f32_i32_e32 v120, v120
	s_delay_alu instid0(VALU_DEP_2) | instskip(NEXT) | instid1(VALU_DEP_3)
	v_dot4_i32_iu8 v115, v115, v138, 0 neg_lo:[1,1,0]
	v_mul_f32_e32 v96, 0x3e000000, v96
	s_delay_alu instid0(VALU_DEP_2) | instskip(NEXT) | instid1(VALU_DEP_1)
	v_cvt_f32_i32_e32 v115, v115
	v_fma_f32 v115, v17, v115, v96
	s_waitcnt vmcnt(0)
	v_dot4_i32_iu8 v119, v119, v121, 0 neg_lo:[1,1,0]
	v_dot4_i32_iu8 v16, v16, v122, 0 neg_lo:[1,1,0]
	s_delay_alu instid0(VALU_DEP_2) | instskip(NEXT) | instid1(VALU_DEP_2)
	v_cvt_f32_i32_e32 v119, v119
	v_cvt_f32_i32_e32 v16, v16
	s_delay_alu instid0(VALU_DEP_2) | instskip(NEXT) | instid1(VALU_DEP_2)
	v_fma_f32 v119, v17, v119, v96
	v_fma_f32 v16, v17, v16, v96
	v_dual_fmac_f32 v96, v17, v120 :: v_dual_add_f32 v17, 0, v106
	s_delay_alu instid0(VALU_DEP_1) | instskip(NEXT) | instid1(VALU_DEP_1)
	v_add_f32_e32 v17, v17, v99
	v_add_f32_e32 v17, v17, v98
	s_delay_alu instid0(VALU_DEP_1) | instskip(NEXT) | instid1(VALU_DEP_1)
	v_add_f32_e32 v17, v17, v20
	v_add_f32_e32 v17, v17, v107
	;; [unrolled: 3-line block ×14, first 2 shown]
	s_delay_alu instid0(VALU_DEP_1) | instskip(SKIP_2) | instid1(VALU_DEP_1)
	v_add_f32_e32 v16, v17, v16
	scratch_load_b32 v17, off, off offset:120 ; 4-byte Folded Reload
	v_add_f32_e32 v16, v16, v115
	v_add_f32_e32 v16, v16, v96
	s_waitcnt vmcnt(0)
	ds_bpermute_b32 v17, v17, v16
	s_waitcnt lgkmcnt(0)
	v_add_f32_e32 v16, v16, v17
                                        ; implicit-def: $vgpr17
	s_delay_alu instid0(VALU_DEP_1) | instskip(NEXT) | instid1(VALU_DEP_1)
	v_cmp_ngt_f32_e64 s11, 0x3f200000, |v16|
	s_and_saveexec_b32 s12, s11
	s_delay_alu instid0(SALU_CYCLE_1)
	s_xor_b32 s11, exec_lo, s12
	s_cbranch_execz .LBB27_23
; %bb.22:                               ;   in Loop: Header=BB27_15 Depth=1
	v_add_f32_e64 v17, |v16|, |v16|
	s_delay_alu instid0(VALU_DEP_1) | instskip(SKIP_1) | instid1(VALU_DEP_2)
	v_mul_f32_e32 v20, 0x3fb8aa3b, v17
	v_cmp_ngt_f32_e32 vcc_lo, 0xc2ce8ed0, v17
	v_rndne_f32_e32 v21, v20
	v_fma_f32 v22, 0x3fb8aa3b, v17, -v20
	s_delay_alu instid0(VALU_DEP_2) | instskip(NEXT) | instid1(VALU_DEP_2)
	v_sub_f32_e32 v20, v20, v21
	v_fmac_f32_e32 v22, 0x32a5705f, v17
	v_cvt_i32_f32_e32 v21, v21
	s_delay_alu instid0(VALU_DEP_2) | instskip(NEXT) | instid1(VALU_DEP_1)
	v_add_f32_e32 v20, v20, v22
	v_exp_f32_e32 v20, v20
	s_waitcnt_depctr 0xfff
	v_ldexp_f32 v20, v20, v21
	s_delay_alu instid0(VALU_DEP_1) | instskip(SKIP_1) | instid1(VALU_DEP_2)
	v_cndmask_b32_e32 v20, 0, v20, vcc_lo
	v_cmp_nlt_f32_e32 vcc_lo, 0x42b17218, v17
	v_cndmask_b32_e32 v17, 0x7f800000, v20, vcc_lo
	s_delay_alu instid0(VALU_DEP_1) | instskip(NEXT) | instid1(VALU_DEP_1)
	v_add_f32_e32 v17, 1.0, v17
	v_rcp_f32_e32 v17, v17
	s_waitcnt_depctr 0xfff
	v_fma_f32 v17, v17, -2.0, 1.0
.LBB27_23:                              ;   in Loop: Header=BB27_15 Depth=1
	s_or_saveexec_b32 s11, s11
	s_clause 0x5
	scratch_load_b32 v189, off, off offset:296
	scratch_load_b32 v156, off, off offset:300
	;; [unrolled: 1-line block ×6, first 2 shown]
	s_xor_b32 exec_lo, exec_lo, s11
; %bb.24:                               ;   in Loop: Header=BB27_15 Depth=1
	v_mul_f32_e32 v17, v16, v16
	s_delay_alu instid0(VALU_DEP_1) | instskip(NEXT) | instid1(VALU_DEP_1)
	v_fmaak_f32 v20, s10, v17, 0x3ca908c9
	v_fmaak_f32 v20, v17, v20, 0xbd5c1c4e
	s_delay_alu instid0(VALU_DEP_1) | instskip(NEXT) | instid1(VALU_DEP_1)
	v_fmaak_f32 v20, v17, v20, 0x3e088382
	v_fmaak_f32 v20, v17, v20, 0xbeaaaa99
	s_delay_alu instid0(VALU_DEP_1) | instskip(NEXT) | instid1(VALU_DEP_1)
	v_mul_f32_e64 v20, |v16|, v20
	v_fma_f32 v17, v17, v20, |v16|
; %bb.25:                               ;   in Loop: Header=BB27_15 Depth=1
	s_or_b32 exec_lo, exec_lo, s11
	s_delay_alu instid0(VALU_DEP_1)
	v_bfi_b32 v16, 0x7fffffff, v17, v16
	s_and_not1_b32 vcc_lo, exec_lo, s81
	s_clause 0x1
	scratch_store_b32 off, v143, off offset:320
	scratch_store_b32 off, v142, off offset:324
	v_mul_f32_e32 v16, s91, v16
	s_cbranch_vccnz .LBB27_27
; %bb.26:                               ;   in Loop: Header=BB27_15 Depth=1
	global_load_u16 v17, v[140:141], off
	scratch_load_b32 v20, off, off offset:572 ; 4-byte Folded Reload
	s_waitcnt vmcnt(0)
	v_fma_mix_f32 v16, v20, v17, v16 op_sel_hi:[0,1,0]
.LBB27_27:                              ;   in Loop: Header=BB27_15 Depth=1
	s_waitcnt vmcnt(3)
	v_add_co_u32 v20, vcc_lo, v136, s6
	s_waitcnt vmcnt(2)
	v_add_co_ci_u32_e32 v21, vcc_lo, 0, v137, vcc_lo
	v_mov_b32_e32 v91, v88
	s_add_i32 s74, s74, s92
	v_add_f32_e32 v90, 0x40051340, v16
	global_load_b32 v17, v[20:21], off
	v_add_co_u32 v20, vcc_lo, v92, s6
	v_add_co_ci_u32_e32 v21, vcc_lo, 0, v93, vcc_lo
	v_cndmask_b32_e64 v16, v16, v19, s3
	s_cmp_ge_i32 s74, s88
	v_mov_b32_e32 v88, v86
	global_load_b32 v22, v[20:21], off
	v_add_co_u32 v20, vcc_lo, v189, s6
	v_add_co_ci_u32_e32 v21, vcc_lo, 0, v156, vcc_lo
	v_mov_b32_e32 v57, v87
	v_mov_b32_e32 v87, v82
	scratch_load_b32 v133, off, off offset:676 ; 4-byte Folded Reload
	global_load_b32 v23, v[20:21], off
	s_waitcnt vmcnt(5)
	v_add_co_u32 v20, vcc_lo, v138, s6
	s_waitcnt vmcnt(4)
	v_add_co_ci_u32_e32 v21, vcc_lo, 0, v139, vcc_lo
	v_mov_b32_e32 v86, v11
	v_mov_b32_e32 v82, v6
	global_load_b32 v20, v[20:21], off
	v_add_f32_e32 v21, 0x40051340, v19
	s_delay_alu instid0(VALU_DEP_1)
	v_max3_f32 v21, v18, v21, v90
	scratch_load_b32 v90, off, off offset:660 ; 4-byte Folded Reload
	s_waitcnt vmcnt(5)
	v_ashrrev_i32_e32 v17, v89, v17
	s_waitcnt vmcnt(4)
	v_ashrrev_i32_e32 v22, v89, v22
	s_waitcnt vmcnt(0)
	ds_bpermute_b32 v90, v90, v21
	s_waitcnt lgkmcnt(0)
	v_max_f32_e32 v90, v90, v90
	s_delay_alu instid0(VALU_DEP_1)
	v_max_f32_e32 v21, v21, v90
	scratch_load_b32 v90, off, off offset:664 ; 4-byte Folded Reload
	s_waitcnt vmcnt(0)
	ds_bpermute_b32 v90, v90, v21
	s_waitcnt lgkmcnt(0)
	v_max_f32_e32 v90, v90, v90
	s_delay_alu instid0(VALU_DEP_1)
	v_max_f32_e32 v21, v21, v90
	scratch_load_b32 v90, off, off offset:668 ; 4-byte Folded Reload
	;; [unrolled: 7-line block ×3, first 2 shown]
	s_waitcnt vmcnt(0)
	ds_bpermute_b32 v90, v90, v21
	s_waitcnt lgkmcnt(0)
	v_max_f32_e32 v90, v90, v90
	s_delay_alu instid0(VALU_DEP_1) | instskip(NEXT) | instid1(VALU_DEP_1)
	v_max_f32_e32 v56, v21, v90
	v_sub_f32_e32 v18, v18, v56
	s_delay_alu instid0(VALU_DEP_1) | instskip(NEXT) | instid1(VALU_DEP_1)
	v_dual_sub_f32 v16, v16, v56 :: v_dual_mul_f32 v19, 0x3fb8aa3b, v18
	v_cmp_ngt_f32_e32 vcc_lo, 0xc2ce8ed0, v16
	s_delay_alu instid0(VALU_DEP_2) | instskip(SKIP_1) | instid1(VALU_DEP_2)
	v_fma_f32 v21, 0x3fb8aa3b, v18, -v19
	v_rndne_f32_e32 v90, v19
	v_fmac_f32_e32 v21, 0x32a5705f, v18
	s_delay_alu instid0(VALU_DEP_2) | instskip(SKIP_1) | instid1(VALU_DEP_2)
	v_sub_f32_e32 v19, v19, v90
	v_cvt_i32_f32_e32 v90, v90
	v_add_f32_e32 v19, v19, v21
	v_mul_f32_e32 v21, 0x3fb8aa3b, v16
	s_delay_alu instid0(VALU_DEP_2) | instskip(NEXT) | instid1(VALU_DEP_1)
	v_exp_f32_e32 v19, v19
	v_fma_f32 v95, 0x3fb8aa3b, v16, -v21
	v_rndne_f32_e32 v96, v21
	s_delay_alu instid0(VALU_DEP_2) | instskip(NEXT) | instid1(VALU_DEP_2)
	v_fmac_f32_e32 v95, 0x32a5705f, v16
	v_sub_f32_e32 v21, v21, v96
	s_waitcnt_depctr 0xfff
	v_ldexp_f32 v19, v19, v90
	v_cvt_i32_f32_e32 v90, v96
	v_add_f32_e32 v21, v21, v95
	v_and_b32_e32 v95, 15, v17
	v_and_b32_e32 v96, 15, v22
	s_clause 0x2
	scratch_store_b32 off, v92, off offset:508
	scratch_store_b32 off, v93, off offset:504
	;; [unrolled: 1-line block ×3, first 2 shown]
	v_exp_f32_e32 v21, v21
	v_cvt_f16_u16_e32 v95, v95
	v_cvt_f16_u16_e32 v96, v96
	s_waitcnt_depctr 0xfff
	v_ldexp_f32 v21, v21, v90
	v_lshrrev_b32_e32 v90, 8, v17
	s_delay_alu instid0(VALU_DEP_1) | instskip(SKIP_1) | instid1(VALU_DEP_2)
	v_dual_cndmask_b32 v21, 0, v21 :: v_dual_and_b32 v90, 15, v90
	v_cmp_nlt_f32_e32 vcc_lo, 0x42b17218, v16
	v_cvt_f16_u16_e32 v90, v90
	s_delay_alu instid0(VALU_DEP_1) | instskip(SKIP_2) | instid1(VALU_DEP_3)
	v_pack_b32_f16 v95, v95, v90
	v_lshrrev_b32_e32 v90, 16, v17
	v_bfe_u32 v17, v17, 24, 4
	v_pk_fma_f16 v98, v23, v95, v23 op_sel:[0,0,1] op_sel_hi:[0,1,1]
	s_delay_alu instid0(VALU_DEP_3) | instskip(NEXT) | instid1(VALU_DEP_3)
	v_and_b32_e32 v90, 15, v90
	v_cvt_f16_u16_e32 v17, v17
	s_delay_alu instid0(VALU_DEP_2) | instskip(NEXT) | instid1(VALU_DEP_1)
	v_cvt_f16_u16_e32 v90, v90
	v_pack_b32_f16 v17, v90, v17
	v_lshrrev_b32_e32 v90, 8, v22
	s_delay_alu instid0(VALU_DEP_2) | instskip(NEXT) | instid1(VALU_DEP_2)
	v_pk_fma_f16 v97, v23, v17, v23 op_sel:[0,0,1] op_sel_hi:[0,1,1]
	v_and_b32_e32 v90, 15, v90
	s_delay_alu instid0(VALU_DEP_1) | instskip(NEXT) | instid1(VALU_DEP_1)
	v_cvt_f16_u16_e32 v90, v90
	v_pack_b32_f16 v96, v96, v90
	v_lshrrev_b32_e32 v90, 16, v22
	v_bfe_u32 v22, v22, 24, 4
	s_delay_alu instid0(VALU_DEP_3) | instskip(NEXT) | instid1(VALU_DEP_3)
	v_pk_fma_f16 v96, v20, v96, v20 op_sel:[0,0,1] op_sel_hi:[0,1,1]
	v_and_b32_e32 v90, 15, v90
	s_delay_alu instid0(VALU_DEP_3) | instskip(NEXT) | instid1(VALU_DEP_2)
	v_cvt_f16_u16_e32 v22, v22
	v_cvt_f16_u16_e32 v90, v90
	s_delay_alu instid0(VALU_DEP_1)
	v_pack_b32_f16 v22, v90, v22
	v_cndmask_b32_e32 v90, 0x7f800000, v21, vcc_lo
	scratch_load_b32 v21, off, off offset:576 ; 4-byte Folded Reload
	v_cmp_ngt_f32_e32 vcc_lo, 0xc2ce8ed0, v18
	v_pk_fma_f16 v95, v20, v22, v20 op_sel:[0,0,1] op_sel_hi:[0,1,1]
	v_cvt_f16_f32_e32 v16, v90
	s_waitcnt vmcnt(0)
	ds_store_b16 v21, v16
	v_cndmask_b32_e32 v16, 0, v19, vcc_lo
	v_cmp_nlt_f32_e32 vcc_lo, 0x42b17218, v18
	s_delay_alu instid0(VALU_DEP_2)
	v_cndmask_b32_e32 v56, 0x7f800000, v16, vcc_lo
	scratch_store_b32 off, v56, off offset:568 ; 4-byte Folded Spill
	ds_load_b128 v[16:19], v133
	ds_load_b128 v[20:23], v133 offset:16
	v_cvt_f16_f32_e32 v99, v56
	s_clause 0x1
	scratch_store_b32 off, v149, off offset:564
	scratch_store_b32 off, v150, off offset:560
	v_dual_mov_b32 v56, v13 :: v_dual_mov_b32 v13, v12
	s_waitcnt lgkmcnt(1)
	v_pk_mul_f16 v98, v16, v98 op_sel_hi:[0,1]
	v_pk_mul_f16 v93, v16, v95 op_sel_hi:[0,1]
	v_pk_mul_f16 v96, v16, v96 op_sel_hi:[0,1]
	v_pk_mul_f16 v97, v16, v97 op_sel_hi:[0,1]
	s_delay_alu instid0(VALU_DEP_4)
	v_pk_fma_f16 v98, v99, v144, v98 op_sel_hi:[0,1,1]
	scratch_load_b32 v144, off, off offset:132 ; 4-byte Folded Reload
	v_pk_fma_f16 v95, v99, v145, v93 op_sel_hi:[0,1,1]
	scratch_load_b32 v145, off, off offset:136 ; 4-byte Folded Reload
	v_pk_fma_f16 v96, v99, v148, v96 op_sel_hi:[0,1,1]
	v_mov_b32_e32 v148, v146
	v_pk_fma_f16 v94, v99, v94, v97 op_sel_hi:[0,1,1]
	s_waitcnt vmcnt(1)
	v_add_co_u32 v92, vcc_lo, v144, s6
	s_waitcnt vmcnt(0)
	v_add_co_ci_u32_e32 v93, vcc_lo, 0, v145, vcc_lo
	global_load_b32 v97, v[92:93], off
	v_add_co_u32 v92, vcc_lo, v147, s6
	v_add_co_ci_u32_e32 v93, vcc_lo, 0, v148, vcc_lo
	global_load_b32 v99, v[92:93], off
	v_add_co_u32 v92, vcc_lo, v149, s6
	v_add_co_ci_u32_e32 v93, vcc_lo, 0, v150, vcc_lo
	global_load_b32 v100, v[92:93], off
	s_clause 0x1
	scratch_load_b32 v142, off, off offset:124
	scratch_load_b32 v143, off, off offset:128
	s_clause 0x1
	scratch_store_b32 off, v153, off offset:556
	scratch_store_b32 off, v154, off offset:552
	s_waitcnt vmcnt(3)
	v_ashrrev_i32_e32 v99, v89, v99
	s_delay_alu instid0(VALU_DEP_1)
	v_and_b32_e32 v126, 15, v99
	s_waitcnt vmcnt(2)
	v_ashrrev_i32_e32 v100, v89, v100
	s_waitcnt vmcnt(1)
	v_add_co_u32 v92, vcc_lo, v142, s6
	s_waitcnt vmcnt(0)
	v_add_co_ci_u32_e32 v93, vcc_lo, 0, v143, vcc_lo
	v_cvt_f16_u16_e32 v126, v126
	v_and_b32_e32 v127, 15, v100
	global_load_b32 v101, v[92:93], off
	v_add_co_u32 v92, vcc_lo, v153, s6
	v_add_co_ci_u32_e32 v93, vcc_lo, 0, v154, vcc_lo
	global_load_b32 v102, v[92:93], off
	scratch_load_b32 v146, off, off offset:140 ; 4-byte Folded Reload
	scratch_store_b32 off, v147, off offset:336 ; 4-byte Folded Spill
	scratch_load_b32 v147, off, off offset:144 ; 4-byte Folded Reload
	v_cvt_f16_u16_e32 v127, v127
	s_waitcnt vmcnt(2)
	v_ashrrev_i32_e32 v102, v89, v102
	s_waitcnt vmcnt(1)
	v_add_co_u32 v92, vcc_lo, v146, s6
	s_waitcnt vmcnt(0)
	v_add_co_ci_u32_e32 v93, vcc_lo, 0, v147, vcc_lo
	global_load_b32 v103, v[92:93], off
	s_clause 0x1
	scratch_load_b32 v149, off, off offset:148
	scratch_load_b32 v150, off, off offset:152
	v_and_b32_e32 v128, 15, v102
	s_waitcnt vmcnt(1)
	v_add_co_u32 v92, vcc_lo, v149, s6
	s_waitcnt vmcnt(0)
	v_add_co_ci_u32_e32 v93, vcc_lo, 0, v150, vcc_lo
	global_load_b32 v104, v[92:93], off
	s_clause 0x1
	scratch_load_b32 v153, off, off offset:156
	scratch_load_b32 v154, off, off offset:160
	s_clause 0x5
	scratch_store_b32 off, v161, off offset:520
	scratch_store_b32 off, v80, off offset:528
	scratch_store_b32 off, v174, off offset:516
	scratch_store_b32 off, v178, off offset:512
	scratch_store_b32 off, v187, off offset:536
	scratch_store_b32 off, v83, off offset:532
	s_waitcnt vmcnt(1)
	v_add_co_u32 v92, vcc_lo, v153, s6
	s_waitcnt vmcnt(0)
	v_add_co_ci_u32_e32 v93, vcc_lo, 0, v154, vcc_lo
	global_load_b32 v105, v[92:93], off
	v_add_co_u32 v92, vcc_lo, v155, s6
	v_add_co_ci_u32_e32 v93, vcc_lo, 0, v151, vcc_lo
	global_load_b32 v106, v[92:93], off
	v_add_co_u32 v92, vcc_lo, v152, s6
	;; [unrolled: 3-line block ×5, first 2 shown]
	v_add_co_ci_u32_e32 v93, vcc_lo, 0, v83, vcc_lo
	v_mov_b32_e32 v83, v75
	v_dual_mov_b32 v75, v74 :: v_dual_mov_b32 v74, v73
	global_load_b32 v110, v[92:93], off
	v_add_co_u32 v92, vcc_lo, v80, s6
	s_clause 0x1
	scratch_store_b32 off, v179, off offset:492
	scratch_store_b32 off, v165, off offset:524
	v_add_co_ci_u32_e32 v93, vcc_lo, 0, v165, vcc_lo
	v_mov_b32_e32 v179, v185
	s_clause 0x3
	scratch_store_b32 off, v85, off offset:548
	scratch_store_b32 off, v79, off offset:544
	;; [unrolled: 1-line block ×4, first 2 shown]
	global_load_b32 v111, v[92:93], off
	v_add_co_u32 v92, vcc_lo, v179, s6
	v_add_co_ci_u32_e32 v93, vcc_lo, 0, v85, vcc_lo
	v_dual_mov_b32 v80, v77 :: v_dual_mov_b32 v77, v72
	s_clause 0x2
	scratch_store_b32 off, v177, off offset:456
	scratch_store_b32 off, v0, off offset:460
	;; [unrolled: 1-line block ×3, first 2 shown]
	global_load_b32 v112, v[92:93], off
	v_add_co_u32 v92, vcc_lo, v79, s6
	v_add_co_ci_u32_e32 v93, vcc_lo, 0, v84, vcc_lo
	v_dual_mov_b32 v84, v81 :: v_dual_mov_b32 v81, v78
	v_dual_mov_b32 v79, v76 :: v_dual_mov_b32 v76, v175
	global_load_b32 v113, v[92:93], off
	v_add_co_u32 v92, vcc_lo, v14, s6
	v_add_co_ci_u32_e32 v93, vcc_lo, 0, v15, vcc_lo
	s_clause 0x3
	scratch_store_b32 off, v181, off offset:468
	scratch_store_b32 off, v2, off offset:472
	scratch_store_b32 off, v3, off offset:476
	scratch_store_b32 off, v7, off offset:480
	global_load_b32 v114, v[92:93], off
	v_add_co_u32 v92, vcc_lo, v91, s6
	v_add_co_ci_u32_e32 v93, vcc_lo, 0, v57, vcc_lo
	v_mov_b32_e32 v72, v71
	scratch_store_b32 off, v14, off offset:484 ; 4-byte Folded Spill
	v_mov_b32_e32 v14, v171
	global_load_b32 v115, v[92:93], off
	v_add_co_u32 v92, vcc_lo, v10, s6
	v_add_co_ci_u32_e32 v93, vcc_lo, 0, v11, vcc_lo
	v_mov_b32_e32 v175, v170
	v_cvt_f16_u16_e64 v128, v128
	v_mov_b32_e32 v15, v9
	global_load_b32 v116, v[92:93], off
	v_add_co_u32 v92, vcc_lo, v87, s6
	v_add_co_ci_u32_e32 v93, vcc_lo, 0, v88, vcc_lo
	v_mov_b32_e32 v9, v8
	v_mov_b32_e32 v171, v166
	s_clause 0x1
	scratch_store_b32 off, v159, off offset:432
	scratch_store_b32 off, v168, off offset:436
	global_load_b32 v117, v[92:93], off
	v_add_co_u32 v92, vcc_lo, v6, s6
	v_add_co_ci_u32_e32 v93, vcc_lo, 0, v7, vcc_lo
	v_mov_b32_e32 v7, v5
	v_mov_b32_e32 v5, v4
	s_clause 0x2
	scratch_store_b32 off, v167, off offset:444
	scratch_store_b32 off, v173, off offset:448
	;; [unrolled: 1-line block ×3, first 2 shown]
	global_load_b32 v118, v[92:93], off
	v_add_co_u32 v92, vcc_lo, v83, s6
	v_add_co_ci_u32_e32 v93, vcc_lo, 0, v84, vcc_lo
	s_clause 0x2
	scratch_store_b32 off, v162, off offset:440
	scratch_store_b32 off, v45, off offset:428
	;; [unrolled: 1-line block ×3, first 2 shown]
	global_load_b32 v119, v[92:93], off
	v_add_co_u32 v92, vcc_lo, v2, s6
	v_add_co_ci_u32_e32 v93, vcc_lo, 0, v3, vcc_lo
	v_dual_mov_b32 v2, v48 :: v_dual_mov_b32 v3, v55
	v_mov_b32_e32 v55, v54
	global_load_b32 v120, v[92:93], off
	v_add_co_u32 v92, vcc_lo, v80, s6
	v_add_co_ci_u32_e32 v93, vcc_lo, 0, v81, vcc_lo
	v_mov_b32_e32 v54, v46
	v_mov_b32_e32 v48, v47
	;; [unrolled: 1-line block ×3, first 2 shown]
	global_load_b32 v121, v[92:93], off
	v_add_co_u32 v92, vcc_lo, v0, s6
	v_add_co_ci_u32_e32 v93, vcc_lo, 0, v1, vcc_lo
	v_dual_mov_b32 v44, v43 :: v_dual_mov_b32 v1, v53
	v_mov_b32_e32 v47, v41
	global_load_b32 v122, v[92:93], off
	v_add_co_u32 v92, vcc_lo, v181, s6
	v_add_co_ci_u32_e32 v93, vcc_lo, 0, v79, vcc_lo
	v_mov_b32_e32 v181, v176
	v_mov_b32_e32 v53, v31
	;; [unrolled: 1-line block ×3, first 2 shown]
	global_load_b32 v123, v[92:93], off
	v_add_co_u32 v92, vcc_lo, v75, s6
	v_add_co_ci_u32_e32 v93, vcc_lo, 0, v76, vcc_lo
	v_mov_b32_e32 v41, v251
	v_dual_mov_b32 v0, v155 :: v_dual_mov_b32 v187, v182
	global_load_b32 v124, v[92:93], off
	v_add_co_u32 v92, vcc_lo, v77, s6
	v_add_co_ci_u32_e32 v93, vcc_lo, 0, v181, vcc_lo
	v_mov_b32_e32 v182, v152
	v_dual_mov_b32 v152, v151 :: v_dual_mov_b32 v85, v10
	global_load_b32 v92, v[92:93], off
	v_ashrrev_i32_e32 v93, v89, v97
	s_delay_alu instid0(VALU_DEP_1) | instskip(SKIP_1) | instid1(VALU_DEP_2)
	v_lshrrev_b32_e32 v97, 8, v93
	v_and_b32_e32 v125, 15, v93
	v_and_b32_e32 v97, 15, v97
	s_delay_alu instid0(VALU_DEP_2) | instskip(NEXT) | instid1(VALU_DEP_2)
	v_cvt_f16_u16_e32 v125, v125
	v_cvt_f16_u16_e32 v97, v97
	s_delay_alu instid0(VALU_DEP_1) | instskip(SKIP_2) | instid1(VALU_DEP_3)
	v_pack_b32_f16 v97, v125, v97
	v_lshrrev_b32_e32 v125, 16, v93
	v_bfe_u32 v93, v93, 24, 4
	v_pk_fma_f16 v97, v101, v97, v101 op_sel:[0,0,1] op_sel_hi:[0,1,1]
	s_delay_alu instid0(VALU_DEP_3) | instskip(NEXT) | instid1(VALU_DEP_3)
	v_and_b32_e32 v125, 15, v125
	v_cvt_f16_u16_e32 v93, v93
	s_delay_alu instid0(VALU_DEP_3) | instskip(NEXT) | instid1(VALU_DEP_3)
	v_pk_fma_f16 v97, v16, v97, v98 op_sel:[1,0,0]
	v_cvt_f16_u16_e32 v125, v125
	s_delay_alu instid0(VALU_DEP_1) | instskip(SKIP_1) | instid1(VALU_DEP_2)
	v_pack_b32_f16 v93, v125, v93
	v_lshrrev_b32_e32 v125, 8, v99
	v_pk_fma_f16 v93, v101, v93, v101 op_sel:[0,0,1] op_sel_hi:[0,1,1]
	s_delay_alu instid0(VALU_DEP_2) | instskip(NEXT) | instid1(VALU_DEP_2)
	v_and_b32_e32 v125, 15, v125
	v_pk_fma_f16 v93, v16, v93, v94 op_sel:[1,0,0]
	s_delay_alu instid0(VALU_DEP_2) | instskip(NEXT) | instid1(VALU_DEP_1)
	v_cvt_f16_u16_e32 v125, v125
	v_pack_b32_f16 v125, v126, v125
	v_lshrrev_b32_e32 v126, 16, v99
	v_bfe_u32 v99, v99, 24, 4
	s_delay_alu instid0(VALU_DEP_3) | instskip(NEXT) | instid1(VALU_DEP_3)
	v_pk_fma_f16 v101, v103, v125, v103 op_sel:[0,0,1] op_sel_hi:[0,1,1]
	v_and_b32_e32 v126, 15, v126
	s_delay_alu instid0(VALU_DEP_3) | instskip(NEXT) | instid1(VALU_DEP_3)
	v_cvt_f16_u16_e32 v99, v99
	v_pk_fma_f16 v94, v16, v101, v96 op_sel:[1,0,0]
	s_delay_alu instid0(VALU_DEP_3) | instskip(NEXT) | instid1(VALU_DEP_1)
	v_cvt_f16_u16_e32 v126, v126
	v_pack_b32_f16 v99, v126, v99
	v_lshrrev_b32_e32 v126, 8, v100
	s_delay_alu instid0(VALU_DEP_2) | instskip(NEXT) | instid1(VALU_DEP_2)
	v_pk_fma_f16 v99, v103, v99, v103 op_sel:[0,0,1] op_sel_hi:[0,1,1]
	v_and_b32_e32 v126, 15, v126
	s_delay_alu instid0(VALU_DEP_2) | instskip(NEXT) | instid1(VALU_DEP_2)
	v_pk_fma_f16 v16, v16, v99, v95 op_sel:[1,0,0]
	v_cvt_f16_u16_e32 v126, v126
	s_delay_alu instid0(VALU_DEP_1) | instskip(SKIP_2) | instid1(VALU_DEP_3)
	v_pack_b32_f16 v126, v127, v126
	v_lshrrev_b32_e32 v127, 16, v100
	v_bfe_u32 v100, v100, 24, 4
	v_pk_fma_f16 v103, v104, v126, v104 op_sel:[0,0,1] op_sel_hi:[0,1,1]
	s_delay_alu instid0(VALU_DEP_3) | instskip(NEXT) | instid1(VALU_DEP_3)
	v_and_b32_e32 v127, 15, v127
	v_cvt_f16_u16_e32 v100, v100
	s_delay_alu instid0(VALU_DEP_3) | instskip(NEXT) | instid1(VALU_DEP_3)
	v_pk_fma_f16 v97, v17, v103, v97 op_sel_hi:[0,1,1]
	v_cvt_f16_u16_e32 v127, v127
	s_delay_alu instid0(VALU_DEP_1) | instskip(SKIP_1) | instid1(VALU_DEP_2)
	v_pack_b32_f16 v100, v127, v100
	v_lshrrev_b32_e32 v127, 8, v102
	v_pk_fma_f16 v100, v104, v100, v104 op_sel:[0,0,1] op_sel_hi:[0,1,1]
	s_delay_alu instid0(VALU_DEP_2) | instskip(NEXT) | instid1(VALU_DEP_2)
	v_and_b32_e32 v127, 15, v127
	v_pk_fma_f16 v93, v17, v100, v93 op_sel_hi:[0,1,1]
	s_delay_alu instid0(VALU_DEP_2) | instskip(NEXT) | instid1(VALU_DEP_1)
	v_cvt_f16_u16_e32 v127, v127
	v_pack_b32_f16 v127, v128, v127
	v_lshrrev_b32_e32 v128, 16, v102
	v_bfe_u32 v102, v102, 24, 4
	s_delay_alu instid0(VALU_DEP_2) | instskip(NEXT) | instid1(VALU_DEP_2)
	v_and_b32_e32 v128, 15, v128
	v_cvt_f16_u16_e32 v102, v102
	s_delay_alu instid0(VALU_DEP_2) | instskip(NEXT) | instid1(VALU_DEP_1)
	v_cvt_f16_u16_e64 v128, v128
	v_pack_b32_f16 v102, v128, v102
	s_waitcnt vmcnt(20)
	v_pk_fma_f16 v104, v105, v127, v105 op_sel:[0,0,1] op_sel_hi:[0,1,1]
	s_delay_alu instid0(VALU_DEP_2) | instskip(NEXT) | instid1(VALU_DEP_2)
	v_pk_fma_f16 v102, v105, v102, v105 op_sel:[0,0,1] op_sel_hi:[0,1,1]
	v_pk_fma_f16 v94, v17, v104, v94 op_sel_hi:[0,1,1]
	s_delay_alu instid0(VALU_DEP_2) | instskip(SKIP_2) | instid1(VALU_DEP_1)
	v_pk_fma_f16 v16, v17, v102, v16 op_sel_hi:[0,1,1]
	s_waitcnt vmcnt(19)
	v_ashrrev_i32_e32 v106, v89, v106
	v_lshrrev_b32_e32 v128, 8, v106
	v_and_b32_e32 v129, 15, v106
	s_delay_alu instid0(VALU_DEP_2) | instskip(NEXT) | instid1(VALU_DEP_2)
	v_and_b32_e32 v128, 15, v128
	v_cvt_f16_u16_e64 v129, v129
	s_delay_alu instid0(VALU_DEP_2) | instskip(SKIP_2) | instid1(VALU_DEP_2)
	v_cvt_f16_u16_e64 v128, v128
	s_waitcnt vmcnt(17)
	v_ashrrev_i32_e32 v108, v89, v108
	v_pack_b32_f16 v128, v129, v128
	v_lshrrev_b32_e32 v129, 16, v106
	v_bfe_u32 v106, v106, 24, 4
	s_delay_alu instid0(VALU_DEP_4) | instskip(NEXT) | instid1(VALU_DEP_4)
	v_and_b32_e32 v130, 15, v108
	v_pk_fma_f16 v105, v107, v128, v107 op_sel:[0,0,1] op_sel_hi:[0,1,1]
	s_delay_alu instid0(VALU_DEP_4) | instskip(NEXT) | instid1(VALU_DEP_4)
	v_and_b32_e32 v129, 15, v129
	v_cvt_f16_u16_e32 v106, v106
	s_delay_alu instid0(VALU_DEP_4) | instskip(NEXT) | instid1(VALU_DEP_4)
	v_cvt_f16_u16_e64 v130, v130
	v_pk_fma_f16 v97, v17, v105, v97 op_sel:[1,0,0]
	s_delay_alu instid0(VALU_DEP_4) | instskip(SKIP_2) | instid1(VALU_DEP_2)
	v_cvt_f16_u16_e64 v129, v129
	s_waitcnt vmcnt(15)
	v_ashrrev_i32_e32 v110, v89, v110
	v_pack_b32_f16 v106, v129, v106
	v_lshrrev_b32_e32 v129, 8, v108
	s_delay_alu instid0(VALU_DEP_3) | instskip(NEXT) | instid1(VALU_DEP_3)
	v_and_b32_e32 v131, 15, v110
	v_pk_fma_f16 v106, v107, v106, v107 op_sel:[0,0,1] op_sel_hi:[0,1,1]
	s_delay_alu instid0(VALU_DEP_3) | instskip(NEXT) | instid1(VALU_DEP_3)
	v_and_b32_e32 v129, 15, v129
	v_cvt_f16_u16_e64 v131, v131
	s_delay_alu instid0(VALU_DEP_3) | instskip(NEXT) | instid1(VALU_DEP_3)
	v_pk_fma_f16 v93, v17, v106, v93 op_sel:[1,0,0]
	v_cvt_f16_u16_e64 v129, v129
	s_delay_alu instid0(VALU_DEP_1)
	v_pack_b32_f16 v129, v130, v129
	v_lshrrev_b32_e32 v130, 16, v108
	v_bfe_u32 v108, v108, 24, 4
	s_waitcnt vmcnt(13)
	v_ashrrev_i32_e32 v112, v89, v112
	v_pk_fma_f16 v107, v109, v129, v109 op_sel:[0,0,1] op_sel_hi:[0,1,1]
	v_and_b32_e32 v130, 15, v130
	v_cvt_f16_u16_e32 v108, v108
	s_delay_alu instid0(VALU_DEP_4) | instskip(NEXT) | instid1(VALU_DEP_4)
	v_and_b32_e32 v132, 15, v112
	v_pk_fma_f16 v94, v17, v107, v94 op_sel:[1,0,0]
	s_delay_alu instid0(VALU_DEP_4) | instskip(NEXT) | instid1(VALU_DEP_3)
	v_cvt_f16_u16_e64 v130, v130
	v_cvt_f16_u16_e64 v132, v132
	s_delay_alu instid0(VALU_DEP_2) | instskip(SKIP_1) | instid1(VALU_DEP_2)
	v_pack_b32_f16 v108, v130, v108
	v_lshrrev_b32_e32 v130, 8, v110
	v_pk_fma_f16 v108, v109, v108, v109 op_sel:[0,0,1] op_sel_hi:[0,1,1]
	s_delay_alu instid0(VALU_DEP_2) | instskip(NEXT) | instid1(VALU_DEP_2)
	v_and_b32_e32 v130, 15, v130
	v_pk_fma_f16 v16, v17, v108, v16 op_sel:[1,0,0]
	s_delay_alu instid0(VALU_DEP_2) | instskip(NEXT) | instid1(VALU_DEP_1)
	v_cvt_f16_u16_e64 v130, v130
	v_pack_b32_f16 v130, v131, v130
	v_lshrrev_b32_e32 v131, 16, v110
	v_bfe_u32 v110, v110, 24, 4
	s_delay_alu instid0(VALU_DEP_3) | instskip(NEXT) | instid1(VALU_DEP_3)
	v_pk_fma_f16 v95, v111, v130, v111 op_sel:[0,0,1] op_sel_hi:[0,1,1]
	v_and_b32_e32 v131, 15, v131
	s_delay_alu instid0(VALU_DEP_3) | instskip(NEXT) | instid1(VALU_DEP_3)
	v_cvt_f16_u16_e32 v110, v110
	v_pk_fma_f16 v17, v18, v95, v97 op_sel_hi:[0,1,1]
	s_delay_alu instid0(VALU_DEP_3) | instskip(SKIP_2) | instid1(VALU_DEP_2)
	v_cvt_f16_u16_e64 v131, v131
	s_waitcnt vmcnt(11)
	v_ashrrev_i32_e32 v95, v89, v114
	v_pack_b32_f16 v110, v131, v110
	s_delay_alu instid0(VALU_DEP_2) | instskip(SKIP_1) | instid1(VALU_DEP_3)
	v_and_b32_e32 v97, 15, v95
	v_lshrrev_b32_e32 v131, 8, v112
	v_pk_fma_f16 v96, v111, v110, v111 op_sel:[0,0,1] op_sel_hi:[0,1,1]
	s_delay_alu instid0(VALU_DEP_3) | instskip(NEXT) | instid1(VALU_DEP_3)
	v_cvt_f16_u16_e32 v97, v97
	v_and_b32_e32 v131, 15, v131
	s_delay_alu instid0(VALU_DEP_3) | instskip(SKIP_1) | instid1(VALU_DEP_3)
	v_pk_fma_f16 v93, v18, v96, v93 op_sel_hi:[0,1,1]
	v_lshrrev_b32_e32 v96, 8, v95
	v_cvt_f16_u16_e64 v131, v131
	s_delay_alu instid0(VALU_DEP_2) | instskip(NEXT) | instid1(VALU_DEP_2)
	v_and_b32_e32 v96, 15, v96
	v_pack_b32_f16 v131, v132, v131
	v_lshrrev_b32_e32 v132, 16, v112
	v_bfe_u32 v112, v112, 24, 4
	s_delay_alu instid0(VALU_DEP_4) | instskip(NEXT) | instid1(VALU_DEP_4)
	v_cvt_f16_u16_e32 v96, v96
	v_pk_fma_f16 v98, v113, v131, v113 op_sel:[0,0,1] op_sel_hi:[0,1,1]
	s_delay_alu instid0(VALU_DEP_4) | instskip(NEXT) | instid1(VALU_DEP_4)
	v_and_b32_e32 v132, 15, v132
	v_cvt_f16_u16_e32 v112, v112
	s_delay_alu instid0(VALU_DEP_4)
	v_pack_b32_f16 v96, v97, v96
	v_lshrrev_b32_e32 v97, 16, v95
	v_bfe_u32 v95, v95, 24, 4
	v_pk_fma_f16 v94, v18, v98, v94 op_sel_hi:[0,1,1]
	v_cvt_f16_u16_e64 v132, v132
	s_waitcnt vmcnt(10)
	v_pk_fma_f16 v96, v115, v96, v115 op_sel:[0,0,1] op_sel_hi:[0,1,1]
	v_and_b32_e32 v97, 15, v97
	v_cvt_f16_u16_e32 v95, v95
	v_pack_b32_f16 v112, v132, v112
	s_delay_alu instid0(VALU_DEP_4) | instskip(NEXT) | instid1(VALU_DEP_4)
	v_pk_fma_f16 v17, v18, v96, v17 op_sel:[1,0,0]
	v_cvt_f16_u16_e32 v97, v97
	s_waitcnt vmcnt(9)
	v_ashrrev_i32_e32 v96, v89, v116
	v_pk_fma_f16 v99, v113, v112, v113 op_sel:[0,0,1] op_sel_hi:[0,1,1]
	s_delay_alu instid0(VALU_DEP_3) | instskip(NEXT) | instid1(VALU_DEP_3)
	v_pack_b32_f16 v95, v97, v95
	v_lshrrev_b32_e32 v97, 8, v96
	v_and_b32_e32 v98, 15, v96
	s_delay_alu instid0(VALU_DEP_4) | instskip(NEXT) | instid1(VALU_DEP_4)
	v_pk_fma_f16 v16, v18, v99, v16 op_sel_hi:[0,1,1]
	v_pk_fma_f16 v95, v115, v95, v115 op_sel:[0,0,1] op_sel_hi:[0,1,1]
	s_delay_alu instid0(VALU_DEP_4) | instskip(NEXT) | instid1(VALU_DEP_4)
	v_and_b32_e32 v97, 15, v97
	v_cvt_f16_u16_e32 v98, v98
	s_delay_alu instid0(VALU_DEP_3) | instskip(NEXT) | instid1(VALU_DEP_3)
	v_pk_fma_f16 v93, v18, v95, v93 op_sel:[1,0,0]
	v_cvt_f16_u16_e32 v97, v97
	s_delay_alu instid0(VALU_DEP_1) | instskip(SKIP_3) | instid1(VALU_DEP_3)
	v_pack_b32_f16 v97, v98, v97
	v_lshrrev_b32_e32 v98, 16, v96
	v_bfe_u32 v96, v96, 24, 4
	s_waitcnt vmcnt(8)
	v_pk_fma_f16 v95, v117, v97, v117 op_sel:[0,0,1] op_sel_hi:[0,1,1]
	s_delay_alu instid0(VALU_DEP_3) | instskip(NEXT) | instid1(VALU_DEP_3)
	v_and_b32_e32 v98, 15, v98
	v_cvt_f16_u16_e32 v96, v96
	s_delay_alu instid0(VALU_DEP_3) | instskip(NEXT) | instid1(VALU_DEP_3)
	v_pk_fma_f16 v94, v18, v95, v94 op_sel:[1,0,0]
	v_cvt_f16_u16_e32 v98, v98
	s_delay_alu instid0(VALU_DEP_1) | instskip(SKIP_2) | instid1(VALU_DEP_2)
	v_pack_b32_f16 v96, v98, v96
	s_waitcnt vmcnt(7)
	v_ashrrev_i32_e32 v98, v89, v118
	v_pk_fma_f16 v96, v117, v96, v117 op_sel:[0,0,1] op_sel_hi:[0,1,1]
	s_delay_alu instid0(VALU_DEP_2) | instskip(SKIP_1) | instid1(VALU_DEP_3)
	v_lshrrev_b32_e32 v99, 8, v98
	v_and_b32_e32 v100, 15, v98
	v_pk_fma_f16 v16, v18, v96, v16 op_sel:[1,0,0]
	s_delay_alu instid0(VALU_DEP_3) | instskip(NEXT) | instid1(VALU_DEP_3)
	v_and_b32_e32 v99, 15, v99
	v_cvt_f16_u16_e32 v100, v100
	s_delay_alu instid0(VALU_DEP_2) | instskip(NEXT) | instid1(VALU_DEP_1)
	v_cvt_f16_u16_e32 v99, v99
	v_pack_b32_f16 v99, v100, v99
	v_lshrrev_b32_e32 v100, 16, v98
	v_bfe_u32 v98, v98, 24, 4
	s_waitcnt vmcnt(6)
	s_delay_alu instid0(VALU_DEP_3) | instskip(NEXT) | instid1(VALU_DEP_3)
	v_pk_fma_f16 v97, v119, v99, v119 op_sel:[0,0,1] op_sel_hi:[0,1,1]
	v_and_b32_e32 v100, 15, v100
	s_delay_alu instid0(VALU_DEP_3) | instskip(NEXT) | instid1(VALU_DEP_3)
	v_cvt_f16_u16_e32 v98, v98
	v_pk_fma_f16 v17, v19, v97, v17 op_sel_hi:[0,1,1]
	s_delay_alu instid0(VALU_DEP_3) | instskip(NEXT) | instid1(VALU_DEP_1)
	v_cvt_f16_u16_e32 v100, v100
	v_pack_b32_f16 v98, v100, v98
	s_delay_alu instid0(VALU_DEP_1) | instskip(NEXT) | instid1(VALU_DEP_1)
	v_pk_fma_f16 v98, v119, v98, v119 op_sel:[0,0,1] op_sel_hi:[0,1,1]
	v_pk_fma_f16 v18, v19, v98, v93 op_sel_hi:[0,1,1]
	s_waitcnt vmcnt(5)
	v_ashrrev_i32_e32 v93, v89, v120
	s_delay_alu instid0(VALU_DEP_1) | instskip(SKIP_1) | instid1(VALU_DEP_2)
	v_lshrrev_b32_e32 v95, 8, v93
	v_and_b32_e32 v96, 15, v93
	v_and_b32_e32 v95, 15, v95
	s_delay_alu instid0(VALU_DEP_2) | instskip(NEXT) | instid1(VALU_DEP_2)
	v_cvt_f16_u16_e32 v96, v96
	v_cvt_f16_u16_e32 v95, v95
	s_delay_alu instid0(VALU_DEP_1) | instskip(SKIP_3) | instid1(VALU_DEP_3)
	v_pack_b32_f16 v95, v96, v95
	v_lshrrev_b32_e32 v96, 16, v93
	v_bfe_u32 v93, v93, 24, 4
	s_waitcnt vmcnt(4)
	v_pk_fma_f16 v95, v121, v95, v121 op_sel:[0,0,1] op_sel_hi:[0,1,1]
	s_delay_alu instid0(VALU_DEP_3) | instskip(NEXT) | instid1(VALU_DEP_3)
	v_and_b32_e32 v96, 15, v96
	v_cvt_f16_u16_e32 v93, v93
	s_delay_alu instid0(VALU_DEP_3) | instskip(NEXT) | instid1(VALU_DEP_3)
	v_pk_fma_f16 v94, v19, v95, v94 op_sel_hi:[0,1,1]
	v_cvt_f16_u16_e32 v96, v96
	s_waitcnt vmcnt(3)
	v_ashrrev_i32_e32 v95, v89, v122
	s_delay_alu instid0(VALU_DEP_2) | instskip(NEXT) | instid1(VALU_DEP_2)
	v_pack_b32_f16 v93, v96, v93
	v_lshrrev_b32_e32 v96, 8, v95
	v_and_b32_e32 v97, 15, v95
	s_delay_alu instid0(VALU_DEP_3) | instskip(NEXT) | instid1(VALU_DEP_3)
	v_pk_fma_f16 v93, v121, v93, v121 op_sel:[0,0,1] op_sel_hi:[0,1,1]
	v_and_b32_e32 v96, 15, v96
	s_delay_alu instid0(VALU_DEP_3) | instskip(NEXT) | instid1(VALU_DEP_3)
	v_cvt_f16_u16_e32 v97, v97
	v_pk_fma_f16 v16, v19, v93, v16 op_sel_hi:[0,1,1]
	s_delay_alu instid0(VALU_DEP_3) | instskip(NEXT) | instid1(VALU_DEP_1)
	v_cvt_f16_u16_e32 v96, v96
	v_pack_b32_f16 v96, v97, v96
	v_lshrrev_b32_e32 v97, 16, v95
	v_bfe_u32 v95, v95, 24, 4
	s_waitcnt vmcnt(2)
	s_delay_alu instid0(VALU_DEP_3) | instskip(NEXT) | instid1(VALU_DEP_3)
	v_pk_fma_f16 v93, v123, v96, v123 op_sel:[0,0,1] op_sel_hi:[0,1,1]
	v_and_b32_e32 v97, 15, v97
	s_delay_alu instid0(VALU_DEP_3) | instskip(NEXT) | instid1(VALU_DEP_3)
	v_cvt_f16_u16_e32 v95, v95
	v_pk_fma_f16 v93, v19, v93, v17 op_sel:[1,0,0]
	s_delay_alu instid0(VALU_DEP_3) | instskip(NEXT) | instid1(VALU_DEP_1)
	v_cvt_f16_u16_e32 v97, v97
	v_pack_b32_f16 v95, v97, v95
	s_waitcnt vmcnt(1)
	v_ashrrev_i32_e32 v97, v89, v124
	s_delay_alu instid0(VALU_DEP_2) | instskip(NEXT) | instid1(VALU_DEP_2)
	v_pk_fma_f16 v95, v123, v95, v123 op_sel:[0,0,1] op_sel_hi:[0,1,1]
	v_lshrrev_b32_e32 v98, 8, v97
	v_and_b32_e32 v99, 15, v97
	s_delay_alu instid0(VALU_DEP_3) | instskip(NEXT) | instid1(VALU_DEP_3)
	v_pk_fma_f16 v18, v19, v95, v18 op_sel:[1,0,0]
	v_and_b32_e32 v98, 15, v98
	s_delay_alu instid0(VALU_DEP_3) | instskip(NEXT) | instid1(VALU_DEP_2)
	v_cvt_f16_u16_e32 v99, v99
	v_cvt_f16_u16_e32 v98, v98
	s_delay_alu instid0(VALU_DEP_1) | instskip(SKIP_3) | instid1(VALU_DEP_3)
	v_pack_b32_f16 v98, v99, v98
	v_lshrrev_b32_e32 v99, 16, v97
	v_bfe_u32 v97, v97, 24, 4
	s_waitcnt vmcnt(0)
	v_pk_fma_f16 v96, v92, v98, v92 op_sel:[0,0,1] op_sel_hi:[0,1,1]
	s_delay_alu instid0(VALU_DEP_3) | instskip(NEXT) | instid1(VALU_DEP_3)
	v_and_b32_e32 v99, 15, v99
	v_cvt_f16_u16_e32 v97, v97
	s_delay_alu instid0(VALU_DEP_3) | instskip(NEXT) | instid1(VALU_DEP_3)
	v_pk_fma_f16 v94, v19, v96, v94 op_sel:[1,0,0]
	v_cvt_f16_u16_e32 v99, v99
	s_delay_alu instid0(VALU_DEP_1) | instskip(NEXT) | instid1(VALU_DEP_1)
	v_pack_b32_f16 v97, v99, v97
	v_pk_fma_f16 v92, v92, v97, v92 op_sel:[0,0,1] op_sel_hi:[0,1,1]
	s_delay_alu instid0(VALU_DEP_1)
	v_pk_fma_f16 v19, v19, v92, v16 op_sel:[1,0,0]
	v_add_co_u32 v16, vcc_lo, v177, s6
	v_add_co_ci_u32_e32 v17, vcc_lo, 0, v72, vcc_lo
	v_mov_b32_e32 v177, v172
	global_load_b32 v92, v[16:17], off
	v_add_co_u32 v16, vcc_lo, v175, s6
	v_add_co_ci_u32_e32 v17, vcc_lo, 0, v74, vcc_lo
	global_load_b32 v95, v[16:17], off
	v_add_co_u32 v16, vcc_lo, v56, s6
	v_add_co_ci_u32_e32 v17, vcc_lo, 0, v14, vcc_lo
	global_load_b32 v96, v[16:17], off
	v_add_co_u32 v16, vcc_lo, v15, s6
	v_add_co_ci_u32_e32 v17, vcc_lo, 0, v177, vcc_lo
	global_load_b32 v97, v[16:17], off
	v_add_co_u32 v16, vcc_lo, v167, s6
	v_add_co_ci_u32_e32 v17, vcc_lo, 0, v173, vcc_lo
	v_mov_b32_e32 v167, v163
	v_mov_b32_e32 v173, v169
	global_load_b32 v98, v[16:17], off
	v_add_co_u32 v16, vcc_lo, v162, s6
	v_add_co_ci_u32_e32 v17, vcc_lo, 0, v9, vcc_lo
	v_mov_b32_e32 v162, v160
	global_load_b32 v99, v[16:17], off
	v_add_co_u32 v16, vcc_lo, v171, s6
	v_add_co_ci_u32_e32 v17, vcc_lo, 0, v13, vcc_lo
	global_load_b32 v100, v[16:17], off
	v_add_co_u32 v16, vcc_lo, v167, s6
	v_add_co_ci_u32_e32 v17, vcc_lo, 0, v173, vcc_lo
	;; [unrolled: 3-line block ×3, first 2 shown]
	v_dual_mov_b32 v159, v157 :: v_dual_mov_b32 v168, v164
	global_load_b32 v102, v[16:17], off
	v_add_co_u32 v16, vcc_lo, v3, s6
	v_add_co_ci_u32_e32 v17, vcc_lo, 0, v159, vcc_lo
	global_load_b32 v103, v[16:17], off
	s_waitcnt vmcnt(9)
	v_ashrrev_i32_e32 v16, v89, v92
	s_delay_alu instid0(VALU_DEP_1) | instskip(SKIP_1) | instid1(VALU_DEP_2)
	v_lshrrev_b32_e32 v17, 8, v16
	v_and_b32_e32 v92, 15, v16
	v_and_b32_e32 v17, 15, v17
	s_delay_alu instid0(VALU_DEP_2) | instskip(NEXT) | instid1(VALU_DEP_2)
	v_cvt_f16_u16_e32 v92, v92
	v_cvt_f16_u16_e32 v17, v17
	s_waitcnt vmcnt(7)
	v_ashrrev_i32_e32 v96, v89, v96
	s_delay_alu instid0(VALU_DEP_2) | instskip(SKIP_2) | instid1(VALU_DEP_3)
	v_pack_b32_f16 v17, v92, v17
	v_lshrrev_b32_e32 v92, 16, v16
	v_bfe_u32 v16, v16, 24, 4
	v_pk_fma_f16 v17, v95, v17, v95 op_sel:[0,0,1] op_sel_hi:[0,1,1]
	s_delay_alu instid0(VALU_DEP_3) | instskip(NEXT) | instid1(VALU_DEP_3)
	v_and_b32_e32 v92, 15, v92
	v_cvt_f16_u16_e32 v16, v16
	s_delay_alu instid0(VALU_DEP_2) | instskip(NEXT) | instid1(VALU_DEP_1)
	v_cvt_f16_u16_e32 v92, v92
	v_pack_b32_f16 v16, v92, v16
	s_waitcnt lgkmcnt(0)
	v_pk_fma_f16 v92, v20, v17, v93 op_sel_hi:[0,1,1]
	s_waitcnt vmcnt(4)
	v_ashrrev_i32_e32 v99, v89, v99
	v_pk_fma_f16 v16, v95, v16, v95 op_sel:[0,0,1] op_sel_hi:[0,1,1]
	s_delay_alu instid0(VALU_DEP_1)
	v_pk_fma_f16 v18, v20, v16, v18 op_sel_hi:[0,1,1]
	v_add_co_u32 v16, vcc_lo, v7, s6
	v_add_co_ci_u32_e32 v17, vcc_lo, 0, v162, vcc_lo
	global_load_b32 v93, v[16:17], off
	v_add_co_u32 v16, vcc_lo, v5, s6
	v_add_co_ci_u32_e32 v17, vcc_lo, 0, v168, vcc_lo
	global_load_b32 v95, v[16:17], off
	;; [unrolled: 3-line block ×3, first 2 shown]
	v_lshrrev_b32_e32 v16, 8, v96
	v_and_b32_e32 v17, 15, v96
	s_delay_alu instid0(VALU_DEP_2) | instskip(NEXT) | instid1(VALU_DEP_2)
	v_and_b32_e32 v16, 15, v16
	v_cvt_f16_u16_e32 v17, v17
	s_delay_alu instid0(VALU_DEP_2) | instskip(NEXT) | instid1(VALU_DEP_1)
	v_cvt_f16_u16_e32 v16, v16
	v_pack_b32_f16 v105, v17, v16
	v_add_co_u32 v16, vcc_lo, v1, s6
	v_add_co_ci_u32_e32 v17, vcc_lo, 0, v52, vcc_lo
	global_load_b32 v106, v[16:17], off
	v_lshrrev_b32_e32 v16, 16, v96
	v_bfe_u32 v17, v96, 24, 4
	s_delay_alu instid0(VALU_DEP_2) | instskip(NEXT) | instid1(VALU_DEP_2)
	v_and_b32_e32 v16, 15, v16
	v_cvt_f16_u16_e32 v17, v17
	s_delay_alu instid0(VALU_DEP_2) | instskip(NEXT) | instid1(VALU_DEP_1)
	v_cvt_f16_u16_e32 v16, v16
	v_pack_b32_f16 v16, v16, v17
	v_pk_fma_f16 v17, v97, v105, v97 op_sel:[0,0,1] op_sel_hi:[0,1,1]
	s_delay_alu instid0(VALU_DEP_2) | instskip(SKIP_1) | instid1(VALU_DEP_3)
	v_pk_fma_f16 v96, v97, v16, v97 op_sel:[0,0,1] op_sel_hi:[0,1,1]
	v_add_co_u32 v16, vcc_lo, v50, s6
	v_pk_fma_f16 v94, v20, v17, v94 op_sel_hi:[0,1,1]
	v_add_co_ci_u32_e32 v17, vcc_lo, 0, v51, vcc_lo
	v_mov_b32_e32 v50, v36
	global_load_b32 v97, v[16:17], off
	v_ashrrev_i32_e32 v16, v89, v98
	s_delay_alu instid0(VALU_DEP_1) | instskip(SKIP_1) | instid1(VALU_DEP_2)
	v_lshrrev_b32_e32 v17, 8, v16
	v_and_b32_e32 v98, 15, v16
	v_and_b32_e32 v17, 15, v17
	s_delay_alu instid0(VALU_DEP_2) | instskip(NEXT) | instid1(VALU_DEP_2)
	v_cvt_f16_u16_e32 v98, v98
	v_cvt_f16_u16_e32 v17, v17
	s_delay_alu instid0(VALU_DEP_1) | instskip(SKIP_2) | instid1(VALU_DEP_2)
	v_pack_b32_f16 v98, v98, v17
	v_lshrrev_b32_e32 v17, 16, v16
	v_bfe_u32 v16, v16, 24, 4
	v_and_b32_e32 v17, 15, v17
	s_delay_alu instid0(VALU_DEP_2) | instskip(NEXT) | instid1(VALU_DEP_2)
	v_cvt_f16_u16_e32 v16, v16
	v_cvt_f16_u16_e32 v17, v17
	s_delay_alu instid0(VALU_DEP_1) | instskip(SKIP_2) | instid1(VALU_DEP_2)
	v_pack_b32_f16 v105, v17, v16
	v_lshrrev_b32_e32 v16, 8, v99
	v_and_b32_e32 v17, 15, v99
	v_and_b32_e32 v16, 15, v16
	s_delay_alu instid0(VALU_DEP_2) | instskip(NEXT) | instid1(VALU_DEP_2)
	v_cvt_f16_u16_e32 v17, v17
	v_cvt_f16_u16_e32 v16, v16
	s_delay_alu instid0(VALU_DEP_1)
	v_pack_b32_f16 v107, v17, v16
	v_add_co_u32 v16, vcc_lo, v31, s6
	v_mov_b32_e32 v31, v29
	v_add_co_ci_u32_e32 v17, vcc_lo, 0, v54, vcc_lo
	global_load_b32 v108, v[16:17], off
	v_add_co_u32 v16, vcc_lo, v45, s6
	v_add_co_ci_u32_e32 v17, vcc_lo, 0, v48, vcc_lo
	v_dual_mov_b32 v45, v42 :: v_dual_mov_b32 v42, v40
	v_mov_b32_e32 v40, v39
	global_load_b32 v109, v[16:17], off
	v_lshrrev_b32_e32 v16, 16, v99
	v_bfe_u32 v17, v99, 24, 4
	s_delay_alu instid0(VALU_DEP_2) | instskip(NEXT) | instid1(VALU_DEP_2)
	v_and_b32_e32 v16, 15, v16
	v_cvt_f16_u16_e32 v17, v17
	s_delay_alu instid0(VALU_DEP_2) | instskip(NEXT) | instid1(VALU_DEP_1)
	v_cvt_f16_u16_e32 v16, v16
	v_pack_b32_f16 v16, v16, v17
	v_pk_fma_f16 v17, v20, v96, v19 op_sel_hi:[0,1,1]
	s_waitcnt vmcnt(10)
	v_pk_fma_f16 v19, v100, v98, v100 op_sel:[0,0,1] op_sel_hi:[0,1,1]
	s_waitcnt vmcnt(9)
	v_pk_fma_f16 v98, v101, v107, v101 op_sel:[0,0,1] op_sel_hi:[0,1,1]
	v_pk_fma_f16 v96, v100, v105, v100 op_sel:[0,0,1] op_sel_hi:[0,1,1]
	;; [unrolled: 1-line block ×3, first 2 shown]
	v_pk_fma_f16 v19, v20, v19, v92 op_sel:[1,0,0]
	s_delay_alu instid0(VALU_DEP_4)
	v_pk_fma_f16 v92, v20, v98, v94 op_sel:[1,0,0]
	s_waitcnt vmcnt(8)
	v_ashrrev_i32_e32 v94, v89, v102
	v_pk_fma_f16 v18, v20, v96, v18 op_sel:[1,0,0]
	v_pk_fma_f16 v20, v20, v16, v17 op_sel:[1,0,0]
	s_waitcnt vmcnt(7)
	v_ashrrev_i32_e32 v102, v89, v103
	v_lshrrev_b32_e32 v16, 8, v94
	v_and_b32_e32 v17, 15, v94
	s_delay_alu instid0(VALU_DEP_2) | instskip(NEXT) | instid1(VALU_DEP_2)
	v_and_b32_e32 v16, 15, v16
	v_cvt_f16_u16_e32 v17, v17
	s_delay_alu instid0(VALU_DEP_2) | instskip(NEXT) | instid1(VALU_DEP_1)
	v_cvt_f16_u16_e32 v16, v16
	v_pack_b32_f16 v96, v17, v16
	v_add_co_u32 v16, vcc_lo, v45, s6
	v_add_co_ci_u32_e32 v17, vcc_lo, 0, v46, vcc_lo
	global_load_b32 v98, v[16:17], off
	v_lshrrev_b32_e32 v16, 16, v94
	v_bfe_u32 v17, v94, 24, 4
	s_delay_alu instid0(VALU_DEP_2) | instskip(NEXT) | instid1(VALU_DEP_2)
	v_and_b32_e32 v16, 15, v16
	v_cvt_f16_u16_e32 v17, v17
	s_delay_alu instid0(VALU_DEP_2) | instskip(NEXT) | instid1(VALU_DEP_1)
	v_cvt_f16_u16_e32 v16, v16
	v_pack_b32_f16 v94, v16, v17
	v_add_co_u32 v16, vcc_lo, v38, s6
	v_add_co_ci_u32_e32 v17, vcc_lo, 0, v49, vcc_lo
	global_load_b32 v99, v[16:17], off
	v_add_co_u32 v16, vcc_lo, v47, s6
	v_add_co_ci_u32_e32 v17, vcc_lo, 0, v25, vcc_lo
	v_mov_b32_e32 v25, v65
	v_mov_b32_e32 v65, v67
	;; [unrolled: 1-line block ×3, first 2 shown]
	global_load_b32 v100, v[16:17], off
	v_add_co_u32 v16, vcc_lo, v251, s6
	v_add_co_ci_u32_e32 v17, vcc_lo, 0, v42, vcc_lo
	v_mov_b32_e32 v251, v213
	v_mov_b32_e32 v59, v254
	;; [unrolled: 1-line block ×3, first 2 shown]
	global_load_b32 v101, v[16:17], off
	v_lshrrev_b32_e32 v16, 8, v102
	v_dual_mov_b32 v250, v246 :: v_dual_and_b32 v17, 15, v102
	v_mov_b32_e32 v246, v242
	v_mov_b32_e32 v242, v241
	s_delay_alu instid0(VALU_DEP_4) | instskip(NEXT) | instid1(VALU_DEP_4)
	v_and_b32_e32 v16, 15, v16
	v_cvt_f16_u16_e32 v17, v17
	v_mov_b32_e32 v241, v158
	s_delay_alu instid0(VALU_DEP_3) | instskip(NEXT) | instid1(VALU_DEP_1)
	v_cvt_f16_u16_e32 v16, v16
	v_pack_b32_f16 v103, v17, v16
	v_add_co_u32 v16, vcc_lo, v24, s6
	v_add_co_ci_u32_e32 v17, vcc_lo, 0, v44, vcc_lo
	global_load_b32 v105, v[16:17], off
	v_add_co_u32 v16, vcc_lo, v36, s6
	v_add_co_ci_u32_e32 v17, vcc_lo, 0, v37, vcc_lo
	v_mov_b32_e32 v36, v243
	global_load_b32 v107, v[16:17], off
	v_lshrrev_b32_e32 v16, 16, v102
	v_bfe_u32 v17, v102, 24, 4
	s_delay_alu instid0(VALU_DEP_2) | instskip(NEXT) | instid1(VALU_DEP_2)
	v_and_b32_e32 v16, 15, v16
	v_cvt_f16_u16_e32 v17, v17
	s_delay_alu instid0(VALU_DEP_2) | instskip(NEXT) | instid1(VALU_DEP_1)
	v_cvt_f16_u16_e32 v16, v16
	v_pack_b32_f16 v16, v16, v17
	s_waitcnt vmcnt(12)
	v_pk_fma_f16 v17, v93, v96, v93 op_sel:[0,0,1] op_sel_hi:[0,1,1]
	v_pk_fma_f16 v93, v93, v94, v93 op_sel:[0,0,1] op_sel_hi:[0,1,1]
	s_delay_alu instid0(VALU_DEP_2) | instskip(NEXT) | instid1(VALU_DEP_2)
	v_pk_fma_f16 v19, v21, v17, v19 op_sel_hi:[0,1,1]
	v_pk_fma_f16 v18, v21, v93, v18 op_sel_hi:[0,1,1]
	s_waitcnt vmcnt(11)
	v_pk_fma_f16 v94, v95, v103, v95 op_sel:[0,0,1] op_sel_hi:[0,1,1]
	v_pk_fma_f16 v95, v95, v16, v95 op_sel:[0,0,1] op_sel_hi:[0,1,1]
	v_add_co_u32 v16, vcc_lo, v32, s6
	v_add_co_ci_u32_e32 v17, vcc_lo, 0, v33, vcc_lo
	s_delay_alu instid0(VALU_DEP_4) | instskip(NEXT) | instid1(VALU_DEP_4)
	v_pk_fma_f16 v92, v21, v94, v92 op_sel_hi:[0,1,1]
	v_pk_fma_f16 v20, v21, v95, v20 op_sel_hi:[0,1,1]
	global_load_b32 v96, v[16:17], off
	s_waitcnt vmcnt(11)
	v_ashrrev_i32_e32 v16, v89, v104
	s_delay_alu instid0(VALU_DEP_1) | instskip(SKIP_1) | instid1(VALU_DEP_2)
	v_lshrrev_b32_e32 v17, 8, v16
	v_and_b32_e32 v102, 15, v16
	v_and_b32_e32 v17, 15, v17
	s_delay_alu instid0(VALU_DEP_2) | instskip(NEXT) | instid1(VALU_DEP_2)
	v_cvt_f16_u16_e32 v102, v102
	v_cvt_f16_u16_e32 v17, v17
	s_delay_alu instid0(VALU_DEP_1) | instskip(SKIP_3) | instid1(VALU_DEP_3)
	v_pack_b32_f16 v17, v102, v17
	v_lshrrev_b32_e32 v102, 16, v16
	v_bfe_u32 v16, v16, 24, 4
	s_waitcnt vmcnt(10)
	v_pk_fma_f16 v93, v106, v17, v106 op_sel:[0,0,1] op_sel_hi:[0,1,1]
	s_delay_alu instid0(VALU_DEP_3) | instskip(NEXT) | instid1(VALU_DEP_3)
	v_and_b32_e32 v102, 15, v102
	v_cvt_f16_u16_e32 v16, v16
	s_delay_alu instid0(VALU_DEP_3) | instskip(NEXT) | instid1(VALU_DEP_3)
	v_pk_fma_f16 v19, v21, v93, v19 op_sel:[1,0,0]
	v_cvt_f16_u16_e32 v102, v102
	s_delay_alu instid0(VALU_DEP_1) | instskip(NEXT) | instid1(VALU_DEP_1)
	v_pack_b32_f16 v16, v102, v16
	v_pk_fma_f16 v94, v106, v16, v106 op_sel:[0,0,1] op_sel_hi:[0,1,1]
	v_add_co_u32 v16, vcc_lo, v252, s6
	v_add_co_ci_u32_e32 v17, vcc_lo, 0, v39, vcc_lo
	s_delay_alu instid0(VALU_DEP_3)
	v_pk_fma_f16 v18, v21, v94, v18 op_sel:[1,0,0]
	v_dual_mov_b32 v39, v252 :: v_dual_mov_b32 v252, v219
	global_load_b32 v95, v[16:17], off
	v_add_co_u32 v16, vcc_lo, v34, s6
	v_add_co_ci_u32_e32 v17, vcc_lo, 0, v35, vcc_lo
	s_waitcnt vmcnt(10)
	v_ashrrev_i32_e32 v93, v89, v97
	global_load_b32 v102, v[16:17], off
	v_add_co_u32 v16, vcc_lo, v28, s6
	v_add_co_ci_u32_e32 v17, vcc_lo, 0, v29, vcc_lo
	v_mov_b32_e32 v29, v61
	global_load_b32 v103, v[16:17], off
	v_lshrrev_b32_e32 v16, 8, v93
	v_and_b32_e32 v17, 15, v93
	s_delay_alu instid0(VALU_DEP_2) | instskip(NEXT) | instid1(VALU_DEP_2)
	v_and_b32_e32 v16, 15, v16
	v_cvt_f16_u16_e32 v17, v17
	s_delay_alu instid0(VALU_DEP_2) | instskip(NEXT) | instid1(VALU_DEP_1)
	v_cvt_f16_u16_e32 v16, v16
	v_pack_b32_f16 v94, v17, v16
	v_add_co_u32 v16, vcc_lo, v30, s6
	v_add_co_ci_u32_e32 v17, vcc_lo, 0, v243, vcc_lo
	v_dual_mov_b32 v243, v222 :: v_dual_mov_b32 v222, v200
	v_mov_b32_e32 v200, v194
	global_load_b32 v97, v[16:17], off
	v_add_co_u32 v16, vcc_lo, v25, s6
	v_add_co_ci_u32_e32 v17, vcc_lo, 0, v70, vcc_lo
	v_mov_b32_e32 v194, v190
	global_load_b32 v104, v[16:17], off
	v_lshrrev_b32_e32 v16, 16, v93
	v_bfe_u32 v17, v93, 24, 4
	s_delay_alu instid0(VALU_DEP_2) | instskip(NEXT) | instid1(VALU_DEP_2)
	v_and_b32_e32 v16, 15, v16
	v_cvt_f16_u16_e32 v17, v17
	s_delay_alu instid0(VALU_DEP_2) | instskip(NEXT) | instid1(VALU_DEP_1)
	v_cvt_f16_u16_e32 v16, v16
	v_pack_b32_f16 v16, v16, v17
	s_waitcnt vmcnt(13)
	v_pk_fma_f16 v17, v108, v94, v108 op_sel:[0,0,1] op_sel_hi:[0,1,1]
	s_delay_alu instid0(VALU_DEP_2) | instskip(SKIP_1) | instid1(VALU_DEP_3)
	v_pk_fma_f16 v93, v108, v16, v108 op_sel:[0,0,1] op_sel_hi:[0,1,1]
	v_add_co_u32 v16, vcc_lo, v65, s6
	v_pk_fma_f16 v92, v21, v17, v92 op_sel:[1,0,0]
	v_add_co_ci_u32_e32 v17, vcc_lo, 0, v63, vcc_lo
	s_waitcnt vmcnt(12)
	v_ashrrev_i32_e32 v106, v89, v109
	v_pk_fma_f16 v20, v21, v93, v20 op_sel:[1,0,0]
	global_load_b32 v94, v[16:17], off
	v_lshrrev_b32_e32 v16, 8, v106
	v_and_b32_e32 v17, 15, v106
	s_delay_alu instid0(VALU_DEP_2) | instskip(NEXT) | instid1(VALU_DEP_2)
	v_and_b32_e32 v16, 15, v16
	v_cvt_f16_u16_e32 v17, v17
	s_delay_alu instid0(VALU_DEP_2) | instskip(NEXT) | instid1(VALU_DEP_1)
	v_cvt_f16_u16_e32 v16, v16
	v_pack_b32_f16 v108, v17, v16
	v_add_co_u32 v16, vcc_lo, v26, s6
	v_add_co_ci_u32_e32 v17, vcc_lo, 0, v27, vcc_lo
	global_load_b32 v109, v[16:17], off
	v_add_co_u32 v16, vcc_lo, v61, s6
	v_add_co_ci_u32_e32 v17, vcc_lo, 0, v68, vcc_lo
	v_mov_b32_e32 v61, v218
	global_load_b32 v16, v[16:17], off
	v_lshrrev_b32_e32 v17, 16, v106
	v_bfe_u32 v106, v106, 24, 4
	s_delay_alu instid0(VALU_DEP_2) | instskip(NEXT) | instid1(VALU_DEP_2)
	v_and_b32_e32 v17, 15, v17
	v_cvt_f16_u16_e32 v106, v106
	s_delay_alu instid0(VALU_DEP_2) | instskip(SKIP_2) | instid1(VALU_DEP_2)
	v_cvt_f16_u16_e32 v17, v17
	s_waitcnt vmcnt(14)
	v_ashrrev_i32_e32 v98, v89, v98
	v_pack_b32_f16 v17, v17, v106
	s_delay_alu instid0(VALU_DEP_2) | instskip(SKIP_1) | instid1(VALU_DEP_2)
	v_lshrrev_b32_e32 v106, 8, v98
	v_and_b32_e32 v110, 15, v98
	v_and_b32_e32 v106, 15, v106
	s_delay_alu instid0(VALU_DEP_2) | instskip(NEXT) | instid1(VALU_DEP_2)
	v_cvt_f16_u16_e32 v110, v110
	v_cvt_f16_u16_e32 v106, v106
	s_delay_alu instid0(VALU_DEP_1)
	v_pack_b32_f16 v106, v110, v106
	v_lshrrev_b32_e32 v110, 16, v98
	v_bfe_u32 v98, v98, 24, 4
	s_waitcnt vmcnt(13)
	v_pk_fma_f16 v21, v99, v108, v99 op_sel:[0,0,1] op_sel_hi:[0,1,1]
	v_pk_fma_f16 v17, v99, v17, v99 op_sel:[0,0,1] op_sel_hi:[0,1,1]
	v_and_b32_e32 v110, 15, v110
	v_cvt_f16_u16_e32 v98, v98
	s_delay_alu instid0(VALU_DEP_4) | instskip(NEXT) | instid1(VALU_DEP_4)
	v_pk_fma_f16 v19, v22, v21, v19 op_sel_hi:[0,1,1]
	v_pk_fma_f16 v17, v22, v17, v18 op_sel_hi:[0,1,1]
	s_delay_alu instid0(VALU_DEP_4) | instskip(SKIP_2) | instid1(VALU_DEP_2)
	v_cvt_f16_u16_e32 v110, v110
	s_waitcnt vmcnt(12)
	v_pk_fma_f16 v93, v100, v106, v100 op_sel:[0,0,1] op_sel_hi:[0,1,1]
	v_pack_b32_f16 v98, v110, v98
	s_delay_alu instid0(VALU_DEP_2) | instskip(SKIP_2) | instid1(VALU_DEP_3)
	v_pk_fma_f16 v18, v22, v93, v92 op_sel_hi:[0,1,1]
	s_waitcnt vmcnt(11)
	v_ashrrev_i32_e32 v21, v89, v101
	v_pk_fma_f16 v98, v100, v98, v100 op_sel:[0,0,1] op_sel_hi:[0,1,1]
	s_delay_alu instid0(VALU_DEP_2) | instskip(SKIP_1) | instid1(VALU_DEP_3)
	v_lshrrev_b32_e32 v92, 8, v21
	v_and_b32_e32 v93, 15, v21
	v_pk_fma_f16 v20, v22, v98, v20 op_sel_hi:[0,1,1]
	s_delay_alu instid0(VALU_DEP_3) | instskip(NEXT) | instid1(VALU_DEP_3)
	v_and_b32_e32 v92, 15, v92
	v_cvt_f16_u16_e32 v93, v93
	s_delay_alu instid0(VALU_DEP_2) | instskip(NEXT) | instid1(VALU_DEP_1)
	v_cvt_f16_u16_e32 v92, v92
	v_pack_b32_f16 v92, v93, v92
	v_lshrrev_b32_e32 v93, 16, v21
	v_bfe_u32 v21, v21, 24, 4
	s_waitcnt vmcnt(10)
	s_delay_alu instid0(VALU_DEP_3) | instskip(NEXT) | instid1(VALU_DEP_3)
	v_pk_fma_f16 v92, v105, v92, v105 op_sel:[0,0,1] op_sel_hi:[0,1,1]
	v_and_b32_e32 v93, 15, v93
	s_delay_alu instid0(VALU_DEP_3) | instskip(NEXT) | instid1(VALU_DEP_3)
	v_cvt_f16_u16_e32 v21, v21
	v_pk_fma_f16 v19, v22, v92, v19 op_sel:[1,0,0]
	s_delay_alu instid0(VALU_DEP_3) | instskip(SKIP_2) | instid1(VALU_DEP_2)
	v_cvt_f16_u16_e32 v93, v93
	s_waitcnt vmcnt(9)
	v_ashrrev_i32_e32 v92, v89, v107
	v_pack_b32_f16 v21, v93, v21
	s_delay_alu instid0(VALU_DEP_2) | instskip(SKIP_1) | instid1(VALU_DEP_3)
	v_lshrrev_b32_e32 v93, 8, v92
	v_and_b32_e32 v98, 15, v92
	v_pk_fma_f16 v21, v105, v21, v105 op_sel:[0,0,1] op_sel_hi:[0,1,1]
	s_delay_alu instid0(VALU_DEP_3) | instskip(NEXT) | instid1(VALU_DEP_3)
	v_and_b32_e32 v93, 15, v93
	v_cvt_f16_u16_e32 v98, v98
	s_delay_alu instid0(VALU_DEP_3) | instskip(NEXT) | instid1(VALU_DEP_3)
	v_pk_fma_f16 v17, v22, v21, v17 op_sel:[1,0,0]
	v_cvt_f16_u16_e32 v93, v93
	s_delay_alu instid0(VALU_DEP_1) | instskip(SKIP_2) | instid1(VALU_DEP_2)
	v_pack_b32_f16 v93, v98, v93
	v_lshrrev_b32_e32 v98, 16, v92
	v_bfe_u32 v92, v92, 24, 4
	v_and_b32_e32 v98, 15, v98
	s_delay_alu instid0(VALU_DEP_2) | instskip(NEXT) | instid1(VALU_DEP_2)
	v_cvt_f16_u16_e32 v92, v92
	v_cvt_f16_u16_e32 v98, v98
	s_delay_alu instid0(VALU_DEP_1) | instskip(SKIP_2) | instid1(VALU_DEP_1)
	v_pack_b32_f16 v92, v98, v92
	s_waitcnt vmcnt(8)
	v_ashrrev_i32_e32 v96, v89, v96
	v_lshrrev_b32_e32 v98, 8, v96
	v_and_b32_e32 v99, 15, v96
	s_delay_alu instid0(VALU_DEP_2) | instskip(NEXT) | instid1(VALU_DEP_2)
	v_and_b32_e32 v98, 15, v98
	v_cvt_f16_u16_e32 v99, v99
	s_delay_alu instid0(VALU_DEP_2) | instskip(NEXT) | instid1(VALU_DEP_1)
	v_cvt_f16_u16_e32 v98, v98
	v_pack_b32_f16 v98, v99, v98
	v_lshrrev_b32_e32 v99, 16, v96
	v_bfe_u32 v96, v96, 24, 4
	s_delay_alu instid0(VALU_DEP_2) | instskip(NEXT) | instid1(VALU_DEP_2)
	v_and_b32_e32 v99, 15, v99
	v_cvt_f16_u16_e32 v96, v96
	s_delay_alu instid0(VALU_DEP_2) | instskip(NEXT) | instid1(VALU_DEP_1)
	v_cvt_f16_u16_e32 v99, v99
	v_pack_b32_f16 v96, v99, v96
	s_waitcnt vmcnt(7)
	v_pk_fma_f16 v21, v95, v93, v95 op_sel:[0,0,1] op_sel_hi:[0,1,1]
	v_pk_fma_f16 v92, v95, v92, v95 op_sel:[0,0,1] op_sel_hi:[0,1,1]
	s_delay_alu instid0(VALU_DEP_2) | instskip(NEXT) | instid1(VALU_DEP_2)
	v_pk_fma_f16 v18, v22, v21, v18 op_sel:[1,0,0]
	v_pk_fma_f16 v20, v22, v92, v20 op_sel:[1,0,0]
	s_waitcnt vmcnt(6)
	v_pk_fma_f16 v93, v102, v98, v102 op_sel:[0,0,1] op_sel_hi:[0,1,1]
	v_pk_fma_f16 v95, v102, v96, v102 op_sel:[0,0,1] op_sel_hi:[0,1,1]
	s_delay_alu instid0(VALU_DEP_2) | instskip(NEXT) | instid1(VALU_DEP_2)
	v_pk_fma_f16 v19, v23, v93, v19 op_sel_hi:[0,1,1]
	v_pk_fma_f16 v17, v23, v95, v17 op_sel_hi:[0,1,1]
	s_waitcnt vmcnt(5)
	v_ashrrev_i32_e32 v21, v89, v103
	s_delay_alu instid0(VALU_DEP_1) | instskip(SKIP_1) | instid1(VALU_DEP_2)
	v_lshrrev_b32_e32 v22, 8, v21
	v_and_b32_e32 v92, 15, v21
	v_and_b32_e32 v22, 15, v22
	s_delay_alu instid0(VALU_DEP_2) | instskip(NEXT) | instid1(VALU_DEP_2)
	v_cvt_f16_u16_e32 v92, v92
	v_cvt_f16_u16_e32 v22, v22
	s_delay_alu instid0(VALU_DEP_1) | instskip(SKIP_3) | instid1(VALU_DEP_3)
	v_pack_b32_f16 v22, v92, v22
	v_lshrrev_b32_e32 v92, 16, v21
	v_bfe_u32 v21, v21, 24, 4
	s_waitcnt vmcnt(4)
	v_pk_fma_f16 v22, v97, v22, v97 op_sel:[0,0,1] op_sel_hi:[0,1,1]
	s_delay_alu instid0(VALU_DEP_3) | instskip(NEXT) | instid1(VALU_DEP_3)
	v_and_b32_e32 v92, 15, v92
	v_cvt_f16_u16_e32 v21, v21
	s_delay_alu instid0(VALU_DEP_3) | instskip(NEXT) | instid1(VALU_DEP_3)
	v_pk_fma_f16 v18, v23, v22, v18 op_sel_hi:[0,1,1]
	v_cvt_f16_u16_e32 v92, v92
	s_waitcnt vmcnt(3)
	v_ashrrev_i32_e32 v22, v89, v104
	s_delay_alu instid0(VALU_DEP_2) | instskip(NEXT) | instid1(VALU_DEP_2)
	v_pack_b32_f16 v21, v92, v21
	v_lshrrev_b32_e32 v92, 8, v22
	v_and_b32_e32 v93, 15, v22
	s_delay_alu instid0(VALU_DEP_3) | instskip(NEXT) | instid1(VALU_DEP_3)
	v_pk_fma_f16 v21, v97, v21, v97 op_sel:[0,0,1] op_sel_hi:[0,1,1]
	v_and_b32_e32 v92, 15, v92
	s_delay_alu instid0(VALU_DEP_3) | instskip(NEXT) | instid1(VALU_DEP_3)
	v_cvt_f16_u16_e32 v93, v93
	v_pk_fma_f16 v20, v23, v21, v20 op_sel_hi:[0,1,1]
	s_delay_alu instid0(VALU_DEP_3) | instskip(NEXT) | instid1(VALU_DEP_1)
	v_cvt_f16_u16_e32 v92, v92
	v_pack_b32_f16 v92, v93, v92
	v_lshrrev_b32_e32 v93, 16, v22
	v_bfe_u32 v22, v22, 24, 4
	s_delay_alu instid0(VALU_DEP_2) | instskip(NEXT) | instid1(VALU_DEP_2)
	v_and_b32_e32 v93, 15, v93
	v_cvt_f16_u16_e32 v22, v22
	s_delay_alu instid0(VALU_DEP_2) | instskip(NEXT) | instid1(VALU_DEP_1)
	v_cvt_f16_u16_e32 v93, v93
	v_pack_b32_f16 v22, v93, v22
	s_waitcnt vmcnt(2)
	v_ashrrev_i32_e32 v93, v89, v94
	s_delay_alu instid0(VALU_DEP_1) | instskip(SKIP_1) | instid1(VALU_DEP_2)
	v_lshrrev_b32_e32 v94, 8, v93
	v_and_b32_e32 v95, 15, v93
	v_and_b32_e32 v94, 15, v94
	s_delay_alu instid0(VALU_DEP_2) | instskip(NEXT) | instid1(VALU_DEP_2)
	v_cvt_f16_u16_e32 v95, v95
	v_cvt_f16_u16_e32 v94, v94
	s_waitcnt vmcnt(1)
	v_pk_fma_f16 v21, v109, v92, v109 op_sel:[0,0,1] op_sel_hi:[0,1,1]
	v_pk_fma_f16 v22, v109, v22, v109 op_sel:[0,0,1] op_sel_hi:[0,1,1]
	s_delay_alu instid0(VALU_DEP_3) | instskip(SKIP_2) | instid1(VALU_DEP_2)
	v_pack_b32_f16 v94, v95, v94
	v_lshrrev_b32_e32 v95, 16, v93
	v_bfe_u32 v93, v93, 24, 4
	v_and_b32_e32 v95, 15, v95
	s_delay_alu instid0(VALU_DEP_2) | instskip(SKIP_4) | instid1(VALU_DEP_1)
	v_cvt_f16_u16_e32 v93, v93
	s_waitcnt vmcnt(0)
	v_pk_fma_f16 v92, v16, v94, v16 op_sel:[0,0,1] op_sel_hi:[0,1,1]
	v_pk_fma_f16 v94, v23, v21, v19 op_sel:[1,0,0]
	v_cvt_f16_u16_e32 v95, v95
	v_pack_b32_f16 v93, v95, v93
	v_pk_fma_f16 v95, v23, v22, v17 op_sel:[1,0,0]
	s_delay_alu instid0(VALU_DEP_2) | instskip(SKIP_1) | instid1(VALU_DEP_2)
	v_pk_fma_f16 v16, v16, v93, v16 op_sel:[0,0,1] op_sel_hi:[0,1,1]
	v_pk_fma_f16 v93, v23, v92, v18 op_sel:[1,0,0]
	v_pk_fma_f16 v92, v23, v16, v20 op_sel:[1,0,0]
	v_add_co_u32 v16, vcc_lo, v67, s6
	v_add_co_ci_u32_e32 v17, vcc_lo, 0, v66, vcc_lo
	global_load_b32 v18, v[16:17], off
	v_add_co_u32 v16, vcc_lo, v255, s6
	v_add_co_ci_u32_e32 v17, vcc_lo, 0, v69, vcc_lo
	global_load_b32 v19, v[16:17], off
	;; [unrolled: 3-line block ×7, first 2 shown]
	v_add_co_u32 v16, vcc_lo, v219, s6
	v_add_co_ci_u32_e32 v17, vcc_lo, 0, v218, vcc_lo
	v_dual_mov_b32 v219, v215 :: v_dual_mov_b32 v218, v214
	global_load_b32 v100, v[16:17], off
	v_add_co_u32 v16, vcc_lo, v246, s6
	v_add_co_ci_u32_e32 v17, vcc_lo, 0, v245, vcc_lo
	global_load_b32 v102, v[16:17], off
	s_waitcnt vmcnt(8)
	v_ashrrev_i32_e32 v18, v89, v18
	s_delay_alu instid0(VALU_DEP_1) | instskip(SKIP_1) | instid1(VALU_DEP_2)
	v_lshrrev_b32_e32 v16, 8, v18
	v_and_b32_e32 v17, 15, v18
	v_and_b32_e32 v16, 15, v16
	s_delay_alu instid0(VALU_DEP_2) | instskip(NEXT) | instid1(VALU_DEP_2)
	v_cvt_f16_u16_e32 v17, v17
	v_cvt_f16_u16_e32 v16, v16
	s_waitcnt vmcnt(6)
	v_ashrrev_i32_e32 v97, v89, v97
	s_delay_alu instid0(VALU_DEP_2) | instskip(SKIP_2) | instid1(VALU_DEP_3)
	v_pack_b32_f16 v20, v17, v16
	v_add_co_u32 v16, vcc_lo, v242, s6
	v_add_co_ci_u32_e32 v17, vcc_lo, 0, v243, vcc_lo
	v_pk_fma_f16 v104, v19, v20, v19 op_sel:[0,0,1] op_sel_hi:[0,1,1]
	global_load_b32 v103, v[16:17], off
	v_lshrrev_b32_e32 v16, 16, v18
	v_bfe_u32 v17, v18, 24, 4
	s_delay_alu instid0(VALU_DEP_2) | instskip(NEXT) | instid1(VALU_DEP_2)
	v_and_b32_e32 v16, 15, v16
	v_cvt_f16_u16_e32 v17, v17
	s_delay_alu instid0(VALU_DEP_2) | instskip(SKIP_2) | instid1(VALU_DEP_2)
	v_cvt_f16_u16_e32 v16, v16
	s_waitcnt vmcnt(4)
	v_ashrrev_i32_e32 v101, v89, v101
	v_pack_b32_f16 v16, v16, v17
	s_delay_alu instid0(VALU_DEP_1)
	v_pk_fma_f16 v105, v19, v16, v19 op_sel:[0,0,1] op_sel_hi:[0,1,1]
	ds_load_b128 v[16:19], v133 offset:32
	ds_load_b128 v[20:23], v133 offset:48
	s_waitcnt lgkmcnt(1)
	v_pk_fma_f16 v104, v16, v104, v94 op_sel_hi:[0,1,1]
	v_add_co_u32 v94, vcc_lo, v247, s6
	v_pk_fma_f16 v105, v16, v105, v95 op_sel_hi:[0,1,1]
	v_add_co_ci_u32_e32 v95, vcc_lo, 0, v248, vcc_lo
	global_load_b32 v106, v[94:95], off
	v_add_co_u32 v94, vcc_lo, v228, s6
	v_add_co_ci_u32_e32 v95, vcc_lo, 0, v244, vcc_lo
	global_load_b32 v107, v[94:95], off
	v_add_co_u32 v94, vcc_lo, v237, s6
	v_add_co_ci_u32_e32 v95, vcc_lo, 0, v238, vcc_lo
	global_load_b32 v108, v[94:95], off
	v_lshrrev_b32_e32 v94, 8, v97
	v_and_b32_e32 v95, 15, v97
	s_delay_alu instid0(VALU_DEP_2) | instskip(NEXT) | instid1(VALU_DEP_2)
	v_and_b32_e32 v94, 15, v94
	v_cvt_f16_u16_e32 v95, v95
	s_delay_alu instid0(VALU_DEP_2) | instskip(NEXT) | instid1(VALU_DEP_1)
	v_cvt_f16_u16_e32 v94, v94
	v_pack_b32_f16 v109, v95, v94
	v_add_co_u32 v94, vcc_lo, v239, s6
	v_add_co_ci_u32_e32 v95, vcc_lo, 0, v240, vcc_lo
	global_load_b32 v95, v[94:95], off
	v_lshrrev_b32_e32 v94, 16, v97
	v_bfe_u32 v97, v97, 24, 4
	s_delay_alu instid0(VALU_DEP_2) | instskip(NEXT) | instid1(VALU_DEP_2)
	v_and_b32_e32 v94, 15, v94
	v_cvt_f16_u16_e32 v97, v97
	s_delay_alu instid0(VALU_DEP_2) | instskip(NEXT) | instid1(VALU_DEP_1)
	v_cvt_f16_u16_e32 v94, v94
	v_pack_b32_f16 v94, v94, v97
	v_pk_fma_f16 v97, v96, v109, v96 op_sel:[0,0,1] op_sel_hi:[0,1,1]
	s_delay_alu instid0(VALU_DEP_2) | instskip(NEXT) | instid1(VALU_DEP_2)
	v_pk_fma_f16 v96, v96, v94, v96 op_sel:[0,0,1] op_sel_hi:[0,1,1]
	v_pk_fma_f16 v97, v16, v97, v93 op_sel_hi:[0,1,1]
	v_add_co_u32 v93, vcc_lo, v233, s6
	v_add_co_ci_u32_e32 v94, vcc_lo, 0, v234, vcc_lo
	s_delay_alu instid0(VALU_DEP_4) | instskip(SKIP_2) | instid1(VALU_DEP_1)
	v_pk_fma_f16 v92, v16, v96, v92 op_sel_hi:[0,1,1]
	global_load_b32 v109, v[93:94], off
	v_ashrrev_i32_e32 v93, v89, v99
	v_lshrrev_b32_e32 v94, 8, v93
	v_and_b32_e32 v99, 15, v93
	s_delay_alu instid0(VALU_DEP_2) | instskip(NEXT) | instid1(VALU_DEP_2)
	v_and_b32_e32 v94, 15, v94
	v_cvt_f16_u16_e32 v99, v99
	s_delay_alu instid0(VALU_DEP_2) | instskip(NEXT) | instid1(VALU_DEP_1)
	v_cvt_f16_u16_e32 v94, v94
	v_pack_b32_f16 v99, v99, v94
	v_lshrrev_b32_e32 v94, 16, v93
	v_bfe_u32 v93, v93, 24, 4
	s_waitcnt vmcnt(8)
	s_delay_alu instid0(VALU_DEP_3) | instskip(NEXT) | instid1(VALU_DEP_3)
	v_pk_fma_f16 v96, v98, v99, v98 op_sel:[0,0,1] op_sel_hi:[0,1,1]
	v_and_b32_e32 v94, 15, v94
	s_delay_alu instid0(VALU_DEP_3) | instskip(NEXT) | instid1(VALU_DEP_3)
	v_cvt_f16_u16_e32 v93, v93
	v_pk_fma_f16 v96, v16, v96, v104 op_sel:[1,0,0]
	s_delay_alu instid0(VALU_DEP_3) | instskip(NEXT) | instid1(VALU_DEP_1)
	v_cvt_f16_u16_e32 v94, v94
	v_pack_b32_f16 v110, v94, v93
	v_lshrrev_b32_e32 v93, 8, v101
	v_and_b32_e32 v94, 15, v101
	s_delay_alu instid0(VALU_DEP_3) | instskip(NEXT) | instid1(VALU_DEP_3)
	v_pk_fma_f16 v98, v98, v110, v98 op_sel:[0,0,1] op_sel_hi:[0,1,1]
	v_and_b32_e32 v93, 15, v93
	s_delay_alu instid0(VALU_DEP_3) | instskip(NEXT) | instid1(VALU_DEP_3)
	v_cvt_f16_u16_e32 v94, v94
	v_pk_fma_f16 v98, v16, v98, v105 op_sel:[1,0,0]
	s_delay_alu instid0(VALU_DEP_3) | instskip(NEXT) | instid1(VALU_DEP_1)
	v_cvt_f16_u16_e32 v93, v93
	v_pack_b32_f16 v111, v94, v93
	v_add_co_u32 v93, vcc_lo, v235, s6
	v_add_co_ci_u32_e32 v94, vcc_lo, 0, v236, vcc_lo
	s_waitcnt vmcnt(7)
	s_delay_alu instid0(VALU_DEP_3)
	v_pk_fma_f16 v99, v100, v111, v100 op_sel:[0,0,1] op_sel_hi:[0,1,1]
	global_load_b32 v112, v[93:94], off
	v_add_co_u32 v93, vcc_lo, v229, s6
	v_add_co_ci_u32_e32 v94, vcc_lo, 0, v230, vcc_lo
	v_pk_fma_f16 v97, v16, v99, v97 op_sel:[1,0,0]
	s_waitcnt vmcnt(7)
	v_ashrrev_i32_e32 v99, v89, v102
	global_load_b32 v94, v[93:94], off
	v_lshrrev_b32_e32 v93, 16, v101
	v_bfe_u32 v101, v101, 24, 4
	s_delay_alu instid0(VALU_DEP_2) | instskip(NEXT) | instid1(VALU_DEP_2)
	v_and_b32_e32 v93, 15, v93
	v_cvt_f16_u16_e32 v101, v101
	s_delay_alu instid0(VALU_DEP_2) | instskip(NEXT) | instid1(VALU_DEP_1)
	v_cvt_f16_u16_e32 v93, v93
	v_pack_b32_f16 v93, v93, v101
	s_delay_alu instid0(VALU_DEP_1) | instskip(NEXT) | instid1(VALU_DEP_1)
	v_pk_fma_f16 v93, v100, v93, v100 op_sel:[0,0,1] op_sel_hi:[0,1,1]
	v_pk_fma_f16 v16, v16, v93, v92 op_sel:[1,0,0]
	v_lshrrev_b32_e32 v92, 8, v99
	v_and_b32_e32 v93, 15, v99
	s_delay_alu instid0(VALU_DEP_2) | instskip(NEXT) | instid1(VALU_DEP_2)
	v_and_b32_e32 v92, 15, v92
	v_cvt_f16_u16_e32 v93, v93
	s_delay_alu instid0(VALU_DEP_2) | instskip(NEXT) | instid1(VALU_DEP_1)
	v_cvt_f16_u16_e32 v92, v92
	v_pack_b32_f16 v100, v93, v92
	v_add_co_u32 v92, vcc_lo, v225, s6
	v_add_co_ci_u32_e32 v93, vcc_lo, 0, v226, vcc_lo
	global_load_b32 v101, v[92:93], off
	v_lshrrev_b32_e32 v92, 16, v99
	v_bfe_u32 v93, v99, 24, 4
	s_delay_alu instid0(VALU_DEP_2) | instskip(NEXT) | instid1(VALU_DEP_2)
	v_and_b32_e32 v92, 15, v92
	v_cvt_f16_u16_e32 v93, v93
	s_delay_alu instid0(VALU_DEP_2) | instskip(NEXT) | instid1(VALU_DEP_1)
	v_cvt_f16_u16_e32 v92, v92
	v_pack_b32_f16 v99, v92, v93
	v_add_co_u32 v92, vcc_lo, v231, s6
	v_add_co_ci_u32_e32 v93, vcc_lo, 0, v232, vcc_lo
	global_load_b32 v102, v[92:93], off
	v_add_co_u32 v92, vcc_lo, v217, s6
	v_add_co_ci_u32_e32 v93, vcc_lo, 0, v227, vcc_lo
	global_load_b32 v104, v[92:93], off
	;; [unrolled: 3-line block ×3, first 2 shown]
	s_waitcnt vmcnt(11)
	v_ashrrev_i32_e32 v103, v89, v103
	s_delay_alu instid0(VALU_DEP_1) | instskip(SKIP_1) | instid1(VALU_DEP_2)
	v_lshrrev_b32_e32 v92, 8, v103
	v_and_b32_e32 v93, 15, v103
	v_and_b32_e32 v92, 15, v92
	s_delay_alu instid0(VALU_DEP_2) | instskip(NEXT) | instid1(VALU_DEP_2)
	v_cvt_f16_u16_e32 v93, v93
	v_cvt_f16_u16_e32 v92, v92
	s_delay_alu instid0(VALU_DEP_1)
	v_pack_b32_f16 v110, v93, v92
	v_add_co_u32 v92, vcc_lo, v223, s6
	v_add_co_ci_u32_e32 v93, vcc_lo, 0, v224, vcc_lo
	global_load_b32 v111, v[92:93], off
	v_add_co_u32 v92, vcc_lo, v214, s6
	v_add_co_ci_u32_e32 v93, vcc_lo, 0, v215, vcc_lo
	v_dual_mov_b32 v214, v210 :: v_dual_mov_b32 v215, v212
	global_load_b32 v113, v[92:93], off
	v_lshrrev_b32_e32 v92, 16, v103
	v_bfe_u32 v93, v103, 24, 4
	s_delay_alu instid0(VALU_DEP_2) | instskip(NEXT) | instid1(VALU_DEP_2)
	v_and_b32_e32 v92, 15, v92
	v_cvt_f16_u16_e32 v93, v93
	s_delay_alu instid0(VALU_DEP_2) | instskip(SKIP_2) | instid1(VALU_DEP_2)
	v_cvt_f16_u16_e32 v92, v92
	s_waitcnt vmcnt(12)
	v_pk_fma_f16 v99, v106, v99, v106 op_sel:[0,0,1] op_sel_hi:[0,1,1]
	v_pack_b32_f16 v92, v92, v93
	v_pk_fma_f16 v93, v106, v100, v106 op_sel:[0,0,1] op_sel_hi:[0,1,1]
	s_delay_alu instid0(VALU_DEP_3) | instskip(SKIP_1) | instid1(VALU_DEP_3)
	v_pk_fma_f16 v98, v17, v99, v98 op_sel_hi:[0,1,1]
	s_waitcnt vmcnt(11)
	v_pk_fma_f16 v103, v107, v92, v107 op_sel:[0,0,1] op_sel_hi:[0,1,1]
	v_add_co_u32 v92, vcc_lo, v210, s6
	v_pk_fma_f16 v96, v17, v93, v96 op_sel_hi:[0,1,1]
	v_add_co_ci_u32_e32 v93, vcc_lo, 0, v212, vcc_lo
	v_pk_fma_f16 v100, v107, v110, v107 op_sel:[0,0,1] op_sel_hi:[0,1,1]
	v_mov_b32_e32 v210, v208
	v_pk_fma_f16 v16, v17, v103, v16 op_sel_hi:[0,1,1]
	global_load_b32 v106, v[92:93], off
	s_waitcnt vmcnt(11)
	v_ashrrev_i32_e32 v92, v89, v108
	v_pk_fma_f16 v97, v17, v100, v97 op_sel_hi:[0,1,1]
	v_mov_b32_e32 v212, v206
	v_mov_b32_e32 v206, v202
	;; [unrolled: 1-line block ×3, first 2 shown]
	v_lshrrev_b32_e32 v93, 8, v92
	v_dual_mov_b32 v208, v204 :: v_dual_and_b32 v107, 15, v92
	v_mov_b32_e32 v204, v196
	s_delay_alu instid0(VALU_DEP_3) | instskip(NEXT) | instid1(VALU_DEP_3)
	v_dual_mov_b32 v198, v197 :: v_dual_and_b32 v93, 15, v93
	v_cvt_f16_u16_e32 v107, v107
	v_mov_b32_e32 v196, v180
	v_mov_b32_e32 v197, v184
	s_delay_alu instid0(VALU_DEP_4) | instskip(NEXT) | instid1(VALU_DEP_1)
	v_cvt_f16_u16_e32 v93, v93
	v_pack_b32_f16 v93, v107, v93
	v_lshrrev_b32_e32 v107, 16, v92
	v_bfe_u32 v92, v92, 24, 4
	s_waitcnt vmcnt(10)
	s_delay_alu instid0(VALU_DEP_3) | instskip(NEXT) | instid1(VALU_DEP_3)
	v_pk_fma_f16 v99, v95, v93, v95 op_sel:[0,0,1] op_sel_hi:[0,1,1]
	v_and_b32_e32 v107, 15, v107
	s_delay_alu instid0(VALU_DEP_3) | instskip(NEXT) | instid1(VALU_DEP_3)
	v_cvt_f16_u16_e32 v92, v92
	v_pk_fma_f16 v96, v17, v99, v96 op_sel:[1,0,0]
	s_delay_alu instid0(VALU_DEP_3) | instskip(NEXT) | instid1(VALU_DEP_1)
	v_cvt_f16_u16_e32 v107, v107
	v_pack_b32_f16 v92, v107, v92
	s_delay_alu instid0(VALU_DEP_1) | instskip(SKIP_2) | instid1(VALU_DEP_3)
	v_pk_fma_f16 v95, v95, v92, v95 op_sel:[0,0,1] op_sel_hi:[0,1,1]
	v_add_co_u32 v92, vcc_lo, v216, s6
	v_add_co_ci_u32_e32 v93, vcc_lo, 0, v220, vcc_lo
	v_pk_fma_f16 v95, v17, v95, v98 op_sel:[1,0,0]
	global_load_b32 v100, v[92:93], off
	v_add_co_u32 v92, vcc_lo, v211, s6
	v_add_co_ci_u32_e32 v93, vcc_lo, 0, v213, vcc_lo
	v_mov_b32_e32 v211, v209
	s_waitcnt vmcnt(10)
	v_ashrrev_i32_e32 v98, v89, v109
	v_mov_b32_e32 v213, v203
	global_load_b32 v103, v[92:93], off
	v_add_co_u32 v92, vcc_lo, v210, s6
	v_add_co_ci_u32_e32 v93, vcc_lo, 0, v211, vcc_lo
	v_mov_b32_e32 v203, v201
	v_mov_b32_e32 v209, v199
	;; [unrolled: 1-line block ×3, first 2 shown]
	global_load_b32 v107, v[92:93], off
	v_lshrrev_b32_e32 v92, 8, v98
	v_and_b32_e32 v93, 15, v98
	v_mov_b32_e32 v201, v195
	v_mov_b32_e32 v195, v192
	;; [unrolled: 1-line block ×3, first 2 shown]
	v_and_b32_e32 v92, 15, v92
	v_cvt_f16_u16_e32 v93, v93
	v_mov_b32_e32 v193, v183
	s_delay_alu instid0(VALU_DEP_3) | instskip(NEXT) | instid1(VALU_DEP_1)
	v_cvt_f16_u16_e32 v92, v92
	v_pack_b32_f16 v99, v93, v92
	v_add_co_u32 v92, vcc_lo, v212, s6
	v_add_co_ci_u32_e32 v93, vcc_lo, 0, v213, vcc_lo
	global_load_b32 v108, v[92:93], off
	v_add_co_u32 v92, vcc_lo, v206, s6
	v_add_co_ci_u32_e32 v93, vcc_lo, 0, v205, vcc_lo
	global_load_b32 v109, v[92:93], off
	v_lshrrev_b32_e32 v92, 16, v98
	v_bfe_u32 v93, v98, 24, 4
	s_delay_alu instid0(VALU_DEP_2) | instskip(NEXT) | instid1(VALU_DEP_2)
	v_and_b32_e32 v92, 15, v92
	v_cvt_f16_u16_e32 v93, v93
	s_delay_alu instid0(VALU_DEP_2) | instskip(NEXT) | instid1(VALU_DEP_1)
	v_cvt_f16_u16_e32 v92, v92
	v_pack_b32_f16 v92, v92, v93
	s_waitcnt vmcnt(13)
	v_pk_fma_f16 v93, v112, v99, v112 op_sel:[0,0,1] op_sel_hi:[0,1,1]
	s_delay_alu instid0(VALU_DEP_2) | instskip(SKIP_1) | instid1(VALU_DEP_3)
	v_pk_fma_f16 v98, v112, v92, v112 op_sel:[0,0,1] op_sel_hi:[0,1,1]
	v_add_co_u32 v92, vcc_lo, v202, s6
	v_pk_fma_f16 v97, v17, v93, v97 op_sel:[1,0,0]
	v_add_co_ci_u32_e32 v93, vcc_lo, 0, v203, vcc_lo
	s_waitcnt vmcnt(12)
	v_ashrrev_i32_e32 v94, v89, v94
	v_pk_fma_f16 v16, v17, v98, v16 op_sel:[1,0,0]
	global_load_b32 v99, v[92:93], off
	v_lshrrev_b32_e32 v92, 8, v94
	v_and_b32_e32 v93, 15, v94
	s_delay_alu instid0(VALU_DEP_2) | instskip(NEXT) | instid1(VALU_DEP_2)
	v_and_b32_e32 v92, 15, v92
	v_cvt_f16_u16_e32 v93, v93
	s_delay_alu instid0(VALU_DEP_2) | instskip(NEXT) | instid1(VALU_DEP_1)
	v_cvt_f16_u16_e32 v92, v92
	v_pack_b32_f16 v110, v93, v92
	v_add_co_u32 v92, vcc_lo, v208, s6
	v_add_co_ci_u32_e32 v93, vcc_lo, 0, v209, vcc_lo
	global_load_b32 v112, v[92:93], off
	v_add_co_u32 v92, vcc_lo, v204, s6
	v_add_co_ci_u32_e32 v93, vcc_lo, 0, v191, vcc_lo
	global_load_b32 v92, v[92:93], off
	v_lshrrev_b32_e32 v93, 16, v94
	v_bfe_u32 v94, v94, 24, 4
	s_delay_alu instid0(VALU_DEP_2) | instskip(NEXT) | instid1(VALU_DEP_2)
	v_and_b32_e32 v93, 15, v93
	v_cvt_f16_u16_e32 v94, v94
	s_delay_alu instid0(VALU_DEP_2) | instskip(NEXT) | instid1(VALU_DEP_1)
	v_cvt_f16_u16_e32 v93, v93
	v_pack_b32_f16 v93, v93, v94
	s_waitcnt vmcnt(14)
	v_ashrrev_i32_e32 v94, v89, v101
	s_delay_alu instid0(VALU_DEP_1) | instskip(SKIP_1) | instid1(VALU_DEP_2)
	v_lshrrev_b32_e32 v101, 8, v94
	v_and_b32_e32 v114, 15, v94
	v_and_b32_e32 v101, 15, v101
	s_delay_alu instid0(VALU_DEP_2) | instskip(NEXT) | instid1(VALU_DEP_2)
	v_cvt_f16_u16_e32 v114, v114
	v_cvt_f16_u16_e32 v101, v101
	s_waitcnt vmcnt(13)
	v_pk_fma_f16 v17, v102, v110, v102 op_sel:[0,0,1] op_sel_hi:[0,1,1]
	v_pk_fma_f16 v93, v102, v93, v102 op_sel:[0,0,1] op_sel_hi:[0,1,1]
	s_delay_alu instid0(VALU_DEP_3) | instskip(SKIP_4) | instid1(VALU_DEP_4)
	v_pack_b32_f16 v101, v114, v101
	v_lshrrev_b32_e32 v114, 16, v94
	v_bfe_u32 v94, v94, 24, 4
	v_pk_fma_f16 v17, v18, v17, v96 op_sel_hi:[0,1,1]
	v_pk_fma_f16 v93, v18, v93, v95 op_sel_hi:[0,1,1]
	v_and_b32_e32 v114, 15, v114
	s_delay_alu instid0(VALU_DEP_4) | instskip(SKIP_2) | instid1(VALU_DEP_3)
	v_cvt_f16_u16_e32 v94, v94
	s_waitcnt vmcnt(12)
	v_pk_fma_f16 v98, v104, v101, v104 op_sel:[0,0,1] op_sel_hi:[0,1,1]
	v_cvt_f16_u16_e32 v114, v114
	s_delay_alu instid0(VALU_DEP_2) | instskip(NEXT) | instid1(VALU_DEP_2)
	v_pk_fma_f16 v95, v18, v98, v97 op_sel_hi:[0,1,1]
	v_pack_b32_f16 v94, v114, v94
	s_delay_alu instid0(VALU_DEP_1) | instskip(NEXT) | instid1(VALU_DEP_1)
	v_pk_fma_f16 v94, v104, v94, v104 op_sel:[0,0,1] op_sel_hi:[0,1,1]
	v_pk_fma_f16 v16, v18, v94, v16 op_sel_hi:[0,1,1]
	s_waitcnt vmcnt(11)
	v_ashrrev_i32_e32 v94, v89, v105
	s_delay_alu instid0(VALU_DEP_1) | instskip(SKIP_1) | instid1(VALU_DEP_2)
	v_lshrrev_b32_e32 v96, 8, v94
	v_and_b32_e32 v97, 15, v94
	v_and_b32_e32 v96, 15, v96
	s_delay_alu instid0(VALU_DEP_2) | instskip(NEXT) | instid1(VALU_DEP_2)
	v_cvt_f16_u16_e32 v97, v97
	v_cvt_f16_u16_e32 v96, v96
	s_delay_alu instid0(VALU_DEP_1) | instskip(SKIP_2) | instid1(VALU_DEP_2)
	v_pack_b32_f16 v96, v97, v96
	v_lshrrev_b32_e32 v97, 16, v94
	v_bfe_u32 v94, v94, 24, 4
	v_and_b32_e32 v97, 15, v97
	s_delay_alu instid0(VALU_DEP_2) | instskip(NEXT) | instid1(VALU_DEP_2)
	v_cvt_f16_u16_e32 v94, v94
	v_cvt_f16_u16_e32 v97, v97
	s_delay_alu instid0(VALU_DEP_1) | instskip(SKIP_2) | instid1(VALU_DEP_2)
	v_pack_b32_f16 v94, v97, v94
	s_waitcnt vmcnt(10)
	v_pk_fma_f16 v96, v111, v96, v111 op_sel:[0,0,1] op_sel_hi:[0,1,1]
	v_pk_fma_f16 v94, v111, v94, v111 op_sel:[0,0,1] op_sel_hi:[0,1,1]
	s_delay_alu instid0(VALU_DEP_2) | instskip(NEXT) | instid1(VALU_DEP_2)
	v_pk_fma_f16 v17, v18, v96, v17 op_sel:[1,0,0]
	v_pk_fma_f16 v93, v18, v94, v93 op_sel:[1,0,0]
	s_waitcnt vmcnt(9)
	v_ashrrev_i32_e32 v96, v89, v113
	s_delay_alu instid0(VALU_DEP_1) | instskip(SKIP_1) | instid1(VALU_DEP_2)
	v_lshrrev_b32_e32 v97, 8, v96
	v_and_b32_e32 v98, 15, v96
	v_and_b32_e32 v97, 15, v97
	s_delay_alu instid0(VALU_DEP_2) | instskip(NEXT) | instid1(VALU_DEP_2)
	v_cvt_f16_u16_e32 v98, v98
	v_cvt_f16_u16_e32 v97, v97
	s_delay_alu instid0(VALU_DEP_1) | instskip(SKIP_2) | instid1(VALU_DEP_2)
	v_pack_b32_f16 v97, v98, v97
	v_lshrrev_b32_e32 v98, 16, v96
	v_bfe_u32 v96, v96, 24, 4
	v_and_b32_e32 v98, 15, v98
	s_delay_alu instid0(VALU_DEP_2) | instskip(NEXT) | instid1(VALU_DEP_2)
	v_cvt_f16_u16_e32 v96, v96
	v_cvt_f16_u16_e32 v98, v98
	s_delay_alu instid0(VALU_DEP_1) | instskip(SKIP_2) | instid1(VALU_DEP_1)
	v_pack_b32_f16 v96, v98, v96
	s_waitcnt vmcnt(8)
	v_ashrrev_i32_e32 v98, v89, v106
	v_lshrrev_b32_e32 v101, 8, v98
	v_and_b32_e32 v102, 15, v98
	s_delay_alu instid0(VALU_DEP_2) | instskip(NEXT) | instid1(VALU_DEP_2)
	v_and_b32_e32 v101, 15, v101
	v_cvt_f16_u16_e32 v102, v102
	s_delay_alu instid0(VALU_DEP_2) | instskip(NEXT) | instid1(VALU_DEP_1)
	v_cvt_f16_u16_e32 v101, v101
	v_pack_b32_f16 v101, v102, v101
	v_lshrrev_b32_e32 v102, 16, v98
	v_bfe_u32 v98, v98, 24, 4
	s_delay_alu instid0(VALU_DEP_2) | instskip(NEXT) | instid1(VALU_DEP_2)
	v_and_b32_e32 v102, 15, v102
	v_cvt_f16_u16_e32 v98, v98
	s_delay_alu instid0(VALU_DEP_2) | instskip(NEXT) | instid1(VALU_DEP_1)
	v_cvt_f16_u16_e32 v102, v102
	v_pack_b32_f16 v98, v102, v98
	s_waitcnt vmcnt(7)
	v_pk_fma_f16 v94, v100, v97, v100 op_sel:[0,0,1] op_sel_hi:[0,1,1]
	v_pk_fma_f16 v96, v100, v96, v100 op_sel:[0,0,1] op_sel_hi:[0,1,1]
	s_delay_alu instid0(VALU_DEP_2) | instskip(NEXT) | instid1(VALU_DEP_2)
	v_pk_fma_f16 v94, v18, v94, v95 op_sel:[1,0,0]
	v_pk_fma_f16 v16, v18, v96, v16 op_sel:[1,0,0]
	s_waitcnt vmcnt(6)
	v_pk_fma_f16 v98, v103, v98, v103 op_sel:[0,0,1] op_sel_hi:[0,1,1]
	v_pk_fma_f16 v97, v103, v101, v103 op_sel:[0,0,1] op_sel_hi:[0,1,1]
	s_delay_alu instid0(VALU_DEP_2) | instskip(NEXT) | instid1(VALU_DEP_2)
	v_pk_fma_f16 v18, v19, v98, v93 op_sel_hi:[0,1,1]
	v_pk_fma_f16 v17, v19, v97, v17 op_sel_hi:[0,1,1]
	s_waitcnt vmcnt(5)
	v_ashrrev_i32_e32 v93, v89, v107
	s_delay_alu instid0(VALU_DEP_1) | instskip(SKIP_1) | instid1(VALU_DEP_2)
	v_lshrrev_b32_e32 v95, 8, v93
	v_and_b32_e32 v96, 15, v93
	v_and_b32_e32 v95, 15, v95
	s_delay_alu instid0(VALU_DEP_2) | instskip(NEXT) | instid1(VALU_DEP_2)
	v_cvt_f16_u16_e32 v96, v96
	v_cvt_f16_u16_e32 v95, v95
	s_delay_alu instid0(VALU_DEP_1) | instskip(SKIP_3) | instid1(VALU_DEP_3)
	v_pack_b32_f16 v95, v96, v95
	v_lshrrev_b32_e32 v96, 16, v93
	v_bfe_u32 v93, v93, 24, 4
	s_waitcnt vmcnt(4)
	v_pk_fma_f16 v95, v108, v95, v108 op_sel:[0,0,1] op_sel_hi:[0,1,1]
	s_delay_alu instid0(VALU_DEP_3) | instskip(NEXT) | instid1(VALU_DEP_3)
	v_and_b32_e32 v96, 15, v96
	v_cvt_f16_u16_e32 v93, v93
	s_delay_alu instid0(VALU_DEP_3) | instskip(NEXT) | instid1(VALU_DEP_3)
	v_pk_fma_f16 v94, v19, v95, v94 op_sel_hi:[0,1,1]
	v_cvt_f16_u16_e32 v96, v96
	s_waitcnt vmcnt(3)
	v_ashrrev_i32_e32 v95, v89, v109
	s_delay_alu instid0(VALU_DEP_2) | instskip(NEXT) | instid1(VALU_DEP_2)
	v_pack_b32_f16 v93, v96, v93
	v_lshrrev_b32_e32 v96, 8, v95
	v_and_b32_e32 v97, 15, v95
	s_delay_alu instid0(VALU_DEP_3) | instskip(NEXT) | instid1(VALU_DEP_3)
	v_pk_fma_f16 v93, v108, v93, v108 op_sel:[0,0,1] op_sel_hi:[0,1,1]
	v_and_b32_e32 v96, 15, v96
	s_delay_alu instid0(VALU_DEP_3) | instskip(NEXT) | instid1(VALU_DEP_3)
	v_cvt_f16_u16_e32 v97, v97
	v_pk_fma_f16 v16, v19, v93, v16 op_sel_hi:[0,1,1]
	s_delay_alu instid0(VALU_DEP_3) | instskip(NEXT) | instid1(VALU_DEP_1)
	v_cvt_f16_u16_e32 v96, v96
	v_pack_b32_f16 v96, v97, v96
	v_lshrrev_b32_e32 v97, 16, v95
	v_bfe_u32 v95, v95, 24, 4
	s_delay_alu instid0(VALU_DEP_2) | instskip(NEXT) | instid1(VALU_DEP_2)
	v_and_b32_e32 v97, 15, v97
	v_cvt_f16_u16_e32 v95, v95
	s_delay_alu instid0(VALU_DEP_2) | instskip(NEXT) | instid1(VALU_DEP_1)
	v_cvt_f16_u16_e32 v97, v97
	v_pack_b32_f16 v95, v97, v95
	s_waitcnt vmcnt(2)
	v_ashrrev_i32_e32 v97, v89, v99
	s_delay_alu instid0(VALU_DEP_1) | instskip(SKIP_1) | instid1(VALU_DEP_2)
	v_lshrrev_b32_e32 v98, 8, v97
	v_and_b32_e32 v99, 15, v97
	v_and_b32_e32 v98, 15, v98
	s_delay_alu instid0(VALU_DEP_2) | instskip(NEXT) | instid1(VALU_DEP_2)
	v_cvt_f16_u16_e32 v99, v99
	v_cvt_f16_u16_e32 v98, v98
	s_waitcnt vmcnt(1)
	v_pk_fma_f16 v93, v112, v96, v112 op_sel:[0,0,1] op_sel_hi:[0,1,1]
	v_pk_fma_f16 v95, v112, v95, v112 op_sel:[0,0,1] op_sel_hi:[0,1,1]
	s_delay_alu instid0(VALU_DEP_3) | instskip(SKIP_4) | instid1(VALU_DEP_4)
	v_pack_b32_f16 v98, v99, v98
	v_lshrrev_b32_e32 v99, 16, v97
	v_bfe_u32 v97, v97, 24, 4
	v_pk_fma_f16 v93, v19, v93, v17 op_sel:[1,0,0]
	v_pk_fma_f16 v18, v19, v95, v18 op_sel:[1,0,0]
	v_and_b32_e32 v99, 15, v99
	s_delay_alu instid0(VALU_DEP_4) | instskip(SKIP_2) | instid1(VALU_DEP_3)
	v_cvt_f16_u16_e32 v97, v97
	s_waitcnt vmcnt(0)
	v_pk_fma_f16 v96, v92, v98, v92 op_sel:[0,0,1] op_sel_hi:[0,1,1]
	v_cvt_f16_u16_e32 v99, v99
	s_delay_alu instid0(VALU_DEP_2) | instskip(NEXT) | instid1(VALU_DEP_2)
	v_pk_fma_f16 v94, v19, v96, v94 op_sel:[1,0,0]
	v_pack_b32_f16 v97, v99, v97
	s_delay_alu instid0(VALU_DEP_1) | instskip(NEXT) | instid1(VALU_DEP_1)
	v_pk_fma_f16 v92, v92, v97, v92 op_sel:[0,0,1] op_sel_hi:[0,1,1]
	v_pk_fma_f16 v19, v19, v92, v16 op_sel:[1,0,0]
	v_add_co_u32 v16, vcc_lo, v198, s6
	v_add_co_ci_u32_e32 v17, vcc_lo, 0, v199, vcc_lo
	global_load_b32 v92, v[16:17], off
	v_add_co_u32 v16, vcc_lo, v200, s6
	v_add_co_ci_u32_e32 v17, vcc_lo, 0, v201, vcc_lo
	global_load_b32 v95, v[16:17], off
	;; [unrolled: 3-line block ×4, first 2 shown]
	s_clause 0x1
	scratch_load_b32 v190, off, off offset:292
	scratch_load_b32 v155, off, off offset:280
	s_waitcnt vmcnt(3)
	v_ashrrev_i32_e32 v96, v89, v96
	s_waitcnt vmcnt(1)
	v_add_co_u32 v16, vcc_lo, v190, s6
	v_add_co_ci_u32_e32 v17, vcc_lo, 0, v186, vcc_lo
	global_load_b32 v98, v[16:17], off
	v_add_co_u32 v16, vcc_lo, v158, s6
	s_waitcnt vmcnt(1)
	v_add_co_ci_u32_e32 v17, vcc_lo, 0, v155, vcc_lo
	global_load_b32 v99, v[16:17], off
	v_add_co_u32 v16, vcc_lo, v192, s6
	v_add_co_ci_u32_e32 v17, vcc_lo, 0, v193, vcc_lo
	global_load_b32 v100, v[16:17], off
	s_clause 0x1
	scratch_load_b32 v188, off, off offset:284
	scratch_load_b32 v151, off, off offset:288
	s_waitcnt vmcnt(3)
	v_ashrrev_i32_e32 v99, v89, v99
	s_waitcnt vmcnt(1)
	v_add_co_u32 v16, vcc_lo, v188, s6
	s_waitcnt vmcnt(0)
	v_add_co_ci_u32_e32 v17, vcc_lo, 0, v151, vcc_lo
	global_load_b32 v101, v[16:17], off
	s_clause 0x1
	scratch_load_b32 v183, off, off offset:272
	scratch_load_b32 v135, off, off offset:276
	s_waitcnt vmcnt(1)
	v_add_co_u32 v16, vcc_lo, v183, s6
	s_waitcnt vmcnt(0)
	v_add_co_ci_u32_e32 v17, vcc_lo, 0, v135, vcc_lo
	global_load_b32 v102, v[16:17], off
	s_clause 0x3
	scratch_load_b32 v178, off, off offset:256
	scratch_load_b32 v184, off, off offset:260
	;; [unrolled: 1-line block ×4, first 2 shown]
	s_waitcnt vmcnt(3)
	v_add_co_u32 v16, vcc_lo, v178, s6
	s_waitcnt vmcnt(2)
	v_add_co_ci_u32_e32 v17, vcc_lo, 0, v184, vcc_lo
	global_load_b32 v103, v[16:17], off
	v_ashrrev_i32_e32 v16, v89, v92
	s_delay_alu instid0(VALU_DEP_1) | instskip(SKIP_1) | instid1(VALU_DEP_2)
	v_lshrrev_b32_e32 v17, 8, v16
	v_and_b32_e32 v92, 15, v16
	v_and_b32_e32 v17, 15, v17
	s_delay_alu instid0(VALU_DEP_2) | instskip(NEXT) | instid1(VALU_DEP_2)
	v_cvt_f16_u16_e32 v92, v92
	v_cvt_f16_u16_e32 v17, v17
	s_delay_alu instid0(VALU_DEP_1) | instskip(SKIP_2) | instid1(VALU_DEP_3)
	v_pack_b32_f16 v17, v92, v17
	v_lshrrev_b32_e32 v92, 16, v16
	v_bfe_u32 v16, v16, 24, 4
	v_pk_fma_f16 v17, v95, v17, v95 op_sel:[0,0,1] op_sel_hi:[0,1,1]
	s_delay_alu instid0(VALU_DEP_3) | instskip(NEXT) | instid1(VALU_DEP_3)
	v_and_b32_e32 v92, 15, v92
	v_cvt_f16_u16_e32 v16, v16
	s_delay_alu instid0(VALU_DEP_2) | instskip(NEXT) | instid1(VALU_DEP_1)
	v_cvt_f16_u16_e32 v92, v92
	v_pack_b32_f16 v16, v92, v16
	s_waitcnt lgkmcnt(0)
	v_pk_fma_f16 v92, v20, v17, v93 op_sel_hi:[0,1,1]
	s_delay_alu instid0(VALU_DEP_2) | instskip(NEXT) | instid1(VALU_DEP_1)
	v_pk_fma_f16 v16, v95, v16, v95 op_sel:[0,0,1] op_sel_hi:[0,1,1]
	v_pk_fma_f16 v18, v20, v16, v18 op_sel_hi:[0,1,1]
	s_waitcnt vmcnt(2)
	v_add_co_u32 v16, vcc_lo, v134, s6
	s_waitcnt vmcnt(1)
	v_add_co_ci_u32_e32 v17, vcc_lo, 0, v158, vcc_lo
	global_load_b32 v93, v[16:17], off
	s_clause 0x1
	scratch_load_b32 v180, off, off offset:248
	scratch_load_b32 v78, off, off offset:252
	s_waitcnt vmcnt(1)
	v_add_co_u32 v16, vcc_lo, v180, s6
	s_waitcnt vmcnt(0)
	v_add_co_ci_u32_e32 v17, vcc_lo, 0, v78, vcc_lo
	global_load_b32 v95, v[16:17], off
	s_clause 0x7
	scratch_load_b32 v174, off, off offset:240
	scratch_load_b32 v73, off, off offset:244
	;; [unrolled: 1-line block ×8, first 2 shown]
	s_waitcnt vmcnt(7)
	v_add_co_u32 v16, vcc_lo, v174, s6
	s_waitcnt vmcnt(6)
	v_add_co_ci_u32_e32 v17, vcc_lo, 0, v73, vcc_lo
	global_load_b32 v104, v[16:17], off
	v_lshrrev_b32_e32 v16, 8, v96
	v_and_b32_e32 v17, 15, v96
	s_delay_alu instid0(VALU_DEP_2) | instskip(NEXT) | instid1(VALU_DEP_2)
	v_and_b32_e32 v16, 15, v16
	v_cvt_f16_u16_e32 v17, v17
	s_delay_alu instid0(VALU_DEP_2) | instskip(NEXT) | instid1(VALU_DEP_1)
	v_cvt_f16_u16_e32 v16, v16
	v_pack_b32_f16 v105, v17, v16
	s_waitcnt vmcnt(5)
	v_add_co_u32 v16, vcc_lo, v176, s6
	v_add_co_ci_u32_e32 v17, vcc_lo, 0, v71, vcc_lo
	global_load_b32 v106, v[16:17], off
	v_lshrrev_b32_e32 v16, 16, v96
	v_bfe_u32 v17, v96, 24, 4
	s_delay_alu instid0(VALU_DEP_2) | instskip(NEXT) | instid1(VALU_DEP_2)
	v_and_b32_e32 v16, 15, v16
	v_cvt_f16_u16_e32 v17, v17
	s_delay_alu instid0(VALU_DEP_2) | instskip(NEXT) | instid1(VALU_DEP_1)
	v_cvt_f16_u16_e32 v16, v16
	v_pack_b32_f16 v16, v16, v17
	v_pk_fma_f16 v17, v97, v105, v97 op_sel:[0,0,1] op_sel_hi:[0,1,1]
	s_delay_alu instid0(VALU_DEP_2) | instskip(SKIP_2) | instid1(VALU_DEP_3)
	v_pk_fma_f16 v96, v97, v16, v97 op_sel:[0,0,1] op_sel_hi:[0,1,1]
	s_waitcnt vmcnt(5)
	v_add_co_u32 v16, vcc_lo, v170, s6
	v_pk_fma_f16 v94, v20, v17, v94 op_sel_hi:[0,1,1]
	s_waitcnt vmcnt(4)
	v_add_co_ci_u32_e32 v17, vcc_lo, 0, v12, vcc_lo
	global_load_b32 v97, v[16:17], off
	v_ashrrev_i32_e32 v16, v89, v98
	s_delay_alu instid0(VALU_DEP_1) | instskip(SKIP_1) | instid1(VALU_DEP_2)
	v_lshrrev_b32_e32 v17, 8, v16
	v_and_b32_e32 v98, 15, v16
	v_and_b32_e32 v17, 15, v17
	s_delay_alu instid0(VALU_DEP_2) | instskip(NEXT) | instid1(VALU_DEP_2)
	v_cvt_f16_u16_e32 v98, v98
	v_cvt_f16_u16_e32 v17, v17
	s_delay_alu instid0(VALU_DEP_1) | instskip(SKIP_2) | instid1(VALU_DEP_2)
	v_pack_b32_f16 v98, v98, v17
	v_lshrrev_b32_e32 v17, 16, v16
	v_bfe_u32 v16, v16, 24, 4
	v_and_b32_e32 v17, 15, v17
	s_delay_alu instid0(VALU_DEP_2) | instskip(NEXT) | instid1(VALU_DEP_2)
	v_cvt_f16_u16_e32 v16, v16
	v_cvt_f16_u16_e32 v17, v17
	s_delay_alu instid0(VALU_DEP_1) | instskip(SKIP_2) | instid1(VALU_DEP_2)
	v_pack_b32_f16 v105, v17, v16
	v_lshrrev_b32_e32 v16, 8, v99
	v_and_b32_e32 v17, 15, v99
	v_and_b32_e32 v16, 15, v16
	s_delay_alu instid0(VALU_DEP_2) | instskip(NEXT) | instid1(VALU_DEP_2)
	v_cvt_f16_u16_e32 v17, v17
	v_cvt_f16_u16_e32 v16, v16
	s_delay_alu instid0(VALU_DEP_1)
	v_pack_b32_f16 v107, v17, v16
	s_waitcnt vmcnt(4)
	v_add_co_u32 v16, vcc_lo, v172, s6
	s_waitcnt vmcnt(3)
	v_add_co_ci_u32_e32 v17, vcc_lo, 0, v11, vcc_lo
	global_load_b32 v108, v[16:17], off
	s_clause 0x5
	scratch_load_b32 v166, off, off offset:208
	scratch_load_b32 v10, off, off offset:212
	;; [unrolled: 1-line block ×6, first 2 shown]
	s_waitcnt vmcnt(5)
	v_add_co_u32 v16, vcc_lo, v166, s6
	s_waitcnt vmcnt(4)
	v_add_co_ci_u32_e32 v17, vcc_lo, 0, v10, vcc_lo
	global_load_b32 v109, v[16:17], off
	v_lshrrev_b32_e32 v16, 16, v99
	v_bfe_u32 v17, v99, 24, 4
	s_delay_alu instid0(VALU_DEP_2) | instskip(NEXT) | instid1(VALU_DEP_2)
	v_and_b32_e32 v16, 15, v16
	v_cvt_f16_u16_e32 v17, v17
	s_delay_alu instid0(VALU_DEP_2) | instskip(NEXT) | instid1(VALU_DEP_1)
	v_cvt_f16_u16_e32 v16, v16
	v_pack_b32_f16 v16, v16, v17
	v_pk_fma_f16 v17, v20, v96, v19 op_sel_hi:[0,1,1]
	v_pk_fma_f16 v19, v100, v98, v100 op_sel:[0,0,1] op_sel_hi:[0,1,1]
	v_pk_fma_f16 v98, v101, v107, v101 op_sel:[0,0,1] op_sel_hi:[0,1,1]
	v_pk_fma_f16 v96, v100, v105, v100 op_sel:[0,0,1] op_sel_hi:[0,1,1]
	v_pk_fma_f16 v16, v101, v16, v101 op_sel:[0,0,1] op_sel_hi:[0,1,1]
	s_delay_alu instid0(VALU_DEP_4) | instskip(NEXT) | instid1(VALU_DEP_4)
	v_pk_fma_f16 v19, v20, v19, v92 op_sel:[1,0,0]
	v_pk_fma_f16 v92, v20, v98, v94 op_sel:[1,0,0]
	v_ashrrev_i32_e32 v94, v89, v102
	v_pk_fma_f16 v18, v20, v96, v18 op_sel:[1,0,0]
	v_pk_fma_f16 v20, v20, v16, v17 op_sel:[1,0,0]
	v_ashrrev_i32_e32 v102, v89, v103
	s_delay_alu instid0(VALU_DEP_4) | instskip(SKIP_1) | instid1(VALU_DEP_2)
	v_lshrrev_b32_e32 v16, 8, v94
	v_and_b32_e32 v17, 15, v94
	v_and_b32_e32 v16, 15, v16
	s_delay_alu instid0(VALU_DEP_2) | instskip(NEXT) | instid1(VALU_DEP_2)
	v_cvt_f16_u16_e32 v17, v17
	v_cvt_f16_u16_e32 v16, v16
	s_delay_alu instid0(VALU_DEP_1)
	v_pack_b32_f16 v96, v17, v16
	s_waitcnt vmcnt(4)
	v_add_co_u32 v16, vcc_lo, v8, s6
	s_waitcnt vmcnt(2)
	v_add_co_ci_u32_e32 v17, vcc_lo, 0, v163, vcc_lo
	global_load_b32 v98, v[16:17], off
	v_lshrrev_b32_e32 v16, 16, v94
	v_bfe_u32 v17, v94, 24, 4
	s_delay_alu instid0(VALU_DEP_2) | instskip(NEXT) | instid1(VALU_DEP_2)
	v_and_b32_e32 v16, 15, v16
	v_cvt_f16_u16_e32 v17, v17
	s_delay_alu instid0(VALU_DEP_2) | instskip(NEXT) | instid1(VALU_DEP_1)
	v_cvt_f16_u16_e32 v16, v16
	v_pack_b32_f16 v94, v16, v17
	s_waitcnt vmcnt(2)
	v_add_co_u32 v16, vcc_lo, v169, s6
	v_add_co_ci_u32_e32 v17, vcc_lo, 0, v6, vcc_lo
	global_load_b32 v99, v[16:17], off
	s_clause 0x1
	scratch_load_b32 v164, off, off offset:184
	scratch_load_b32 v4, off, off offset:188
	s_waitcnt vmcnt(3)
	v_ashrrev_i32_e32 v98, v89, v98
	s_delay_alu instid0(VALU_DEP_1) | instskip(NEXT) | instid1(VALU_DEP_1)
	v_and_b32_e32 v110, 15, v98
	v_cvt_f16_u16_e32 v110, v110
	s_waitcnt vmcnt(1)
	v_add_co_u32 v16, vcc_lo, v164, s6
	s_waitcnt vmcnt(0)
	v_add_co_ci_u32_e32 v17, vcc_lo, 0, v4, vcc_lo
	global_load_b32 v100, v[16:17], off
	s_clause 0x3
	scratch_load_b32 v185, off, off offset:180
	scratch_load_b32 v165, off, off offset:176
	;; [unrolled: 1-line block ×4, first 2 shown]
	s_waitcnt vmcnt(3)
	v_add_co_u32 v16, vcc_lo, v185, s6
	s_waitcnt vmcnt(2)
	v_add_co_ci_u32_e32 v17, vcc_lo, 0, v165, vcc_lo
	global_load_b32 v101, v[16:17], off
	v_lshrrev_b32_e32 v16, 8, v102
	v_and_b32_e32 v17, 15, v102
	s_delay_alu instid0(VALU_DEP_2) | instskip(NEXT) | instid1(VALU_DEP_2)
	v_and_b32_e32 v16, 15, v16
	v_cvt_f16_u16_e32 v17, v17
	s_delay_alu instid0(VALU_DEP_2) | instskip(NEXT) | instid1(VALU_DEP_1)
	v_cvt_f16_u16_e32 v16, v16
	v_pack_b32_f16 v103, v17, v16
	s_waitcnt vmcnt(1)
	v_add_co_u32 v16, vcc_lo, v160, s6
	v_add_co_ci_u32_e32 v17, vcc_lo, 0, v161, vcc_lo
	global_load_b32 v105, v[16:17], off
	s_clause 0x5
	scratch_load_b32 v128, off, off offset:412
	scratch_load_b32 v132, off, off offset:416
	scratch_load_b32 v133, off, off offset:420
	scratch_load_b32 v123, off, off offset:396
	scratch_load_b32 v124, off, off offset:400
	scratch_load_b32 v157, off, off offset:164
	s_waitcnt vmcnt(5)
	v_add_co_u32 v16, vcc_lo, v128, s6
	s_waitcnt vmcnt(4)
	v_add_co_ci_u32_e32 v17, vcc_lo, 0, v132, vcc_lo
	global_load_b32 v107, v[16:17], off
	v_lshrrev_b32_e32 v16, 16, v102
	v_bfe_u32 v17, v102, 24, 4
	s_delay_alu instid0(VALU_DEP_2) | instskip(NEXT) | instid1(VALU_DEP_2)
	v_and_b32_e32 v16, 15, v16
	v_cvt_f16_u16_e32 v17, v17
	s_delay_alu instid0(VALU_DEP_2) | instskip(NEXT) | instid1(VALU_DEP_1)
	v_cvt_f16_u16_e32 v16, v16
	v_pack_b32_f16 v16, v16, v17
	v_pk_fma_f16 v17, v93, v96, v93 op_sel:[0,0,1] op_sel_hi:[0,1,1]
	v_pk_fma_f16 v93, v93, v94, v93 op_sel:[0,0,1] op_sel_hi:[0,1,1]
	;; [unrolled: 1-line block ×3, first 2 shown]
	s_delay_alu instid0(VALU_DEP_4)
	v_pk_fma_f16 v95, v95, v16, v95 op_sel:[0,0,1] op_sel_hi:[0,1,1]
	s_waitcnt vmcnt(3)
	v_add_co_u32 v16, vcc_lo, v123, s6
	v_pk_fma_f16 v19, v21, v17, v19 op_sel_hi:[0,1,1]
	s_waitcnt vmcnt(2)
	v_add_co_ci_u32_e32 v17, vcc_lo, 0, v124, vcc_lo
	v_pk_fma_f16 v92, v21, v94, v92 op_sel_hi:[0,1,1]
	v_pk_fma_f16 v18, v21, v93, v18 op_sel_hi:[0,1,1]
	;; [unrolled: 1-line block ×3, first 2 shown]
	global_load_b32 v96, v[16:17], off
	v_ashrrev_i32_e32 v16, v89, v104
	s_delay_alu instid0(VALU_DEP_1) | instskip(SKIP_1) | instid1(VALU_DEP_2)
	v_lshrrev_b32_e32 v17, 8, v16
	v_and_b32_e32 v102, 15, v16
	v_and_b32_e32 v17, 15, v17
	s_delay_alu instid0(VALU_DEP_2) | instskip(NEXT) | instid1(VALU_DEP_2)
	v_cvt_f16_u16_e32 v102, v102
	v_cvt_f16_u16_e32 v17, v17
	s_delay_alu instid0(VALU_DEP_1) | instskip(SKIP_2) | instid1(VALU_DEP_3)
	v_pack_b32_f16 v17, v102, v17
	v_lshrrev_b32_e32 v102, 16, v16
	v_bfe_u32 v16, v16, 24, 4
	v_pk_fma_f16 v93, v106, v17, v106 op_sel:[0,0,1] op_sel_hi:[0,1,1]
	s_delay_alu instid0(VALU_DEP_3) | instskip(NEXT) | instid1(VALU_DEP_3)
	v_and_b32_e32 v102, 15, v102
	v_cvt_f16_u16_e32 v16, v16
	s_delay_alu instid0(VALU_DEP_3) | instskip(NEXT) | instid1(VALU_DEP_3)
	v_pk_fma_f16 v19, v21, v93, v19 op_sel:[1,0,0]
	v_cvt_f16_u16_e32 v102, v102
	v_ashrrev_i32_e32 v93, v89, v97
	s_delay_alu instid0(VALU_DEP_2) | instskip(NEXT) | instid1(VALU_DEP_1)
	v_pack_b32_f16 v16, v102, v16
	v_pk_fma_f16 v94, v106, v16, v106 op_sel:[0,0,1] op_sel_hi:[0,1,1]
	v_add_co_u32 v16, vcc_lo, v133, s6
	s_waitcnt vmcnt(2)
	v_add_co_ci_u32_e32 v17, vcc_lo, 0, v157, vcc_lo
	global_load_b32 v95, v[16:17], off
	s_clause 0x1
	scratch_load_b32 v125, off, off offset:404
	scratch_load_b32 v126, off, off offset:408
	v_pk_fma_f16 v18, v21, v94, v18 op_sel:[1,0,0]
	v_ashrrev_i32_e32 v106, v89, v109
	s_waitcnt vmcnt(3)
	v_ashrrev_i32_e32 v96, v89, v96
	s_waitcnt vmcnt(1)
	v_add_co_u32 v16, vcc_lo, v125, s6
	s_waitcnt vmcnt(0)
	v_add_co_ci_u32_e32 v17, vcc_lo, 0, v126, vcc_lo
	global_load_b32 v102, v[16:17], off
	s_clause 0x3
	scratch_load_b32 v119, off, off offset:380
	scratch_load_b32 v120, off, off offset:384
	;; [unrolled: 1-line block ×4, first 2 shown]
	s_waitcnt vmcnt(3)
	v_add_co_u32 v16, vcc_lo, v119, s6
	s_waitcnt vmcnt(2)
	v_add_co_ci_u32_e32 v17, vcc_lo, 0, v120, vcc_lo
	global_load_b32 v103, v[16:17], off
	v_lshrrev_b32_e32 v16, 8, v93
	v_and_b32_e32 v17, 15, v93
	s_delay_alu instid0(VALU_DEP_2) | instskip(NEXT) | instid1(VALU_DEP_2)
	v_and_b32_e32 v16, 15, v16
	v_cvt_f16_u16_e32 v17, v17
	s_delay_alu instid0(VALU_DEP_2) | instskip(NEXT) | instid1(VALU_DEP_1)
	v_cvt_f16_u16_e32 v16, v16
	v_pack_b32_f16 v94, v17, v16
	s_waitcnt vmcnt(2)
	v_add_co_u32 v16, vcc_lo, v121, s6
	s_waitcnt vmcnt(1)
	v_add_co_ci_u32_e32 v17, vcc_lo, 0, v122, vcc_lo
	global_load_b32 v97, v[16:17], off
	s_clause 0x5
	scratch_load_b32 v115, off, off offset:364
	scratch_load_b32 v116, off, off offset:368
	;; [unrolled: 1-line block ×6, first 2 shown]
	s_waitcnt vmcnt(5)
	v_add_co_u32 v16, vcc_lo, v115, s6
	s_waitcnt vmcnt(4)
	v_add_co_ci_u32_e32 v17, vcc_lo, 0, v116, vcc_lo
	global_load_b32 v104, v[16:17], off
	v_lshrrev_b32_e32 v16, 16, v93
	v_bfe_u32 v17, v93, 24, 4
	s_delay_alu instid0(VALU_DEP_2) | instskip(NEXT) | instid1(VALU_DEP_2)
	v_and_b32_e32 v16, 15, v16
	v_cvt_f16_u16_e32 v17, v17
	s_delay_alu instid0(VALU_DEP_2) | instskip(NEXT) | instid1(VALU_DEP_1)
	v_cvt_f16_u16_e32 v16, v16
	v_pack_b32_f16 v16, v16, v17
	v_pk_fma_f16 v17, v108, v94, v108 op_sel:[0,0,1] op_sel_hi:[0,1,1]
	s_delay_alu instid0(VALU_DEP_2) | instskip(SKIP_2) | instid1(VALU_DEP_3)
	v_pk_fma_f16 v93, v108, v16, v108 op_sel:[0,0,1] op_sel_hi:[0,1,1]
	s_waitcnt vmcnt(2)
	v_add_co_u32 v16, vcc_lo, v111, s6
	v_pk_fma_f16 v92, v21, v17, v92 op_sel:[1,0,0]
	s_waitcnt vmcnt(1)
	v_add_co_ci_u32_e32 v17, vcc_lo, 0, v112, vcc_lo
	v_pk_fma_f16 v20, v21, v93, v20 op_sel:[1,0,0]
	global_load_b32 v94, v[16:17], off
	v_lshrrev_b32_e32 v16, 8, v106
	v_and_b32_e32 v17, 15, v106
	s_delay_alu instid0(VALU_DEP_2) | instskip(NEXT) | instid1(VALU_DEP_2)
	v_and_b32_e32 v16, 15, v16
	v_cvt_f16_u16_e32 v17, v17
	s_delay_alu instid0(VALU_DEP_2) | instskip(NEXT) | instid1(VALU_DEP_1)
	v_cvt_f16_u16_e32 v16, v16
	v_pack_b32_f16 v108, v17, v16
	v_add_co_u32 v16, vcc_lo, v117, s6
	v_add_co_ci_u32_e32 v17, vcc_lo, 0, v118, vcc_lo
	global_load_b32 v109, v[16:17], off
	s_clause 0x1
	scratch_load_b32 v113, off, off offset:356
	scratch_load_b32 v114, off, off offset:360
	v_pk_fma_f16 v21, v99, v108, v99 op_sel:[0,0,1] op_sel_hi:[0,1,1]
	s_delay_alu instid0(VALU_DEP_1)
	v_pk_fma_f16 v19, v22, v21, v19 op_sel_hi:[0,1,1]
	v_ashrrev_i32_e32 v21, v89, v101
	s_waitcnt vmcnt(1)
	v_add_co_u32 v16, vcc_lo, v113, s6
	s_waitcnt vmcnt(0)
	v_add_co_ci_u32_e32 v17, vcc_lo, 0, v114, vcc_lo
	global_load_b32 v16, v[16:17], off
	v_lshrrev_b32_e32 v17, 16, v106
	v_bfe_u32 v106, v106, 24, 4
	s_delay_alu instid0(VALU_DEP_2) | instskip(NEXT) | instid1(VALU_DEP_2)
	v_and_b32_e32 v17, 15, v17
	v_cvt_f16_u16_e32 v106, v106
	s_delay_alu instid0(VALU_DEP_2) | instskip(NEXT) | instid1(VALU_DEP_1)
	v_cvt_f16_u16_e32 v17, v17
	v_pack_b32_f16 v17, v17, v106
	v_lshrrev_b32_e32 v106, 8, v98
	s_delay_alu instid0(VALU_DEP_2) | instskip(NEXT) | instid1(VALU_DEP_2)
	v_pk_fma_f16 v17, v99, v17, v99 op_sel:[0,0,1] op_sel_hi:[0,1,1]
	v_and_b32_e32 v106, 15, v106
	v_and_b32_e32 v99, 15, v96
	s_delay_alu instid0(VALU_DEP_3) | instskip(NEXT) | instid1(VALU_DEP_3)
	v_pk_fma_f16 v17, v22, v17, v18 op_sel_hi:[0,1,1]
	v_cvt_f16_u16_e32 v106, v106
	s_delay_alu instid0(VALU_DEP_3) | instskip(NEXT) | instid1(VALU_DEP_2)
	v_cvt_f16_u16_e32 v99, v99
	v_pack_b32_f16 v106, v110, v106
	v_lshrrev_b32_e32 v110, 16, v98
	v_bfe_u32 v98, v98, 24, 4
	s_delay_alu instid0(VALU_DEP_3) | instskip(NEXT) | instid1(VALU_DEP_3)
	v_pk_fma_f16 v93, v100, v106, v100 op_sel:[0,0,1] op_sel_hi:[0,1,1]
	v_and_b32_e32 v110, 15, v110
	s_delay_alu instid0(VALU_DEP_3) | instskip(NEXT) | instid1(VALU_DEP_3)
	v_cvt_f16_u16_e32 v98, v98
	v_pk_fma_f16 v18, v22, v93, v92 op_sel_hi:[0,1,1]
	v_lshrrev_b32_e32 v92, 8, v21
	v_and_b32_e32 v93, 15, v21
	v_cvt_f16_u16_e32 v110, v110
	s_delay_alu instid0(VALU_DEP_3) | instskip(NEXT) | instid1(VALU_DEP_3)
	v_and_b32_e32 v92, 15, v92
	v_cvt_f16_u16_e32 v93, v93
	s_delay_alu instid0(VALU_DEP_3) | instskip(NEXT) | instid1(VALU_DEP_3)
	v_pack_b32_f16 v98, v110, v98
	v_cvt_f16_u16_e32 v92, v92
	s_delay_alu instid0(VALU_DEP_2) | instskip(NEXT) | instid1(VALU_DEP_2)
	v_pk_fma_f16 v98, v100, v98, v100 op_sel:[0,0,1] op_sel_hi:[0,1,1]
	v_pack_b32_f16 v92, v93, v92
	v_lshrrev_b32_e32 v93, 16, v21
	v_bfe_u32 v21, v21, 24, 4
	s_delay_alu instid0(VALU_DEP_4) | instskip(NEXT) | instid1(VALU_DEP_4)
	v_pk_fma_f16 v20, v22, v98, v20 op_sel_hi:[0,1,1]
	v_pk_fma_f16 v92, v105, v92, v105 op_sel:[0,0,1] op_sel_hi:[0,1,1]
	s_delay_alu instid0(VALU_DEP_4) | instskip(NEXT) | instid1(VALU_DEP_4)
	v_and_b32_e32 v93, 15, v93
	v_cvt_f16_u16_e32 v21, v21
	s_delay_alu instid0(VALU_DEP_3) | instskip(NEXT) | instid1(VALU_DEP_3)
	v_pk_fma_f16 v19, v22, v92, v19 op_sel:[1,0,0]
	v_cvt_f16_u16_e32 v93, v93
	v_ashrrev_i32_e32 v92, v89, v107
	s_delay_alu instid0(VALU_DEP_2) | instskip(NEXT) | instid1(VALU_DEP_2)
	v_pack_b32_f16 v21, v93, v21
	v_lshrrev_b32_e32 v93, 8, v92
	v_and_b32_e32 v98, 15, v92
	s_delay_alu instid0(VALU_DEP_3) | instskip(NEXT) | instid1(VALU_DEP_3)
	v_pk_fma_f16 v21, v105, v21, v105 op_sel:[0,0,1] op_sel_hi:[0,1,1]
	v_and_b32_e32 v93, 15, v93
	s_delay_alu instid0(VALU_DEP_3) | instskip(NEXT) | instid1(VALU_DEP_3)
	v_cvt_f16_u16_e32 v98, v98
	v_pk_fma_f16 v17, v22, v21, v17 op_sel:[1,0,0]
	s_delay_alu instid0(VALU_DEP_3) | instskip(NEXT) | instid1(VALU_DEP_1)
	v_cvt_f16_u16_e32 v93, v93
	v_pack_b32_f16 v93, v98, v93
	v_lshrrev_b32_e32 v98, 16, v92
	v_bfe_u32 v92, v92, 24, 4
	s_delay_alu instid0(VALU_DEP_3) | instskip(NEXT) | instid1(VALU_DEP_3)
	v_pk_fma_f16 v21, v95, v93, v95 op_sel:[0,0,1] op_sel_hi:[0,1,1]
	v_and_b32_e32 v98, 15, v98
	s_delay_alu instid0(VALU_DEP_3) | instskip(NEXT) | instid1(VALU_DEP_3)
	v_cvt_f16_u16_e32 v92, v92
	v_pk_fma_f16 v18, v22, v21, v18 op_sel:[1,0,0]
	s_delay_alu instid0(VALU_DEP_3) | instskip(SKIP_1) | instid1(VALU_DEP_2)
	v_cvt_f16_u16_e32 v98, v98
	v_ashrrev_i32_e32 v21, v89, v103
	v_pack_b32_f16 v92, v98, v92
	v_lshrrev_b32_e32 v98, 8, v96
	s_delay_alu instid0(VALU_DEP_2) | instskip(NEXT) | instid1(VALU_DEP_2)
	v_pk_fma_f16 v92, v95, v92, v95 op_sel:[0,0,1] op_sel_hi:[0,1,1]
	v_and_b32_e32 v98, 15, v98
	s_delay_alu instid0(VALU_DEP_2) | instskip(SKIP_2) | instid1(VALU_DEP_4)
	v_pk_fma_f16 v20, v22, v92, v20 op_sel:[1,0,0]
	v_lshrrev_b32_e32 v22, 8, v21
	v_and_b32_e32 v92, 15, v21
	v_cvt_f16_u16_e32 v98, v98
	s_delay_alu instid0(VALU_DEP_3) | instskip(NEXT) | instid1(VALU_DEP_3)
	v_and_b32_e32 v22, 15, v22
	v_cvt_f16_u16_e32 v92, v92
	s_delay_alu instid0(VALU_DEP_3) | instskip(SKIP_3) | instid1(VALU_DEP_4)
	v_pack_b32_f16 v98, v99, v98
	v_lshrrev_b32_e32 v99, 16, v96
	v_bfe_u32 v96, v96, 24, 4
	v_cvt_f16_u16_e32 v22, v22
	v_pk_fma_f16 v93, v102, v98, v102 op_sel:[0,0,1] op_sel_hi:[0,1,1]
	s_delay_alu instid0(VALU_DEP_4) | instskip(NEXT) | instid1(VALU_DEP_4)
	v_and_b32_e32 v99, 15, v99
	v_cvt_f16_u16_e32 v96, v96
	s_delay_alu instid0(VALU_DEP_4)
	v_pack_b32_f16 v22, v92, v22
	v_lshrrev_b32_e32 v92, 16, v21
	v_bfe_u32 v21, v21, 24, 4
	v_pk_fma_f16 v19, v23, v93, v19 op_sel_hi:[0,1,1]
	v_cvt_f16_u16_e32 v99, v99
	v_pk_fma_f16 v22, v97, v22, v97 op_sel:[0,0,1] op_sel_hi:[0,1,1]
	v_and_b32_e32 v92, 15, v92
	v_cvt_f16_u16_e32 v21, v21
	s_delay_alu instid0(VALU_DEP_4) | instskip(NEXT) | instid1(VALU_DEP_4)
	v_pack_b32_f16 v96, v99, v96
	v_pk_fma_f16 v18, v23, v22, v18 op_sel_hi:[0,1,1]
	s_delay_alu instid0(VALU_DEP_4) | instskip(SKIP_1) | instid1(VALU_DEP_4)
	v_cvt_f16_u16_e32 v92, v92
	v_ashrrev_i32_e32 v22, v89, v104
	v_pk_fma_f16 v95, v102, v96, v102 op_sel:[0,0,1] op_sel_hi:[0,1,1]
	s_delay_alu instid0(VALU_DEP_3) | instskip(NEXT) | instid1(VALU_DEP_3)
	v_pack_b32_f16 v21, v92, v21
	v_lshrrev_b32_e32 v92, 8, v22
	v_and_b32_e32 v93, 15, v22
	s_delay_alu instid0(VALU_DEP_4) | instskip(NEXT) | instid1(VALU_DEP_4)
	v_pk_fma_f16 v17, v23, v95, v17 op_sel_hi:[0,1,1]
	v_pk_fma_f16 v21, v97, v21, v97 op_sel:[0,0,1] op_sel_hi:[0,1,1]
	s_delay_alu instid0(VALU_DEP_4) | instskip(NEXT) | instid1(VALU_DEP_4)
	v_and_b32_e32 v92, 15, v92
	v_cvt_f16_u16_e32 v93, v93
	s_delay_alu instid0(VALU_DEP_3) | instskip(NEXT) | instid1(VALU_DEP_3)
	v_pk_fma_f16 v20, v23, v21, v20 op_sel_hi:[0,1,1]
	v_cvt_f16_u16_e32 v92, v92
	s_delay_alu instid0(VALU_DEP_1) | instskip(SKIP_2) | instid1(VALU_DEP_3)
	v_pack_b32_f16 v92, v93, v92
	v_lshrrev_b32_e32 v93, 16, v22
	v_bfe_u32 v22, v22, 24, 4
	v_pk_fma_f16 v21, v109, v92, v109 op_sel:[0,0,1] op_sel_hi:[0,1,1]
	s_delay_alu instid0(VALU_DEP_3) | instskip(NEXT) | instid1(VALU_DEP_3)
	v_and_b32_e32 v93, 15, v93
	v_cvt_f16_u16_e32 v22, v22
	s_delay_alu instid0(VALU_DEP_2) | instskip(NEXT) | instid1(VALU_DEP_1)
	v_cvt_f16_u16_e32 v93, v93
	v_pack_b32_f16 v22, v93, v22
	v_ashrrev_i32_e32 v93, v89, v94
	s_delay_alu instid0(VALU_DEP_2) | instskip(NEXT) | instid1(VALU_DEP_2)
	v_pk_fma_f16 v22, v109, v22, v109 op_sel:[0,0,1] op_sel_hi:[0,1,1]
	v_lshrrev_b32_e32 v94, 8, v93
	v_and_b32_e32 v95, 15, v93
	s_delay_alu instid0(VALU_DEP_2) | instskip(NEXT) | instid1(VALU_DEP_2)
	v_and_b32_e32 v94, 15, v94
	v_cvt_f16_u16_e32 v95, v95
	s_delay_alu instid0(VALU_DEP_2) | instskip(NEXT) | instid1(VALU_DEP_1)
	v_cvt_f16_u16_e32 v94, v94
	v_pack_b32_f16 v94, v95, v94
	v_lshrrev_b32_e32 v95, 16, v93
	v_bfe_u32 v93, v93, 24, 4
	s_delay_alu instid0(VALU_DEP_2) | instskip(NEXT) | instid1(VALU_DEP_2)
	v_and_b32_e32 v95, 15, v95
	v_cvt_f16_u16_e32 v93, v93
	s_delay_alu instid0(VALU_DEP_2) | instskip(NEXT) | instid1(VALU_DEP_1)
	v_cvt_f16_u16_e32 v95, v95
	v_pack_b32_f16 v93, v95, v93
	v_pk_fma_f16 v95, v23, v21, v19 op_sel:[1,0,0]
	s_waitcnt vmcnt(0)
	v_pk_fma_f16 v92, v16, v94, v16 op_sel:[0,0,1] op_sel_hi:[0,1,1]
	s_delay_alu instid0(VALU_DEP_3) | instskip(SKIP_1) | instid1(VALU_DEP_3)
	v_pk_fma_f16 v16, v16, v93, v16 op_sel:[0,0,1] op_sel_hi:[0,1,1]
	v_pk_fma_f16 v94, v23, v22, v17 op_sel:[1,0,0]
	v_pk_fma_f16 v97, v23, v92, v18 op_sel:[1,0,0]
	s_delay_alu instid0(VALU_DEP_3)
	v_pk_fma_f16 v96, v23, v16, v20 op_sel:[1,0,0]
	s_clause 0x7
	scratch_load_b32 v16, off, off offset:496
	scratch_load_b32 v17, off, off offset:568
	;; [unrolled: 1-line block ×8, first 2 shown]
	s_waitcnt vmcnt(6)
	v_fmac_f32_e32 v90, v16, v17
	scratch_load_b32 v16, off, off          ; 4-byte Folded Reload
	s_waitcnt vmcnt(0)
	v_add_co_u32 v16, vcc_lo, v16, s8
	scratch_store_b32 off, v16, off         ; 4-byte Folded Spill
	scratch_load_b32 v16, off, off offset:4 ; 4-byte Folded Reload
	s_waitcnt vmcnt(0)
	v_add_co_ci_u32_e32 v16, vcc_lo, 0, v16, vcc_lo
	v_add_co_u32 v140, vcc_lo, v140, s4
	v_add_co_ci_u32_e32 v141, vcc_lo, s5, v141, vcc_lo
	v_add_co_u32 v189, vcc_lo, v189, s9
	;; [unrolled: 2-line block ×6, first 2 shown]
	v_add_co_ci_u32_e32 v143, vcc_lo, 0, v143, vcc_lo
	s_clause 0x1
	scratch_store_b32 off, v16, off offset:4
	scratch_store_b32 off, v142, off offset:124
	scratch_load_b32 v142, off, off offset:324 ; 4-byte Folded Reload
	scratch_store_b32 off, v143, off offset:128 ; 4-byte Folded Spill
	scratch_load_b32 v143, off, off offset:320 ; 4-byte Folded Reload
	s_waitcnt vmcnt(0)
	v_add_co_u32 v143, vcc_lo, v143, s8
	v_add_co_ci_u32_e32 v142, vcc_lo, 0, v142, vcc_lo
	v_add_co_u32 v129, vcc_lo, v129, s8
	v_add_co_ci_u32_e32 v130, vcc_lo, 0, v130, vcc_lo
	;; [unrolled: 2-line block ×4, first 2 shown]
	s_clause 0x3
	scratch_store_b32 off, v144, off offset:132
	scratch_store_b32 off, v145, off offset:136
	;; [unrolled: 1-line block ×4, first 2 shown]
	scratch_load_b32 v147, off, off offset:336 ; 4-byte Folded Reload
	s_waitcnt vmcnt(0)
	v_add_co_u32 v147, vcc_lo, v147, s9
	v_add_co_ci_u32_e32 v146, vcc_lo, 0, v148, vcc_lo
	v_add_co_u32 v149, vcc_lo, v149, s9
	v_add_co_ci_u32_e32 v150, vcc_lo, 0, v150, vcc_lo
	scratch_store_b32 off, v149, off offset:148 ; 4-byte Folded Spill
	scratch_load_b32 v149, off, off offset:564 ; 4-byte Folded Reload
	scratch_store_b32 off, v150, off offset:152 ; 4-byte Folded Spill
	scratch_load_b32 v150, off, off offset:560 ; 4-byte Folded Reload
	s_waitcnt vmcnt(1)
	v_add_co_u32 v149, vcc_lo, v149, s9
	s_waitcnt vmcnt(0)
	v_add_co_ci_u32_e32 v150, vcc_lo, 0, v150, vcc_lo
	v_add_co_u32 v153, vcc_lo, v153, s9
	v_add_co_ci_u32_e32 v154, vcc_lo, 0, v154, vcc_lo
	scratch_store_b32 off, v153, off offset:156 ; 4-byte Folded Spill
	scratch_load_b32 v153, off, off offset:556 ; 4-byte Folded Reload
	scratch_store_b32 off, v154, off offset:160 ; 4-byte Folded Spill
	scratch_load_b32 v154, off, off offset:552 ; 4-byte Folded Reload
	s_waitcnt vmcnt(1)
	v_add_co_u32 v153, vcc_lo, v153, s9
	s_waitcnt vmcnt(0)
	v_add_co_ci_u32_e32 v154, vcc_lo, 0, v154, vcc_lo
	v_add_co_u32 v127, vcc_lo, v127, s8
	v_add_co_ci_u32_e32 v131, vcc_lo, 0, v131, vcc_lo
	v_add_co_u32 v111, vcc_lo, v111, s9
	;; [unrolled: 2-line block ×25, first 2 shown]
	v_add_co_ci_u32_e32 v158, vcc_lo, 0, v158, vcc_lo
	s_clause 0x3
	scratch_store_b32 off, v184, off offset:260
	scratch_store_b32 off, v134, off offset:264
	;; [unrolled: 1-line block ×4, first 2 shown]
	v_mov_b32_e32 v158, v241
	s_clause 0x6
	scratch_store_b32 off, v12, off offset:228
	scratch_store_b32 off, v176, off offset:232
	;; [unrolled: 1-line block ×7, first 2 shown]
	v_add_co_u32 v158, vcc_lo, v158, s9
	v_add_co_ci_u32_e32 v155, vcc_lo, 0, v155, vcc_lo
	v_add_co_u32 v188, vcc_lo, v188, s9
	v_add_co_ci_u32_e32 v151, vcc_lo, 0, v151, vcc_lo
	;; [unrolled: 2-line block ×3, first 2 shown]
	s_clause 0x3
	scratch_store_b32 off, v135, off offset:276
	scratch_store_b32 off, v155, off offset:280
	;; [unrolled: 1-line block ×4, first 2 shown]
	v_add_co_u32 v188, vcc_lo, v192, s9
	v_add_co_ci_u32_e32 v183, vcc_lo, 0, v193, vcc_lo
	scratch_store_b32 off, v190, off offset:292 ; 4-byte Folded Spill
	v_add_co_u32 v190, vcc_lo, v194, s9
	v_add_co_ci_u32_e32 v192, vcc_lo, 0, v195, vcc_lo
	v_add_co_u32 v180, vcc_lo, v196, s9
	v_add_co_ci_u32_e32 v184, vcc_lo, 0, v197, vcc_lo
	;; [unrolled: 2-line block ×8, first 2 shown]
	v_add_co_u32 v208, vcc_lo, v210, s9
	v_mov_b32_e32 v210, v214
	v_add_co_ci_u32_e32 v209, vcc_lo, 0, v211, vcc_lo
	v_add_co_u32 v206, vcc_lo, v212, s9
	v_mov_b32_e32 v212, v215
	v_mov_b32_e32 v211, v43
	v_add_co_ci_u32_e32 v203, vcc_lo, 0, v213, vcc_lo
	v_mov_b32_e32 v213, v251
	v_add_co_u32 v210, vcc_lo, v210, s9
	v_mov_b32_e32 v214, v218
	v_add_co_ci_u32_e32 v212, vcc_lo, 0, v212, vcc_lo
	v_mov_b32_e32 v215, v219
	v_add_co_u32 v211, vcc_lo, v211, s9
	v_add_co_ci_u32_e32 v213, vcc_lo, 0, v213, vcc_lo
	v_add_co_u32 v214, vcc_lo, v214, s9
	s_delay_alu instid0(VALU_DEP_4)
	v_add_co_ci_u32_e32 v215, vcc_lo, 0, v215, vcc_lo
	v_add_co_u32 v216, vcc_lo, v216, s9
	v_add_co_ci_u32_e32 v220, vcc_lo, 0, v220, vcc_lo
	v_add_co_u32 v200, vcc_lo, v222, s9
	;; [unrolled: 2-line block ×15, first 2 shown]
	v_mov_b32_e32 v219, v252
	v_add_co_ci_u32_e32 v248, vcc_lo, 0, v248, vcc_lo
	v_mov_b32_e32 v218, v61
	v_add_co_u32 v246, vcc_lo, v250, s9
	v_add_co_ci_u32_e32 v249, vcc_lo, 0, v249, vcc_lo
	v_add_co_u32 v219, vcc_lo, v219, s9
	s_delay_alu instid0(VALU_DEP_4)
	v_add_co_ci_u32_e32 v218, vcc_lo, 0, v218, vcc_lo
	v_add_co_u32 v250, vcc_lo, v254, s9
	v_add_co_ci_u32_e32 v253, vcc_lo, 0, v253, vcc_lo
	v_add_co_u32 v221, vcc_lo, v221, s9
	;; [unrolled: 2-line block ×6, first 2 shown]
	v_mov_b32_e32 v61, v29
	v_add_co_ci_u32_e32 v69, vcc_lo, 0, v69, vcc_lo
	v_add_co_u32 v67, vcc_lo, v65, s9
	v_add_co_ci_u32_e32 v63, vcc_lo, 0, v63, vcc_lo
	s_delay_alu instid0(VALU_DEP_4)
	v_add_co_u32 v61, vcc_lo, v61, s9
	v_add_co_ci_u32_e32 v68, vcc_lo, 0, v68, vcc_lo
	v_add_co_u32 v65, vcc_lo, v25, s9
	v_add_co_ci_u32_e32 v70, vcc_lo, 0, v70, vcc_lo
	v_mov_b32_e32 v29, v31
	v_add_co_u32 v26, vcc_lo, v26, s9
	v_add_co_ci_u32_e32 v27, vcc_lo, 0, v27, vcc_lo
	v_mov_b32_e32 v243, v36
	v_add_co_u32 v28, vcc_lo, v28, s9
	v_add_co_ci_u32_e32 v29, vcc_lo, 0, v29, vcc_lo
	v_add_co_u32 v30, vcc_lo, v30, s9
	s_delay_alu instid0(VALU_DEP_4)
	v_add_co_ci_u32_e32 v243, vcc_lo, 0, v243, vcc_lo
	v_add_co_u32 v32, vcc_lo, v32, s9
	v_mov_b32_e32 v36, v50
	v_add_co_ci_u32_e32 v33, vcc_lo, 0, v33, vcc_lo
	v_add_co_u32 v34, vcc_lo, v34, s9
	v_mov_b32_e32 v252, v39
	v_add_co_ci_u32_e32 v35, vcc_lo, 0, v35, vcc_lo
	v_mov_b32_e32 v39, v40
	v_add_co_u32 v36, vcc_lo, v36, s9
	v_mov_b32_e32 v251, v41
	v_add_co_ci_u32_e32 v37, vcc_lo, 0, v37, vcc_lo
	v_add_co_u32 v252, vcc_lo, v252, s9
	v_add_co_ci_u32_e32 v39, vcc_lo, 0, v39, vcc_lo
	s_delay_alu instid0(VALU_DEP_4)
	v_add_co_u32 v251, vcc_lo, v251, s9
	v_add_co_ci_u32_e32 v40, vcc_lo, 0, v42, vcc_lo
	v_add_co_u32 v24, vcc_lo, v24, s9
	scratch_load_b32 v25, off, off offset:424 ; 4-byte Folded Reload
	v_add_co_ci_u32_e32 v43, vcc_lo, 0, v44, vcc_lo
	scratch_store_b32 off, v178, off offset:256 ; 4-byte Folded Spill
	s_clause 0x1
	scratch_load_b32 v50, off, off offset:452
	scratch_load_b32 v178, off, off offset:512
	v_add_co_u32 v42, vcc_lo, v45, s9
	scratch_load_b32 v45, off, off offset:428 ; 4-byte Folded Reload
	v_add_co_ci_u32_e32 v44, vcc_lo, 0, v46, vcc_lo
	v_add_co_u32 v41, vcc_lo, v47, s9
	v_mov_b32_e32 v31, v53
	s_clause 0x6
	scratch_store_b32 off, v157, off offset:164
	scratch_store_b32 off, v160, off offset:168
	;; [unrolled: 1-line block ×7, first 2 shown]
	v_mov_b32_e32 v155, v0
	s_clause 0x1
	scratch_load_b32 v0, off, off offset:460
	scratch_load_b32 v174, off, off offset:516
	s_clause 0x7
	scratch_store_b32 off, v165, off offset:176
	scratch_store_b32 off, v169, off offset:196
	;; [unrolled: 1-line block ×8, first 2 shown]
	v_mov_b32_e32 v10, v85
	scratch_store_b32 off, v170, off offset:224 ; 4-byte Folded Spill
	v_dual_mov_b32 v151, v152 :: v_dual_mov_b32 v152, v182
	v_mov_b32_e32 v182, v187
	v_mov_b32_e32 v6, v82
	;; [unrolled: 1-line block ×3, first 2 shown]
	s_clause 0x3
	scratch_load_b32 v165, off, off offset:524
	scratch_load_b32 v161, off, off offset:520
	;; [unrolled: 1-line block ×4, first 2 shown]
	s_waitcnt vmcnt(9)
	v_add_co_ci_u32_e32 v25, vcc_lo, 0, v25, vcc_lo
	s_waitcnt vmcnt(6)
	v_add_co_u32 v45, vcc_lo, v45, s9
	v_add_co_ci_u32_e32 v47, vcc_lo, 0, v48, vcc_lo
	v_add_co_u32 v38, vcc_lo, v38, s9
	v_add_co_ci_u32_e32 v49, vcc_lo, 0, v49, vcc_lo
	;; [unrolled: 2-line block ×7, first 2 shown]
	scratch_load_b32 v159, off, off offset:432 ; 4-byte Folded Reload
	v_add_co_u32 v4, vcc_lo, v5, s9
	v_add_co_ci_u32_e32 v164, vcc_lo, 0, v168, vcc_lo
	s_clause 0x3
	scratch_load_b32 v168, off, off offset:436
	scratch_load_b32 v1, off, off offset:464
	;; [unrolled: 1-line block ×4, first 2 shown]
	s_waitcnt vmcnt(4)
	v_add_co_u32 v159, vcc_lo, v159, s9
	s_waitcnt vmcnt(3)
	v_add_co_ci_u32_e32 v168, vcc_lo, 0, v168, vcc_lo
	v_add_co_u32 v5, vcc_lo, v7, s9
	scratch_load_b32 v7, off, off offset:480 ; 4-byte Folded Reload
	v_add_co_ci_u32_e32 v160, vcc_lo, 0, v162, vcc_lo
	scratch_load_b32 v162, off, off offset:440 ; 4-byte Folded Reload
	s_waitcnt vmcnt(0)
	v_add_co_u32 v162, vcc_lo, v162, s9
	v_add_co_ci_u32_e32 v8, vcc_lo, 0, v9, vcc_lo
	v_add_co_u32 v163, vcc_lo, v167, s9
	scratch_load_b32 v167, off, off offset:444 ; 4-byte Folded Reload
	v_add_co_ci_u32_e32 v169, vcc_lo, 0, v173, vcc_lo
	scratch_load_b32 v173, off, off offset:448 ; 4-byte Folded Reload
	s_waitcnt vmcnt(1)
	v_add_co_u32 v167, vcc_lo, v167, s9
	s_waitcnt vmcnt(0)
	v_add_co_ci_u32_e32 v173, vcc_lo, 0, v173, vcc_lo
	v_add_co_u32 v166, vcc_lo, v171, s9
	v_add_co_ci_u32_e32 v12, vcc_lo, 0, v13, vcc_lo
	v_add_co_u32 v13, vcc_lo, v56, s9
	;; [unrolled: 2-line block ×3, first 2 shown]
	scratch_load_b32 v15, off, off offset:488 ; 4-byte Folded Reload
	v_add_co_ci_u32_e32 v172, vcc_lo, 0, v177, vcc_lo
	s_clause 0x1
	scratch_load_b32 v177, off, off offset:456
	scratch_load_b32 v14, off, off offset:484
	s_waitcnt vmcnt(1)
	v_add_co_u32 v177, vcc_lo, v177, s9
	v_add_co_ci_u32_e32 v71, vcc_lo, 0, v72, vcc_lo
	v_add_co_u32 v170, vcc_lo, v175, s9
	v_add_co_ci_u32_e32 v73, vcc_lo, 0, v74, vcc_lo
	;; [unrolled: 2-line block ×4, first 2 shown]
	scratch_load_b32 v181, off, off offset:468 ; 4-byte Folded Reload
	v_add_co_u32 v0, vcc_lo, v0, s9
	v_add_co_ci_u32_e32 v1, vcc_lo, 0, v1, vcc_lo
	s_waitcnt vmcnt(0)
	v_add_co_u32 v181, vcc_lo, v181, s9
	v_add_co_ci_u32_e32 v76, vcc_lo, 0, v79, vcc_lo
	v_add_co_u32 v2, vcc_lo, v2, s9
	v_add_co_ci_u32_e32 v3, vcc_lo, 0, v3, vcc_lo
	;; [unrolled: 2-line block ×6, first 2 shown]
	v_add_co_u32 v82, vcc_lo, v87, s9
	s_clause 0x3
	scratch_load_b32 v79, off, off offset:544
	scratch_load_b32 v84, off, off offset:540
	;; [unrolled: 1-line block ×4, first 2 shown]
	v_add_co_ci_u32_e32 v86, vcc_lo, 0, v88, vcc_lo
	v_add_co_u32 v14, vcc_lo, v14, s9
	v_add_co_ci_u32_e32 v15, vcc_lo, 0, v15, vcc_lo
	v_add_co_u32 v88, vcc_lo, v91, s9
	;; [unrolled: 2-line block ×3, first 2 shown]
	scratch_load_b32 v179, off, off offset:492 ; 4-byte Folded Reload
	v_add_co_ci_u32_e32 v85, vcc_lo, 0, v85, vcc_lo
	s_waitcnt vmcnt(4)
	v_add_co_u32 v79, vcc_lo, v79, s9
	s_waitcnt vmcnt(3)
	v_add_co_ci_u32_e32 v84, vcc_lo, 0, v84, vcc_lo
	v_add_co_u32 v187, vcc_lo, v187, s9
	s_waitcnt vmcnt(2)
	v_add_co_ci_u32_e32 v83, vcc_lo, 0, v83, vcc_lo
	s_waitcnt vmcnt(1)
	v_add_co_u32 v80, vcc_lo, v80, s9
	v_add_co_ci_u32_e32 v165, vcc_lo, 0, v165, vcc_lo
	s_waitcnt vmcnt(0)
	v_add_co_u32 v179, vcc_lo, v179, s9
	v_add_co_ci_u32_e32 v161, vcc_lo, 0, v161, vcc_lo
	v_add_co_u32 v174, vcc_lo, v174, s9
	v_add_co_ci_u32_e32 v178, vcc_lo, 0, v178, vcc_lo
	;; [unrolled: 2-line block ×4, first 2 shown]
	s_cbranch_scc1 .LBB27_29
; %bb.28:                               ;   in Loop: Header=BB27_15 Depth=1
	s_clause 0x18
	scratch_store_b32 off, v133, off offset:420
	scratch_store_b32 off, v132, off offset:416
	;; [unrolled: 1-line block ×25, first 2 shown]
	scratch_load_b32 v18, off, off offset:500 ; 4-byte Folded Reload
	v_dual_mov_b32 v148, v97 :: v_dual_mov_b32 v145, v96
	v_mov_b32_e32 v144, v95
	scratch_store_b32 off, v90, off offset:496 ; 4-byte Folded Spill
	s_branch .LBB27_15
.LBB27_29:
	s_clause 0x4
	scratch_load_b32 v32, off, off offset:680
	scratch_load_b32 v33, off, off offset:684
	;; [unrolled: 1-line block ×5, first 2 shown]
.LBB27_30:
	s_waitcnt vmcnt(4)
	v_or_b32_e32 v0, s14, v32
	s_cmp_lg_u64 s[72:73], 0
	s_cselect_b32 s3, -1, 0
	s_delay_alu instid0(VALU_DEP_1) | instskip(SKIP_1) | instid1(SALU_CYCLE_1)
	v_cmp_eq_u32_e32 vcc_lo, 0, v0
	s_and_b32 s4, vcc_lo, s3
	s_and_saveexec_b32 s3, s4
	s_cbranch_execz .LBB27_32
; %bb.31:
	s_lshl_b64 s[4:5], s[86:87], 2
	s_waitcnt vmcnt(0)
	v_max_f32_e32 v0, v26, v26
	s_add_u32 s4, s72, s4
	s_addc_u32 s5, s73, s5
	s_load_b32 s4, s[4:5], 0x0
	s_waitcnt lgkmcnt(0)
	v_max_f32_e64 v1, s4, s4
	s_delay_alu instid0(VALU_DEP_1) | instskip(NEXT) | instid1(VALU_DEP_1)
	v_max_f32_e32 v0, v1, v0
	v_sub_f32_e32 v1, s4, v0
	s_delay_alu instid0(VALU_DEP_1) | instskip(NEXT) | instid1(VALU_DEP_1)
	v_mul_f32_e32 v3, 0x3fb8aa3b, v1
	v_fma_f32 v5, 0x3fb8aa3b, v1, -v3
	v_rndne_f32_e32 v6, v3
	s_delay_alu instid0(VALU_DEP_2) | instskip(NEXT) | instid1(VALU_DEP_2)
	v_dual_fmac_f32 v5, 0x32a5705f, v1 :: v_dual_sub_f32 v2, v26, v0
	v_dual_sub_f32 v3, v3, v6 :: v_dual_mov_b32 v26, v0
	s_delay_alu instid0(VALU_DEP_2) | instskip(SKIP_1) | instid1(VALU_DEP_2)
	v_mul_f32_e32 v4, 0x3fb8aa3b, v2
	v_cmp_ngt_f32_e32 vcc_lo, 0xc2ce8ed0, v1
	v_fma_f32 v7, 0x3fb8aa3b, v2, -v4
	v_rndne_f32_e32 v8, v4
	s_delay_alu instid0(VALU_DEP_1) | instskip(SKIP_3) | instid1(VALU_DEP_4)
	v_dual_fmac_f32 v7, 0x32a5705f, v2 :: v_dual_sub_f32 v4, v4, v8
	v_add_f32_e32 v3, v3, v5
	v_cvt_i32_f32_e32 v5, v6
	v_cvt_i32_f32_e32 v6, v8
	v_add_f32_e32 v4, v4, v7
	s_delay_alu instid0(VALU_DEP_4) | instskip(NEXT) | instid1(VALU_DEP_1)
	v_exp_f32_e32 v3, v3
	v_exp_f32_e32 v4, v4
	s_waitcnt_depctr 0xfff
	v_ldexp_f32 v3, v3, v5
	v_ldexp_f32 v4, v4, v6
	s_delay_alu instid0(VALU_DEP_2) | instskip(SKIP_1) | instid1(VALU_DEP_3)
	v_cndmask_b32_e32 v3, 0, v3, vcc_lo
	v_cmp_ngt_f32_e32 vcc_lo, 0xc2ce8ed0, v2
	v_cndmask_b32_e32 v4, 0, v4, vcc_lo
	v_cmp_nlt_f32_e32 vcc_lo, 0x42b17218, v1
	s_delay_alu instid0(VALU_DEP_4) | instskip(SKIP_1) | instid1(VALU_DEP_4)
	v_cndmask_b32_e32 v1, 0x7f800000, v3, vcc_lo
	v_cmp_nlt_f32_e32 vcc_lo, 0x42b17218, v2
	v_cndmask_b32_e32 v2, 0x7f800000, v4, vcc_lo
	v_cmp_eq_u32_e32 vcc_lo, 0, v33
	s_delay_alu instid0(VALU_DEP_2) | instskip(SKIP_1) | instid1(VALU_DEP_2)
	v_cvt_f16_f32_e32 v3, v2
	v_cndmask_b32_e32 v1, 0, v1, vcc_lo
	v_pk_mul_f16 v95, v3, v95 op_sel_hi:[0,1]
	s_delay_alu instid0(VALU_DEP_2) | instskip(SKIP_3) | instid1(VALU_DEP_4)
	v_fmac_f32_e32 v1, v90, v2
	v_pk_mul_f16 v94, v3, v94 op_sel_hi:[0,1]
	v_pk_mul_f16 v97, v3, v97 op_sel_hi:[0,1]
	;; [unrolled: 1-line block ×3, first 2 shown]
	v_mov_b32_e32 v90, v1
.LBB27_32:
	s_or_b32 exec_lo, exec_lo, s3
	s_and_saveexec_b32 s3, s2
	s_cbranch_execz .LBB27_34
; %bb.33:
	v_dual_mov_b32 v0, 0xfeffffff :: v_dual_mov_b32 v1, 0
	s_waitcnt vmcnt(1)
	v_add_nc_u32_e32 v2, 0x800, v15
	ds_store_2addr_b32 v2, v0, v1 offset1:32
.LBB27_34:
	s_or_b32 exec_lo, exec_lo, s3
	s_waitcnt vmcnt(3)
	v_cmp_eq_u32_e32 vcc_lo, 0, v33
	v_lshlrev_b32_e32 v2, 2, v32
	s_waitcnt vmcnt(0) lgkmcnt(0)
	s_waitcnt_vscnt null, 0x0
	s_barrier
	buffer_gl0_inv
	s_and_saveexec_b32 s2, vcc_lo
	s_cbranch_execz .LBB27_36
; %bb.35:
	ds_store_b32 v2, v26 offset:2048
.LBB27_36:
	s_or_b32 exec_lo, exec_lo, s2
	v_mbcnt_lo_u32_b32 v8, -1, 0
	s_waitcnt lgkmcnt(0)
	s_barrier
	buffer_gl0_inv
	ds_load_b32 v0, v15 offset:2048
	v_xor_b32_e32 v1, 16, v8
	v_xor_b32_e32 v4, 8, v8
	;; [unrolled: 1-line block ×5, first 2 shown]
	v_cmp_gt_i32_e64 s2, 32, v1
	v_lshlrev_b32_e32 v13, 3, v33
	s_delay_alu instid0(VALU_DEP_2) | instskip(SKIP_1) | instid1(VALU_DEP_3)
	v_cndmask_b32_e64 v1, v8, v1, s2
	v_cmp_gt_i32_e64 s2, 32, v4
	v_lshl_add_u32 v13, v32, 9, v13
	s_delay_alu instid0(VALU_DEP_3) | instskip(NEXT) | instid1(VALU_DEP_3)
	v_lshlrev_b32_e32 v3, 2, v1
	v_cndmask_b32_e64 v4, v8, v4, s2
	v_cmp_gt_i32_e64 s2, 32, v5
	s_waitcnt lgkmcnt(0)
	ds_bpermute_b32 v1, v3, v0
	v_max_f32_e32 v0, v0, v0
	v_cndmask_b32_e64 v5, v8, v5, s2
	v_cmp_gt_i32_e64 s2, 32, v6
	v_lshlrev_b32_e32 v4, 2, v4
	s_delay_alu instid0(VALU_DEP_3) | instskip(NEXT) | instid1(VALU_DEP_3)
	v_lshlrev_b32_e32 v5, 2, v5
	v_cndmask_b32_e64 v6, v8, v6, s2
	v_cmp_gt_i32_e64 s2, 32, v7
	s_delay_alu instid0(VALU_DEP_2) | instskip(NEXT) | instid1(VALU_DEP_2)
	v_lshlrev_b32_e32 v6, 2, v6
	v_cndmask_b32_e64 v7, v8, v7, s2
	s_waitcnt lgkmcnt(0)
	v_max_f32_e32 v1, v1, v1
	s_delay_alu instid0(VALU_DEP_1) | instskip(SKIP_3) | instid1(VALU_DEP_1)
	v_max_f32_e32 v0, v0, v1
	ds_bpermute_b32 v1, v4, v0
	s_waitcnt lgkmcnt(0)
	v_max_f32_e32 v1, v1, v1
	v_max_f32_e32 v0, v0, v1
	ds_bpermute_b32 v1, v5, v0
	s_waitcnt lgkmcnt(0)
	v_max_f32_e32 v1, v1, v1
	s_delay_alu instid0(VALU_DEP_1) | instskip(SKIP_3) | instid1(VALU_DEP_1)
	v_max_f32_e32 v0, v0, v1
	ds_bpermute_b32 v1, v6, v0
	s_waitcnt lgkmcnt(0)
	v_dual_max_f32 v8, v1, v1 :: v_dual_lshlrev_b32 v1, 2, v7
	v_max_f32_e32 v0, v0, v8
	ds_bpermute_b32 v7, v1, v0
	s_waitcnt lgkmcnt(0)
	v_max_f32_e32 v7, v7, v7
	s_delay_alu instid0(VALU_DEP_1) | instskip(NEXT) | instid1(VALU_DEP_1)
	v_max_f32_e32 v0, v0, v7
	v_sub_f32_e32 v7, v26, v0
	s_delay_alu instid0(VALU_DEP_1) | instskip(SKIP_1) | instid1(VALU_DEP_2)
	v_mul_f32_e32 v8, 0x3fb8aa3b, v7
	v_cmp_ngt_f32_e64 s2, 0xc2ce8ed0, v7
	v_fma_f32 v9, 0x3fb8aa3b, v7, -v8
	v_rndne_f32_e32 v10, v8
	s_delay_alu instid0(VALU_DEP_1) | instskip(NEXT) | instid1(VALU_DEP_1)
	v_dual_fmamk_f32 v9, v7, 0x32a5705f, v9 :: v_dual_sub_f32 v8, v8, v10
	v_add_f32_e32 v8, v8, v9
	v_cvt_i32_f32_e32 v9, v10
	s_delay_alu instid0(VALU_DEP_2) | instskip(SKIP_2) | instid1(VALU_DEP_1)
	v_exp_f32_e32 v8, v8
	s_waitcnt_depctr 0xfff
	v_ldexp_f32 v8, v8, v9
	v_cndmask_b32_e64 v8, 0, v8, s2
	v_cmp_nlt_f32_e64 s2, 0x42b17218, v7
	s_delay_alu instid0(VALU_DEP_1) | instskip(NEXT) | instid1(VALU_DEP_1)
	v_cndmask_b32_e64 v9, 0x7f800000, v8, s2
	v_mul_f32_e32 v7, v90, v9
	v_cvt_f16_f32_e32 v12, v9
	ds_bpermute_b32 v7, v3, v7
	v_pk_mul_f16 v10, v12, v94 op_sel_hi:[0,1]
	v_pk_mul_f16 v11, v12, v97 op_sel_hi:[0,1]
	s_waitcnt lgkmcnt(0)
	v_fmac_f32_e32 v7, v90, v9
	v_pk_mul_f16 v9, v12, v95 op_sel_hi:[0,1]
	v_pk_mul_f16 v12, v12, v96 op_sel_hi:[0,1]
	ds_bpermute_b32 v8, v4, v7
	ds_store_2addr_b64 v13, v[9:10], v[11:12] offset1:32
	s_waitcnt lgkmcnt(1)
	v_add_f32_e32 v7, v7, v8
	ds_bpermute_b32 v8, v5, v7
	s_waitcnt lgkmcnt(0)
	v_add_f32_e32 v7, v7, v8
	ds_bpermute_b32 v8, v6, v7
	;; [unrolled: 3-line block ×3, first 2 shown]
	s_and_saveexec_b32 s2, vcc_lo
	s_cbranch_execz .LBB27_38
; %bb.37:
	s_waitcnt lgkmcnt(0)
	v_add_f32_e32 v7, v7, v8
	ds_store_b32 v2, v7 offset:2176
.LBB27_38:
	s_or_b32 exec_lo, exec_lo, s2
	s_waitcnt lgkmcnt(0)
	s_barrier
	buffer_gl0_inv
	scratch_load_b32 v10, off, off offset:576 ; 4-byte Folded Reload
	ds_load_b32 v2, v15 offset:2176
	s_mul_i32 s2, s96, s84
	s_waitcnt lgkmcnt(0)
	ds_bpermute_b32 v3, v3, v2
	s_waitcnt lgkmcnt(0)
	v_add_f32_e32 v2, v2, v3
	ds_bpermute_b32 v3, v4, v2
	s_waitcnt lgkmcnt(0)
	v_add_f32_e32 v2, v2, v3
	;; [unrolled: 3-line block ×3, first 2 shown]
	ds_bpermute_b32 v3, v6, v2
	s_waitcnt vmcnt(0)
	ds_load_u16 v4, v10
	ds_load_u16 v5, v10 offset:512
	ds_load_u16 v6, v10 offset:1024
	;; [unrolled: 1-line block ×5, first 2 shown]
	s_waitcnt lgkmcnt(6)
	v_add_f32_e32 v2, v2, v3
	ds_load_u16 v3, v10 offset:768
	ds_load_u16 v10, v10 offset:256
	s_load_b32 s3, s[0:1], 0xd4
	ds_bpermute_b32 v1, v1, v2
	s_waitcnt lgkmcnt(0)
	v_cvt_f32_f16_e32 v4, v4
	v_cvt_f32_f16_e32 v5, v5
	;; [unrolled: 1-line block ×3, first 2 shown]
	s_delay_alu instid0(VALU_DEP_3) | instskip(SKIP_3) | instid1(VALU_DEP_2)
	v_add_f32_e32 v4, 0, v4
	s_cmp_eq_u32 s3, 1
	s_cselect_b32 s1, -1, 0
	v_add_f32_e32 v1, v2, v1
	v_add_f32_e32 v4, v4, v5
	v_cvt_f32_f16_e32 v5, v8
	v_cvt_f32_f16_e32 v2, v3
	s_add_i32 s2, s2, s13
	s_delay_alu instid0(VALU_DEP_3) | instskip(SKIP_2) | instid1(SALU_CYCLE_1)
	v_add_f32_e32 v4, v4, v6
	v_cvt_f32_f16_e32 v6, v10
	s_mul_i32 s2, s2, s85
	s_add_i32 s2, s2, s86
	s_delay_alu instid0(VALU_DEP_1) | instskip(SKIP_3) | instid1(VALU_DEP_3)
	v_dual_add_f32 v8, v4, v5 :: v_dual_add_f32 v3, 0, v6
	v_cvt_f32_f16_e32 v5, v9
	v_cvt_f32_f16_e32 v6, v7
	s_mul_i32 s2, s3, s2
	v_div_scale_f32 v4, null, v1, v1, v8
	v_add_f32_e32 v2, v3, v2
	v_div_scale_f32 v7, vcc_lo, v8, v1, v8
	s_delay_alu instid0(VALU_DEP_3) | instskip(SKIP_1) | instid1(VALU_DEP_2)
	v_rcp_f32_e32 v3, v4
	s_add_i32 s2, s2, s14
	v_add_f32_e32 v2, v2, v5
	s_cmp_lg_u32 s3, 1
	s_mov_b32 s3, 0
	s_delay_alu instid0(VALU_DEP_1) | instskip(SKIP_3) | instid1(VALU_DEP_2)
	v_add_f32_e32 v6, v2, v6
	s_waitcnt_depctr 0xfff
	v_fma_f32 v2, -v4, v3, 1.0
	v_div_scale_f32 v5, null, v1, v1, v6
	v_fmac_f32_e32 v3, v2, v3
	s_delay_alu instid0(VALU_DEP_2) | instskip(NEXT) | instid1(VALU_DEP_1)
	v_rcp_f32_e32 v9, v5
	v_mul_f32_e32 v2, v7, v3
	s_delay_alu instid0(VALU_DEP_1) | instskip(SKIP_4) | instid1(VALU_DEP_3)
	v_fma_f32 v10, -v4, v2, v7
	s_waitcnt_depctr 0xfff
	v_fma_f32 v11, -v5, v9, 1.0
	v_fmac_f32_e32 v2, v10, v3
	v_div_scale_f32 v10, s0, v6, v1, v6
	v_fmac_f32_e32 v9, v11, v9
	s_delay_alu instid0(VALU_DEP_3) | instskip(NEXT) | instid1(VALU_DEP_2)
	v_fma_f32 v4, -v4, v2, v7
	v_mul_f32_e32 v7, v10, v9
	s_delay_alu instid0(VALU_DEP_2) | instskip(SKIP_1) | instid1(VALU_DEP_2)
	v_div_fmas_f32 v2, v4, v3, v2
	s_mov_b32 vcc_lo, s0
	v_fma_f32 v3, -v5, v7, v10
	s_delay_alu instid0(VALU_DEP_2) | instskip(SKIP_1) | instid1(VALU_DEP_3)
	v_div_fixup_f32 v11, v2, v1, v8
	v_lshl_or_b32 v2, s2, 8, v14
	v_fmac_f32_e32 v7, v3, v9
	v_mov_b32_e32 v3, 0
	s_delay_alu instid0(VALU_DEP_2) | instskip(NEXT) | instid1(VALU_DEP_1)
	v_fma_f32 v4, -v5, v7, v10
	v_div_fmas_f32 v7, v4, v9, v7
	s_delay_alu instid0(VALU_DEP_3) | instskip(SKIP_1) | instid1(VALU_DEP_3)
	v_lshlrev_b64 v[4:5], 2, v[2:3]
	v_cmp_eq_u32_e32 vcc_lo, 0, v14
	v_div_fixup_f32 v2, v7, v1, v6
	v_cndmask_b32_e64 v7, v8, v11, s1
	s_delay_alu instid0(VALU_DEP_4) | instskip(NEXT) | instid1(VALU_DEP_1)
	v_add_co_u32 v4, s0, s76, v4
	v_add_co_ci_u32_e64 v5, s0, s77, v5, s0
	s_delay_alu instid0(VALU_DEP_4)
	v_cndmask_b32_e64 v2, v6, v2, s1
	s_cselect_b32 s0, -1, 0
	s_clause 0x1
	global_store_b32 v[4:5], v7, off
	global_store_b32 v[4:5], v2, off offset:512
	s_and_b32 s0, vcc_lo, s0
	s_delay_alu instid0(SALU_CYCLE_1)
	s_and_saveexec_b32 s1, s0
	s_cbranch_execz .LBB27_40
; %bb.39:
	s_lshl_b64 s[0:1], s[2:3], 3
	s_delay_alu instid0(SALU_CYCLE_1)
	s_add_u32 s0, s78, s0
	s_addc_u32 s1, s79, s1
	global_store_b64 v3, v[0:1], s[0:1]
.LBB27_40:
	s_nop 0
	s_sendmsg sendmsg(MSG_DEALLOC_VGPRS)
	s_endpgm
	.section	.rodata,"a",@progbits
	.p2align	6, 0x0
	.amdhsa_kernel _ZL18flash_attn_ext_vecILi256ELi1EL9ggml_type3ELS0_3ELb1EEvPKcS2_S2_S2_S2_PKiPfP15HIP_vector_typeIfLj2EEffffjfiS6_IjLj3EEiiiiiiiiiiiliiliiiiil
		.amdhsa_group_segment_fixed_size 2304
		.amdhsa_private_segment_fixed_size 700
		.amdhsa_kernarg_size 464
		.amdhsa_user_sgpr_count 13
		.amdhsa_user_sgpr_dispatch_ptr 0
		.amdhsa_user_sgpr_queue_ptr 0
		.amdhsa_user_sgpr_kernarg_segment_ptr 1
		.amdhsa_user_sgpr_dispatch_id 0
		.amdhsa_user_sgpr_private_segment_size 0
		.amdhsa_wavefront_size32 1
		.amdhsa_uses_dynamic_stack 0
		.amdhsa_enable_private_segment 1
		.amdhsa_system_sgpr_workgroup_id_x 1
		.amdhsa_system_sgpr_workgroup_id_y 1
		.amdhsa_system_sgpr_workgroup_id_z 1
		.amdhsa_system_sgpr_workgroup_info 0
		.amdhsa_system_vgpr_workitem_id 1
		.amdhsa_next_free_vgpr 256
		.amdhsa_next_free_sgpr 100
		.amdhsa_reserve_vcc 1
		.amdhsa_float_round_mode_32 0
		.amdhsa_float_round_mode_16_64 0
		.amdhsa_float_denorm_mode_32 3
		.amdhsa_float_denorm_mode_16_64 3
		.amdhsa_dx10_clamp 1
		.amdhsa_ieee_mode 1
		.amdhsa_fp16_overflow 0
		.amdhsa_workgroup_processor_mode 1
		.amdhsa_memory_ordered 1
		.amdhsa_forward_progress 0
		.amdhsa_shared_vgpr_count 0
		.amdhsa_exception_fp_ieee_invalid_op 0
		.amdhsa_exception_fp_denorm_src 0
		.amdhsa_exception_fp_ieee_div_zero 0
		.amdhsa_exception_fp_ieee_overflow 0
		.amdhsa_exception_fp_ieee_underflow 0
		.amdhsa_exception_fp_ieee_inexact 0
		.amdhsa_exception_int_div_zero 0
	.end_amdhsa_kernel
	.section	.text._ZL18flash_attn_ext_vecILi256ELi1EL9ggml_type3ELS0_3ELb1EEvPKcS2_S2_S2_S2_PKiPfP15HIP_vector_typeIfLj2EEffffjfiS6_IjLj3EEiiiiiiiiiiiliiliiiiil,"axG",@progbits,_ZL18flash_attn_ext_vecILi256ELi1EL9ggml_type3ELS0_3ELb1EEvPKcS2_S2_S2_S2_PKiPfP15HIP_vector_typeIfLj2EEffffjfiS6_IjLj3EEiiiiiiiiiiiliiliiiiil,comdat
.Lfunc_end27:
	.size	_ZL18flash_attn_ext_vecILi256ELi1EL9ggml_type3ELS0_3ELb1EEvPKcS2_S2_S2_S2_PKiPfP15HIP_vector_typeIfLj2EEffffjfiS6_IjLj3EEiiiiiiiiiiiliiliiiiil, .Lfunc_end27-_ZL18flash_attn_ext_vecILi256ELi1EL9ggml_type3ELS0_3ELb1EEvPKcS2_S2_S2_S2_PKiPfP15HIP_vector_typeIfLj2EEffffjfiS6_IjLj3EEiiiiiiiiiiiliiliiiiil
                                        ; -- End function
	.section	.AMDGPU.csdata,"",@progbits
; Kernel info:
; codeLenInByte = 32872
; NumSgprs: 102
; NumVgprs: 256
; ScratchSize: 700
; MemoryBound: 0
; FloatMode: 240
; IeeeMode: 1
; LDSByteSize: 2304 bytes/workgroup (compile time only)
; SGPRBlocks: 12
; VGPRBlocks: 31
; NumSGPRsForWavesPerEU: 102
; NumVGPRsForWavesPerEU: 256
; Occupancy: 5
; WaveLimiterHint : 0
; COMPUTE_PGM_RSRC2:SCRATCH_EN: 1
; COMPUTE_PGM_RSRC2:USER_SGPR: 13
; COMPUTE_PGM_RSRC2:TRAP_HANDLER: 0
; COMPUTE_PGM_RSRC2:TGID_X_EN: 1
; COMPUTE_PGM_RSRC2:TGID_Y_EN: 1
; COMPUTE_PGM_RSRC2:TGID_Z_EN: 1
; COMPUTE_PGM_RSRC2:TIDIG_COMP_CNT: 1
	.section	.text._ZL18flash_attn_ext_vecILi256ELi2EL9ggml_type3ELS0_3ELb0EEvPKcS2_S2_S2_S2_PKiPfP15HIP_vector_typeIfLj2EEffffjfiS6_IjLj3EEiiiiiiiiiiiliiliiiiil,"axG",@progbits,_ZL18flash_attn_ext_vecILi256ELi2EL9ggml_type3ELS0_3ELb0EEvPKcS2_S2_S2_S2_PKiPfP15HIP_vector_typeIfLj2EEffffjfiS6_IjLj3EEiiiiiiiiiiiliiliiiiil,comdat
	.globl	_ZL18flash_attn_ext_vecILi256ELi2EL9ggml_type3ELS0_3ELb0EEvPKcS2_S2_S2_S2_PKiPfP15HIP_vector_typeIfLj2EEffffjfiS6_IjLj3EEiiiiiiiiiiiliiliiiiil ; -- Begin function _ZL18flash_attn_ext_vecILi256ELi2EL9ggml_type3ELS0_3ELb0EEvPKcS2_S2_S2_S2_PKiPfP15HIP_vector_typeIfLj2EEffffjfiS6_IjLj3EEiiiiiiiiiiiliiliiiiil
	.p2align	8
	.type	_ZL18flash_attn_ext_vecILi256ELi2EL9ggml_type3ELS0_3ELb0EEvPKcS2_S2_S2_S2_PKiPfP15HIP_vector_typeIfLj2EEffffjfiS6_IjLj3EEiiiiiiiiiiiliiliiiiil,@function
_ZL18flash_attn_ext_vecILi256ELi2EL9ggml_type3ELS0_3ELb0EEvPKcS2_S2_S2_S2_PKiPfP15HIP_vector_typeIfLj2EEffffjfiS6_IjLj3EEiiiiiiiiiiiliiliiiiil: ; @_ZL18flash_attn_ext_vecILi256ELi2EL9ggml_type3ELS0_3ELb0EEvPKcS2_S2_S2_S2_PKiPfP15HIP_vector_typeIfLj2EEffffjfiS6_IjLj3EEiiiiiiiiiiiliiliiiiil
; %bb.0:
	s_clause 0x2
	s_load_b64 s[76:77], s[2:3], 0x64
	s_load_b64 s[16:17], s[2:3], 0x80
	;; [unrolled: 1-line block ×3, first 2 shown]
	s_waitcnt lgkmcnt(0)
	v_cvt_f32_u32_e32 v1, s77
	s_sub_i32 s5, 0, s77
	s_delay_alu instid0(VALU_DEP_1) | instskip(SKIP_2) | instid1(VALU_DEP_1)
	v_rcp_iflag_f32_e32 v1, v1
	s_waitcnt_depctr 0xfff
	v_mul_f32_e32 v1, 0x4f7ffffe, v1
	v_cvt_u32_f32_e32 v1, v1
	s_delay_alu instid0(VALU_DEP_1) | instskip(NEXT) | instid1(VALU_DEP_1)
	v_readfirstlane_b32 s4, v1
	s_mul_i32 s5, s5, s4
	s_delay_alu instid0(SALU_CYCLE_1) | instskip(NEXT) | instid1(SALU_CYCLE_1)
	s_mul_hi_u32 s5, s4, s5
	s_add_i32 s4, s4, s5
	s_delay_alu instid0(SALU_CYCLE_1) | instskip(NEXT) | instid1(SALU_CYCLE_1)
	s_mul_hi_u32 s4, s15, s4
	s_mul_i32 s5, s4, s77
	s_add_i32 s8, s4, 1
	s_sub_i32 s5, s15, s5
	s_delay_alu instid0(SALU_CYCLE_1)
	s_sub_i32 s9, s5, s77
	s_cmp_ge_u32 s5, s77
	s_cselect_b32 s4, s8, s4
	s_cselect_b32 s5, s9, s5
	s_add_i32 s8, s4, 1
	s_cmp_ge_u32 s5, s77
	s_cselect_b32 s84, s8, s4
	s_abs_i32 s4, s17
	s_abs_i32 s10, s77
	v_cvt_f32_u32_e32 v1, s4
	s_sub_i32 s8, 0, s4
	s_xor_b32 s9, s77, s17
	s_delay_alu instid0(SALU_CYCLE_1) | instskip(NEXT) | instid1(VALU_DEP_1)
	s_ashr_i32 s9, s9, 31
	v_rcp_iflag_f32_e32 v1, v1
	s_waitcnt_depctr 0xfff
	v_mul_f32_e32 v1, 0x4f7ffffe, v1
	s_delay_alu instid0(VALU_DEP_1) | instskip(NEXT) | instid1(VALU_DEP_1)
	v_cvt_u32_f32_e32 v1, v1
	v_readfirstlane_b32 s5, v1
	s_delay_alu instid0(VALU_DEP_1) | instskip(NEXT) | instid1(SALU_CYCLE_1)
	s_mul_i32 s8, s8, s5
	s_mul_hi_u32 s8, s5, s8
	s_delay_alu instid0(SALU_CYCLE_1) | instskip(SKIP_4) | instid1(SALU_CYCLE_1)
	s_add_i32 s5, s5, s8
	s_mul_i32 s8, s84, s77
	s_mul_hi_u32 s5, s10, s5
	s_sub_i32 s78, s15, s8
	s_mul_i32 s11, s5, s4
	s_sub_i32 s8, s10, s11
	s_add_i32 s10, s5, 1
	s_sub_i32 s11, s8, s4
	s_cmp_ge_u32 s8, s4
	s_cselect_b32 s5, s10, s5
	s_cselect_b32 s8, s11, s8
	s_add_i32 s10, s5, 1
	s_cmp_ge_u32 s8, s4
	s_cselect_b32 s4, s10, s5
	s_abs_i32 s12, s6
	s_xor_b32 s4, s4, s9
	v_cvt_f32_u32_e32 v1, s12
	s_sub_i32 s17, s4, s9
	s_clause 0x1
	s_load_b128 s[8:11], s[2:3], 0x40
	s_load_b32 s4, s[2:3], 0x50
	s_abs_i32 s15, s17
	v_rcp_iflag_f32_e32 v1, v1
	v_cvt_f32_u32_e32 v2, s15
	s_delay_alu instid0(VALU_DEP_1) | instskip(SKIP_2) | instid1(VALU_DEP_1)
	v_rcp_iflag_f32_e32 v2, v2
	s_waitcnt_depctr 0xfff
	v_mul_f32_e32 v1, 0x4f7ffffe, v1
	v_cvt_u32_f32_e32 v1, v1
	v_mul_f32_e32 v2, 0x4f7ffffe, v2
	s_waitcnt lgkmcnt(0)
	v_cmp_le_f32_e64 s5, s9, 0
	s_delay_alu instid0(VALU_DEP_3) | instskip(NEXT) | instid1(VALU_DEP_3)
	v_readfirstlane_b32 s18, v1
	v_cvt_u32_f32_e32 v2, v2
	v_mov_b32_e32 v1, 1.0
	s_delay_alu instid0(VALU_DEP_4) | instskip(NEXT) | instid1(VALU_DEP_2)
	s_and_b32 vcc_lo, exec_lo, s5
	v_readfirstlane_b32 s19, v2
	scratch_store_b32 off, v1, off offset:36 ; 4-byte Folded Spill
	s_cbranch_vccnz .LBB28_2
; %bb.1:
	s_sub_i32 s5, s78, s4
	s_add_i32 s6, s78, 1
	s_lshl_b32 s5, s5, 1
	v_mov_b32_e32 v1, s10
	s_or_b32 s5, s5, 1
	s_cmp_lt_u32 s78, s4
	s_cselect_b32 vcc_lo, -1, 0
	s_delay_alu instid0(VALU_DEP_1)
	v_cndmask_b32_e32 v3, s11, v1, vcc_lo
	s_and_b32 s4, vcc_lo, exec_lo
	s_cselect_b32 s4, s6, s5
	s_mov_b32 s5, 0x3e76c4e1
	v_cvt_f32_i32_e32 v1, s4
	v_cmp_neq_f32_e32 vcc_lo, 1.0, v3
	s_delay_alu instid0(VALU_DEP_2) | instskip(NEXT) | instid1(VALU_DEP_1)
	v_cndmask_b32_e32 v4, 1.0, v1, vcc_lo
	v_cmp_eq_f32_e32 vcc_lo, 0, v4
	v_cndmask_b32_e64 v5, |v3|, 1.0, vcc_lo
	s_delay_alu instid0(VALU_DEP_1) | instskip(NEXT) | instid1(VALU_DEP_1)
	v_frexp_mant_f32_e32 v1, v5
	v_cmp_gt_f32_e64 s4, 0x3f2aaaab, v1
	s_delay_alu instid0(VALU_DEP_1) | instskip(NEXT) | instid1(VALU_DEP_1)
	v_cndmask_b32_e64 v2, 1.0, 2.0, s4
	v_mul_f32_e32 v1, v1, v2
	s_delay_alu instid0(VALU_DEP_1) | instskip(SKIP_1) | instid1(VALU_DEP_2)
	v_add_f32_e32 v2, 1.0, v1
	v_add_f32_e32 v7, -1.0, v1
	v_rcp_f32_e32 v6, v2
	s_waitcnt_depctr 0xfff
	v_mul_f32_e32 v8, v7, v6
	s_delay_alu instid0(VALU_DEP_1) | instskip(NEXT) | instid1(VALU_DEP_1)
	v_dual_add_f32 v9, -1.0, v2 :: v_dual_mul_f32 v10, v2, v8
	v_sub_f32_e32 v1, v1, v9
	v_cndmask_b32_e64 v3, v3, 1.0, vcc_lo
	s_delay_alu instid0(VALU_DEP_3) | instskip(NEXT) | instid1(VALU_DEP_2)
	v_fma_f32 v2, v8, v2, -v10
	v_cmp_eq_f32_e64 s6, 0, v3
	s_delay_alu instid0(VALU_DEP_2) | instskip(NEXT) | instid1(VALU_DEP_1)
	v_fmac_f32_e32 v2, v8, v1
	v_add_f32_e32 v1, v10, v2
	s_delay_alu instid0(VALU_DEP_1) | instskip(NEXT) | instid1(VALU_DEP_1)
	v_dual_sub_f32 v10, v1, v10 :: v_dual_sub_f32 v9, v7, v1
	v_dual_sub_f32 v2, v10, v2 :: v_dual_sub_f32 v7, v7, v9
	s_delay_alu instid0(VALU_DEP_1) | instskip(NEXT) | instid1(VALU_DEP_1)
	v_sub_f32_e32 v1, v7, v1
	v_add_f32_e32 v1, v2, v1
	s_delay_alu instid0(VALU_DEP_1) | instskip(NEXT) | instid1(VALU_DEP_1)
	v_add_f32_e32 v1, v9, v1
	v_mul_f32_e32 v1, v6, v1
	s_delay_alu instid0(VALU_DEP_1) | instskip(NEXT) | instid1(VALU_DEP_1)
	v_add_f32_e32 v6, v8, v1
	v_sub_f32_e32 v2, v6, v8
	v_mul_f32_e32 v7, v6, v6
	s_delay_alu instid0(VALU_DEP_2) | instskip(NEXT) | instid1(VALU_DEP_2)
	v_sub_f32_e32 v8, v1, v2
	v_fma_f32 v9, v6, v6, -v7
	s_delay_alu instid0(VALU_DEP_2) | instskip(NEXT) | instid1(VALU_DEP_1)
	v_add_f32_e32 v1, v8, v8
	v_fmac_f32_e32 v9, v6, v1
	v_cvt_f64_f32_e32 v[1:2], v5
	s_delay_alu instid0(VALU_DEP_2) | instskip(NEXT) | instid1(VALU_DEP_1)
	v_add_f32_e32 v10, v7, v9
	v_fmaak_f32 v11, s5, v10, 0x3e91f4c4
	v_sub_f32_e32 v7, v10, v7
	v_mul_f32_e32 v14, v6, v10
	s_delay_alu instid0(VALU_DEP_3) | instskip(NEXT) | instid1(VALU_DEP_3)
	v_fmaak_f32 v11, v10, v11, 0x3ecccdef
	v_sub_f32_e32 v7, v9, v7
	s_delay_alu instid0(VALU_DEP_2) | instskip(NEXT) | instid1(VALU_DEP_1)
	v_mul_f32_e32 v12, v10, v11
	v_fma_f32 v9, v10, v11, -v12
	s_delay_alu instid0(VALU_DEP_1) | instskip(NEXT) | instid1(VALU_DEP_1)
	v_fmac_f32_e32 v9, v7, v11
	v_add_f32_e32 v11, v12, v9
	v_frexp_exp_i32_f64_e32 v1, v[1:2]
	s_delay_alu instid0(VALU_DEP_2) | instskip(NEXT) | instid1(VALU_DEP_1)
	v_sub_f32_e32 v12, v11, v12
	v_sub_f32_e32 v2, v9, v12
	v_fma_f32 v12, v10, v6, -v14
	s_delay_alu instid0(VALU_DEP_2) | instskip(NEXT) | instid1(VALU_DEP_2)
	v_add_f32_e32 v2, 0x31739010, v2
	v_dual_add_f32 v13, 0x3f2aaaaa, v11 :: v_dual_fmac_f32 v12, v10, v8
	v_ldexp_f32 v8, v8, 1
	s_delay_alu instid0(VALU_DEP_2) | instskip(NEXT) | instid1(VALU_DEP_1)
	v_dual_add_f32 v9, 0xbf2aaaaa, v13 :: v_dual_fmac_f32 v12, v7, v6
	v_sub_f32_e32 v9, v11, v9
	s_delay_alu instid0(VALU_DEP_1) | instskip(NEXT) | instid1(VALU_DEP_3)
	v_add_f32_e32 v2, v2, v9
	v_add_f32_e32 v9, v14, v12
	s_delay_alu instid0(VALU_DEP_2) | instskip(NEXT) | instid1(VALU_DEP_1)
	v_add_f32_e32 v7, v13, v2
	v_sub_f32_e32 v10, v13, v7
	s_delay_alu instid0(VALU_DEP_3) | instskip(SKIP_2) | instid1(VALU_DEP_4)
	v_mul_f32_e32 v11, v9, v7
	v_sub_f32_e32 v13, v9, v14
	v_subrev_co_ci_u32_e64 v1, s4, 0, v1, s4
	v_add_f32_e32 v2, v2, v10
	s_delay_alu instid0(VALU_DEP_4) | instskip(NEXT) | instid1(VALU_DEP_4)
	v_fma_f32 v10, v9, v7, -v11
	v_sub_f32_e32 v12, v12, v13
	s_delay_alu instid0(VALU_DEP_4) | instskip(NEXT) | instid1(VALU_DEP_3)
	v_cvt_f32_i32_e32 v1, v1
	v_fmac_f32_e32 v10, v9, v2
	v_ldexp_f32 v2, v6, 1
	s_delay_alu instid0(VALU_DEP_2) | instskip(NEXT) | instid1(VALU_DEP_1)
	v_fmac_f32_e32 v10, v12, v7
	v_add_f32_e32 v6, v11, v10
	s_delay_alu instid0(VALU_DEP_1) | instskip(NEXT) | instid1(VALU_DEP_1)
	v_add_f32_e32 v7, v2, v6
	v_dual_sub_f32 v2, v7, v2 :: v_dual_sub_f32 v9, v6, v11
	s_delay_alu instid0(VALU_DEP_1) | instskip(NEXT) | instid1(VALU_DEP_2)
	v_sub_f32_e32 v2, v6, v2
	v_sub_f32_e32 v9, v10, v9
	s_delay_alu instid0(VALU_DEP_1) | instskip(NEXT) | instid1(VALU_DEP_1)
	v_add_f32_e32 v6, v8, v9
	v_dual_mul_f32 v11, 0x3f317218, v1 :: v_dual_add_f32 v2, v6, v2
	s_delay_alu instid0(VALU_DEP_1) | instskip(NEXT) | instid1(VALU_DEP_2)
	v_fma_f32 v10, 0x3f317218, v1, -v11
	v_add_f32_e32 v8, v7, v2
	s_delay_alu instid0(VALU_DEP_1) | instskip(NEXT) | instid1(VALU_DEP_1)
	v_sub_f32_e32 v7, v8, v7
	v_dual_fmamk_f32 v1, v1, 0xb102e308, v10 :: v_dual_sub_f32 v2, v2, v7
	s_delay_alu instid0(VALU_DEP_1) | instskip(NEXT) | instid1(VALU_DEP_1)
	v_add_f32_e32 v6, v11, v1
	v_add_f32_e32 v9, v6, v8
	s_delay_alu instid0(VALU_DEP_1) | instskip(NEXT) | instid1(VALU_DEP_1)
	v_dual_sub_f32 v11, v6, v11 :: v_dual_sub_f32 v10, v9, v6
	v_sub_f32_e32 v12, v9, v10
	s_delay_alu instid0(VALU_DEP_2) | instskip(NEXT) | instid1(VALU_DEP_2)
	v_sub_f32_e32 v1, v1, v11
	v_dual_sub_f32 v7, v8, v10 :: v_dual_sub_f32 v6, v6, v12
	s_delay_alu instid0(VALU_DEP_2) | instskip(NEXT) | instid1(VALU_DEP_2)
	v_add_f32_e32 v8, v1, v2
	v_add_f32_e32 v6, v7, v6
	s_delay_alu instid0(VALU_DEP_1) | instskip(NEXT) | instid1(VALU_DEP_1)
	v_add_f32_e32 v6, v8, v6
	v_dual_sub_f32 v7, v8, v1 :: v_dual_add_f32 v10, v9, v6
	s_delay_alu instid0(VALU_DEP_1) | instskip(SKIP_1) | instid1(VALU_DEP_3)
	v_sub_f32_e32 v8, v8, v7
	v_sub_f32_e32 v2, v2, v7
	;; [unrolled: 1-line block ×3, first 2 shown]
	s_delay_alu instid0(VALU_DEP_3) | instskip(NEXT) | instid1(VALU_DEP_1)
	v_sub_f32_e32 v1, v1, v8
	v_add_f32_e32 v1, v2, v1
	s_delay_alu instid0(VALU_DEP_3) | instskip(NEXT) | instid1(VALU_DEP_1)
	v_sub_f32_e32 v2, v6, v7
	v_add_f32_e32 v1, v1, v2
	s_delay_alu instid0(VALU_DEP_1) | instskip(NEXT) | instid1(VALU_DEP_1)
	v_add_f32_e32 v2, v10, v1
	v_mul_f32_e32 v7, v4, v2
	v_sub_f32_e32 v6, v2, v10
	s_delay_alu instid0(VALU_DEP_2) | instskip(NEXT) | instid1(VALU_DEP_2)
	v_fma_f32 v2, v4, v2, -v7
	v_sub_f32_e32 v1, v1, v6
	v_cmp_class_f32_e64 s4, v7, 0x204
	s_delay_alu instid0(VALU_DEP_2) | instskip(NEXT) | instid1(VALU_DEP_1)
	v_fmac_f32_e32 v2, v4, v1
	v_add_f32_e32 v1, v7, v2
	s_delay_alu instid0(VALU_DEP_1) | instskip(NEXT) | instid1(VALU_DEP_1)
	v_cndmask_b32_e64 v6, v1, v7, s4
	v_cmp_eq_f32_e64 s4, 0x42b17218, v6
	s_delay_alu instid0(VALU_DEP_1) | instskip(SKIP_1) | instid1(VALU_DEP_2)
	v_cndmask_b32_e64 v8, 0, 0x37000000, s4
	v_cmp_neq_f32_e64 s4, 0x7f800000, |v6|
	v_sub_f32_e32 v9, v6, v8
	v_trunc_f32_e32 v6, v4
	s_delay_alu instid0(VALU_DEP_2) | instskip(NEXT) | instid1(VALU_DEP_1)
	v_mul_f32_e32 v10, 0x3fb8aa3b, v9
	v_fma_f32 v11, 0x3fb8aa3b, v9, -v10
	v_rndne_f32_e32 v12, v10
	s_delay_alu instid0(VALU_DEP_1) | instskip(NEXT) | instid1(VALU_DEP_1)
	v_dual_fmamk_f32 v11, v9, 0x32a5705f, v11 :: v_dual_sub_f32 v10, v10, v12
	v_add_f32_e32 v10, v10, v11
	v_sub_f32_e32 v1, v1, v7
	v_cvt_i32_f32_e32 v7, v12
	s_delay_alu instid0(VALU_DEP_3) | instskip(NEXT) | instid1(VALU_DEP_2)
	v_exp_f32_e32 v10, v10
	v_sub_f32_e32 v1, v2, v1
	s_delay_alu instid0(VALU_DEP_1)
	v_cndmask_b32_e64 v1, 0, v1, s4
	v_cmp_ngt_f32_e64 s4, 0xc2ce8ed0, v9
	s_waitcnt_depctr 0xfff
	v_ldexp_f32 v2, v10, v7
	v_mul_f32_e32 v7, 0.5, v4
	v_add_f32_e32 v1, v8, v1
	s_delay_alu instid0(VALU_DEP_3) | instskip(NEXT) | instid1(VALU_DEP_3)
	v_cndmask_b32_e64 v2, 0, v2, s4
	v_trunc_f32_e32 v10, v7
	v_cmp_nlt_f32_e64 s4, 0x42b17218, v9
	s_delay_alu instid0(VALU_DEP_2) | instskip(NEXT) | instid1(VALU_DEP_2)
	v_cmp_neq_f32_e64 s5, v10, v7
	v_cndmask_b32_e64 v2, 0x7f800000, v2, s4
	v_cmp_eq_f32_e64 s4, v6, v4
	s_delay_alu instid0(VALU_DEP_2) | instskip(NEXT) | instid1(VALU_DEP_2)
	v_fma_f32 v1, v2, v1, v2
	s_and_b32 vcc_lo, s4, s5
	v_cmp_class_f32_e64 s5, v2, 0x204
	v_cndmask_b32_e32 v6, 1.0, v3, vcc_lo
	s_delay_alu instid0(VALU_DEP_2) | instskip(SKIP_1) | instid1(VALU_DEP_2)
	v_cndmask_b32_e64 v1, v1, v2, s5
	v_cmp_gt_f32_e64 s5, 0, v4
	v_bfi_b32 v1, 0x7fffffff, v1, v6
	v_cndmask_b32_e32 v6, 0, v3, vcc_lo
	s_delay_alu instid0(VALU_DEP_3)
	s_xor_b32 s5, s5, s6
	v_cmp_eq_f32_e32 vcc_lo, 0x7f800000, v5
	v_cndmask_b32_e64 v2, 0x7f800000, 0, s5
	v_cndmask_b32_e64 v4, 0x7fc00000, v1, s4
	v_cmp_gt_f32_e64 s4, 0, v3
	s_or_b32 vcc_lo, vcc_lo, s6
	s_delay_alu instid0(VALU_DEP_3) | instskip(NEXT) | instid1(VALU_DEP_2)
	v_bfi_b32 v2, 0x7fffffff, v2, v6
	v_cndmask_b32_e64 v1, v1, v4, s4
	s_delay_alu instid0(VALU_DEP_1) | instskip(SKIP_1) | instid1(VALU_DEP_2)
	v_cndmask_b32_e32 v1, v1, v2, vcc_lo
	v_cmp_o_f32_e32 vcc_lo, v3, v3
	v_cndmask_b32_e32 v1, 0x7fc00000, v1, vcc_lo
	scratch_store_b32 off, v1, off offset:36 ; 4-byte Folded Spill
.LBB28_2:
	s_load_b64 s[0:1], s[0:1], 0x4
	v_bfe_u32 v37, v0, 10, 10
	v_and_b32_e32 v36, 0x3ff, v0
	s_load_b512 s[56:71], s[2:3], 0x0
	v_bfe_u32 v0, v0, 20, 10
	s_lshl_b32 s85, s13, 1
	v_lshlrev_b32_e32 v38, 9, v37
	s_mov_b32 s9, exec_lo
	s_waitcnt lgkmcnt(0)
	v_mul_u32_u24_e32 v1, s1, v37
	s_lshr_b32 s0, s0, 16
	s_delay_alu instid0(SALU_CYCLE_1)
	s_mul_i32 s0, s0, s1
	s_delay_alu instid0(VALU_DEP_1) | instid1(SALU_CYCLE_1)
	v_mad_u32_u24 v1, s0, v36, v1
	v_cmp_lt_u32_e64 s0, 1, v37
	s_delay_alu instid0(VALU_DEP_2) | instskip(NEXT) | instid1(VALU_DEP_1)
	v_add_lshl_u32 v34, v1, v0, 5
	v_dual_mov_b32 v28, 0 :: v_dual_add_nc_u32 v1, 0xa0c, v34
	v_add_nc_u32_e32 v0, 0xa04, v34
	v_add_nc_u32_e32 v2, 0xa14, v34
	;; [unrolled: 1-line block ×3, first 2 shown]
	ds_store_2addr_b32 v0, v28, v28 offset1:1
	ds_store_2addr_b32 v1, v28, v28 offset1:1
	;; [unrolled: 1-line block ×3, first 2 shown]
	ds_store_2addr_b32 v3, v28, v28 offset0:128 offset1:135
	v_cmpx_gt_u32_e32 2, v37
	s_cbranch_execz .LBB28_17
; %bb.3:
	v_or_b32_e32 v0, s85, v37
	v_lshl_add_u32 v4, v36, 2, v38
	s_mov_b32 s1, exec_lo
	s_delay_alu instid0(VALU_DEP_2)
	v_cmpx_le_i32_e64 s76, v0
	s_xor_b32 s1, exec_lo, s1
	s_cbranch_execz .LBB28_7
; %bb.4:
	v_mov_b32_e32 v0, 0
	s_mov_b32 s4, exec_lo
	ds_store_2addr_b32 v4, v0, v0 offset1:32
	v_cmpx_gt_u32_e32 8, v36
	s_cbranch_execz .LBB28_6
; %bb.5:
	v_lshl_add_u32 v2, v36, 2, v4
	v_mov_b32_e32 v1, v0
	ds_store_b64 v2, v[0:1] offset:256
.LBB28_6:
	s_or_b32 exec_lo, exec_lo, s4
                                        ; implicit-def: $vgpr4
.LBB28_7:
	s_and_not1_saveexec_b32 s1, s1
	s_cbranch_execz .LBB28_17
; %bb.8:
	s_load_b128 s[20:23], s[2:3], 0x70
	v_lshlrev_b32_e32 v1, 4, v36
	s_mov_b32 s6, exec_lo
	s_waitcnt lgkmcnt(0)
	v_mul_lo_u32 v0, v37, s20
	s_mul_i32 s1, s84, s22
	s_mul_i32 s4, s85, s20
	;; [unrolled: 1-line block ×3, first 2 shown]
	s_add_i32 s1, s1, s4
	s_delay_alu instid0(SALU_CYCLE_1) | instskip(NEXT) | instid1(SALU_CYCLE_1)
	s_add_i32 s1, s1, s5
	s_ashr_i32 s4, s1, 31
	s_delay_alu instid0(VALU_DEP_1) | instskip(SKIP_3) | instid1(VALU_DEP_2)
	v_ashrrev_i32_e32 v2, 31, v0
	s_add_u32 s1, s56, s1
	s_addc_u32 s4, s57, s4
	v_add_co_u32 v0, vcc_lo, s1, v0
	v_add_co_ci_u32_e32 v2, vcc_lo, s4, v2, vcc_lo
	s_delay_alu instid0(VALU_DEP_2) | instskip(NEXT) | instid1(VALU_DEP_2)
	v_add_co_u32 v0, vcc_lo, v0, v1
	v_add_co_ci_u32_e32 v1, vcc_lo, 0, v2, vcc_lo
	v_mbcnt_lo_u32_b32 v2, -1, 0
	global_load_b128 v[12:15], v[0:1], off
	v_xor_b32_e32 v5, 4, v2
	v_xor_b32_e32 v9, 2, v2
	s_delay_alu instid0(VALU_DEP_2) | instskip(SKIP_1) | instid1(VALU_DEP_3)
	v_cmp_gt_i32_e32 vcc_lo, 32, v5
	v_cndmask_b32_e32 v5, v2, v5, vcc_lo
	v_cmp_gt_i32_e32 vcc_lo, 32, v9
	s_delay_alu instid0(VALU_DEP_2) | instskip(SKIP_4) | instid1(VALU_DEP_2)
	v_lshlrev_b32_e32 v5, 2, v5
	v_cndmask_b32_e32 v9, v2, v9, vcc_lo
	s_waitcnt vmcnt(0)
	v_dual_mul_f32 v3, s8, v12 :: v_dual_mul_f32 v12, s8, v14
	v_dual_mul_f32 v8, s8, v13 :: v_dual_mul_f32 v11, s8, v15
	v_max_f32_e64 v6, |v3|, |v3|
	s_delay_alu instid0(VALU_DEP_1) | instskip(NEXT) | instid1(VALU_DEP_1)
	v_max_f32_e64 v6, v6, |v8|
	v_max3_f32 v6, v6, |v12|, |v11|
	ds_bpermute_b32 v7, v5, v6
	s_waitcnt lgkmcnt(0)
	v_dual_max_f32 v10, v7, v7 :: v_dual_lshlrev_b32 v7, 2, v9
	s_delay_alu instid0(VALU_DEP_1)
	v_max_f32_e32 v9, v6, v10
	v_xor_b32_e32 v10, 1, v2
	ds_bpermute_b32 v6, v7, v9
	v_cmp_gt_i32_e32 vcc_lo, 32, v10
	v_cndmask_b32_e32 v2, v2, v10, vcc_lo
	s_waitcnt lgkmcnt(0)
	v_max_f32_e32 v10, v6, v6
	s_delay_alu instid0(VALU_DEP_2) | instskip(NEXT) | instid1(VALU_DEP_2)
	v_lshlrev_b32_e32 v6, 2, v2
	v_max_f32_e32 v2, v9, v10
	v_fma_f32 v10, s8, v13, v3
	ds_bpermute_b32 v9, v6, v2
	s_waitcnt lgkmcnt(0)
	v_dual_fmac_f32 v10, s8, v14 :: v_dual_max_f32 v9, v9, v9
	s_delay_alu instid0(VALU_DEP_1) | instskip(NEXT) | instid1(VALU_DEP_2)
	v_fmac_f32_e32 v10, s8, v15
	v_max_f32_e32 v2, v2, v9
	ds_bpermute_b32 v13, v5, v10
	v_div_scale_f32 v14, null, 0x42fe0000, 0x42fe0000, v2
	v_div_scale_f32 v16, vcc_lo, v2, 0x42fe0000, v2
	s_delay_alu instid0(VALU_DEP_2)
	v_rcp_f32_e32 v15, v14
	s_waitcnt lgkmcnt(0)
	v_add_f32_e32 v9, v10, v13
	s_waitcnt_depctr 0xfff
	v_fma_f32 v10, -v14, v15, 1.0
	ds_bpermute_b32 v13, v7, v9
	v_fmac_f32_e32 v15, v10, v15
	s_delay_alu instid0(VALU_DEP_1) | instskip(NEXT) | instid1(VALU_DEP_1)
	v_mul_f32_e32 v17, v16, v15
	v_fma_f32 v10, -v14, v17, v16
	s_delay_alu instid0(VALU_DEP_1) | instskip(SKIP_2) | instid1(VALU_DEP_2)
	v_fmac_f32_e32 v17, v10, v15
	s_waitcnt lgkmcnt(0)
	v_add_f32_e32 v9, v9, v13
	v_fma_f32 v13, -v14, v17, v16
	ds_bpermute_b32 v10, v6, v9
	v_div_fmas_f32 v13, v13, v15, v17
	s_delay_alu instid0(VALU_DEP_1) | instskip(SKIP_1) | instid1(VALU_DEP_2)
	v_div_fixup_f32 v2, v13, 0x42fe0000, v2
	v_mov_b32_e32 v13, 0
	v_cmpx_neq_f32_e32 0, v2
	s_cbranch_execz .LBB28_10
; %bb.9:
	v_div_scale_f32 v13, null, v2, v2, v3
	v_div_scale_f32 v14, null, v2, v2, v8
	;; [unrolled: 1-line block ×3, first 2 shown]
	s_delay_alu instid0(VALU_DEP_3) | instskip(SKIP_1) | instid1(VALU_DEP_3)
	v_rcp_f32_e32 v15, v13
	v_div_scale_f32 v17, null, v2, v2, v11
	v_rcp_f32_e32 v18, v14
	s_delay_alu instid0(VALU_DEP_2) | instskip(SKIP_1) | instid1(VALU_DEP_2)
	v_rcp_f32_e32 v19, v16
	v_div_scale_f32 v23, vcc_lo, v3, v2, v3
	v_rcp_f32_e32 v20, v17
	v_fma_f32 v21, -v13, v15, 1.0
	s_delay_alu instid0(TRANS32_DEP_3)
	v_fma_f32 v22, -v14, v18, 1.0
	s_waitcnt_depctr 0xfff
	v_fma_f32 v24, -v16, v19, 1.0
	v_fmac_f32_e32 v15, v21, v15
	v_div_scale_f32 v21, s1, v8, v2, v8
	v_fmac_f32_e32 v18, v22, v18
	v_fma_f32 v25, -v17, v20, 1.0
	v_fmac_f32_e32 v19, v24, v19
	v_div_scale_f32 v22, s4, v12, v2, v12
	s_delay_alu instid0(VALU_DEP_4) | instskip(NEXT) | instid1(VALU_DEP_4)
	v_mul_f32_e32 v26, v21, v18
	v_dual_fmac_f32 v20, v25, v20 :: v_dual_mul_f32 v25, v23, v15
	v_div_scale_f32 v24, s5, v11, v2, v11
	s_delay_alu instid0(VALU_DEP_3) | instskip(SKIP_1) | instid1(VALU_DEP_4)
	v_fma_f32 v31, -v14, v26, v21
	v_mul_f32_e32 v27, v22, v19
	v_fma_f32 v30, -v13, v25, v23
	s_delay_alu instid0(VALU_DEP_3) | instskip(NEXT) | instid1(VALU_DEP_3)
	v_fmac_f32_e32 v26, v31, v18
	v_fma_f32 v32, -v16, v27, v22
	s_delay_alu instid0(VALU_DEP_3) | instskip(NEXT) | instid1(VALU_DEP_3)
	v_fmac_f32_e32 v25, v30, v15
	v_fma_f32 v14, -v14, v26, v21
	s_delay_alu instid0(VALU_DEP_3) | instskip(NEXT) | instid1(VALU_DEP_3)
	v_fmac_f32_e32 v27, v32, v19
	v_fma_f32 v13, -v13, v25, v23
	s_delay_alu instid0(VALU_DEP_2) | instskip(NEXT) | instid1(VALU_DEP_2)
	v_fma_f32 v16, -v16, v27, v22
	v_div_fmas_f32 v13, v13, v15, v25
	s_mov_b32 vcc_lo, s1
	v_div_fmas_f32 v14, v14, v18, v26
	s_mov_b32 vcc_lo, s4
	s_delay_alu instid0(VALU_DEP_2) | instskip(SKIP_3) | instid1(VALU_DEP_3)
	v_div_fixup_f32 v3, v13, v2, v3
	v_div_fmas_f32 v15, v16, v19, v27
	s_mov_b32 vcc_lo, s5
	v_div_fixup_f32 v8, v14, v2, v8
	v_trunc_f32_e32 v18, v3
	v_mul_f32_e32 v29, v24, v20
	v_div_fixup_f32 v12, v15, v2, v12
	s_delay_alu instid0(VALU_DEP_2) | instskip(NEXT) | instid1(VALU_DEP_2)
	v_fma_f32 v33, -v17, v29, v24
	v_trunc_f32_e32 v14, v12
	s_delay_alu instid0(VALU_DEP_2) | instskip(NEXT) | instid1(VALU_DEP_1)
	v_fmac_f32_e32 v29, v33, v20
	v_fma_f32 v16, -v17, v29, v24
	s_delay_alu instid0(VALU_DEP_1) | instskip(NEXT) | instid1(VALU_DEP_4)
	v_div_fmas_f32 v15, v16, v20, v29
	v_sub_f32_e32 v16, v12, v14
	s_delay_alu instid0(VALU_DEP_2) | instskip(NEXT) | instid1(VALU_DEP_2)
	v_div_fixup_f32 v11, v15, v2, v11
	v_cmp_ge_f32_e64 s1, |v16|, 0.5
	v_trunc_f32_e32 v15, v8
	s_delay_alu instid0(VALU_DEP_3) | instskip(NEXT) | instid1(VALU_DEP_3)
	v_trunc_f32_e32 v13, v11
	v_cndmask_b32_e64 v16, 0, 1.0, s1
	s_delay_alu instid0(VALU_DEP_3) | instskip(NEXT) | instid1(VALU_DEP_2)
	v_sub_f32_e32 v17, v8, v15
	v_bfi_b32 v12, 0x7fffffff, v16, v12
	s_delay_alu instid0(VALU_DEP_2) | instskip(SKIP_1) | instid1(VALU_DEP_3)
	v_cmp_ge_f32_e64 s1, |v17|, 0.5
	v_sub_f32_e32 v16, v3, v18
	v_add_f32_e32 v12, v14, v12
	s_delay_alu instid0(VALU_DEP_3) | instskip(NEXT) | instid1(VALU_DEP_2)
	v_cndmask_b32_e64 v17, 0, 1.0, s1
	v_cvt_i32_f32_e32 v12, v12
	v_sub_f32_e32 v19, v11, v13
	s_delay_alu instid0(VALU_DEP_3) | instskip(NEXT) | instid1(VALU_DEP_3)
	v_bfi_b32 v8, 0x7fffffff, v17, v8
	v_and_b32_e32 v12, 0xff, v12
	s_delay_alu instid0(VALU_DEP_3) | instskip(NEXT) | instid1(VALU_DEP_3)
	v_cmp_ge_f32_e64 s1, |v19|, 0.5
	v_add_f32_e32 v8, v15, v8
	s_delay_alu instid0(VALU_DEP_3) | instskip(NEXT) | instid1(VALU_DEP_3)
	v_lshlrev_b32_e32 v12, 16, v12
	v_cndmask_b32_e64 v19, 0, 1.0, s1
	v_cmp_ge_f32_e64 s1, |v16|, 0.5
	s_delay_alu instid0(VALU_DEP_4) | instskip(NEXT) | instid1(VALU_DEP_3)
	v_cvt_i32_f32_e32 v8, v8
	v_bfi_b32 v11, 0x7fffffff, v19, v11
	s_delay_alu instid0(VALU_DEP_3) | instskip(NEXT) | instid1(VALU_DEP_2)
	v_cndmask_b32_e64 v14, 0, 1.0, s1
	v_dual_add_f32 v11, v13, v11 :: v_dual_and_b32 v8, 0xff, v8
	s_delay_alu instid0(VALU_DEP_2) | instskip(NEXT) | instid1(VALU_DEP_2)
	v_bfi_b32 v3, 0x7fffffff, v14, v3
	v_lshlrev_b32_e32 v8, 8, v8
	s_delay_alu instid0(VALU_DEP_3) | instskip(NEXT) | instid1(VALU_DEP_3)
	v_cvt_i32_f32_e32 v11, v11
	v_add_f32_e32 v3, v18, v3
	s_delay_alu instid0(VALU_DEP_2) | instskip(NEXT) | instid1(VALU_DEP_2)
	v_lshl_or_b32 v11, v11, 24, v12
	v_cvt_i32_f32_e32 v3, v3
	s_delay_alu instid0(VALU_DEP_1) | instskip(NEXT) | instid1(VALU_DEP_1)
	v_and_b32_e32 v3, 0xff, v3
	v_or3_b32 v13, v11, v8, v3
.LBB28_10:
	s_or_b32 exec_lo, exec_lo, s6
	v_and_b32_e32 v3, 7, v36
	v_add_nc_u32_e32 v8, v38, v36
	ds_store_b32 v4, v13
	v_cmp_eq_u32_e64 s1, 0, v3
	s_delay_alu instid0(VALU_DEP_1)
	s_and_saveexec_b32 s4, s1
	s_cbranch_execz .LBB28_12
; %bb.11:
	s_waitcnt lgkmcnt(1)
	v_add_f32_e32 v3, v9, v10
	ds_store_b64 v8, v[2:3] offset:256
.LBB28_12:
	s_or_b32 exec_lo, exec_lo, s4
	global_load_b128 v[11:14], v[0:1], off offset:512
	s_waitcnt vmcnt(0) lgkmcnt(1)
	v_dual_mul_f32 v3, s8, v11 :: v_dual_mul_f32 v10, s8, v14
	v_mul_f32_e32 v9, s8, v12
	s_delay_alu instid0(VALU_DEP_2) | instskip(SKIP_1) | instid1(VALU_DEP_2)
	v_max_f32_e64 v0, |v3|, |v3|
	v_fma_f32 v2, s8, v12, v3
	v_max_f32_e64 v0, v0, |v9|
	s_delay_alu instid0(VALU_DEP_2) | instskip(NEXT) | instid1(VALU_DEP_1)
	v_fmac_f32_e32 v2, s8, v13
	v_dual_mul_f32 v11, s8, v13 :: v_dual_fmac_f32 v2, s8, v14
	s_delay_alu instid0(VALU_DEP_1)
	v_max3_f32 v0, v0, |v11|, |v10|
	s_mov_b32 s8, exec_lo
	ds_bpermute_b32 v1, v5, v0
	ds_bpermute_b32 v5, v5, v2
	s_waitcnt lgkmcnt(1)
	v_max_f32_e32 v1, v1, v1
	s_delay_alu instid0(VALU_DEP_1) | instskip(SKIP_3) | instid1(VALU_DEP_1)
	v_max_f32_e32 v0, v0, v1
	ds_bpermute_b32 v1, v7, v0
	s_waitcnt lgkmcnt(0)
	v_max_f32_e32 v1, v1, v1
	v_max_f32_e32 v0, v0, v1
	ds_bpermute_b32 v1, v6, v0
	s_waitcnt lgkmcnt(0)
	v_max_f32_e32 v1, v1, v1
	s_delay_alu instid0(VALU_DEP_1) | instskip(SKIP_1) | instid1(VALU_DEP_2)
	v_max_f32_e32 v0, v0, v1
	v_add_f32_e32 v1, v2, v5
	v_div_scale_f32 v12, null, 0x42fe0000, 0x42fe0000, v0
	ds_bpermute_b32 v5, v7, v1
	v_div_scale_f32 v7, vcc_lo, v0, 0x42fe0000, v0
	v_rcp_f32_e32 v13, v12
	s_waitcnt_depctr 0xfff
	v_fma_f32 v2, -v12, v13, 1.0
	s_delay_alu instid0(VALU_DEP_1) | instskip(SKIP_2) | instid1(VALU_DEP_2)
	v_fmac_f32_e32 v13, v2, v13
	s_waitcnt lgkmcnt(0)
	v_add_f32_e32 v1, v1, v5
	v_mul_f32_e32 v14, v7, v13
	s_delay_alu instid0(VALU_DEP_1) | instskip(NEXT) | instid1(VALU_DEP_1)
	v_fma_f32 v2, -v12, v14, v7
	v_fmac_f32_e32 v14, v2, v13
	ds_bpermute_b32 v2, v6, v1
	v_fma_f32 v5, -v12, v14, v7
	s_delay_alu instid0(VALU_DEP_1) | instskip(NEXT) | instid1(VALU_DEP_1)
	v_div_fmas_f32 v5, v5, v13, v14
	v_div_fixup_f32 v0, v5, 0x42fe0000, v0
	v_mov_b32_e32 v5, 0
	s_delay_alu instid0(VALU_DEP_2)
	v_cmpx_neq_f32_e32 0, v0
	s_cbranch_execz .LBB28_14
; %bb.13:
	v_div_scale_f32 v5, null, v0, v0, v3
	v_div_scale_f32 v6, null, v0, v0, v9
	;; [unrolled: 1-line block ×3, first 2 shown]
	s_delay_alu instid0(VALU_DEP_3) | instskip(SKIP_1) | instid1(VALU_DEP_3)
	v_rcp_f32_e32 v7, v5
	v_div_scale_f32 v13, null, v0, v0, v10
	v_rcp_f32_e32 v14, v6
	s_delay_alu instid0(VALU_DEP_2) | instskip(SKIP_1) | instid1(VALU_DEP_2)
	v_rcp_f32_e32 v15, v12
	v_div_scale_f32 v19, vcc_lo, v3, v0, v3
	v_rcp_f32_e32 v16, v13
	v_fma_f32 v17, -v5, v7, 1.0
	s_delay_alu instid0(TRANS32_DEP_3)
	v_fma_f32 v18, -v6, v14, 1.0
	s_waitcnt_depctr 0xfff
	v_fma_f32 v20, -v12, v15, 1.0
	v_fmac_f32_e32 v7, v17, v7
	v_div_scale_f32 v17, s4, v9, v0, v9
	v_fmac_f32_e32 v14, v18, v14
	v_fma_f32 v21, -v13, v16, 1.0
	v_fmac_f32_e32 v15, v20, v15
	v_div_scale_f32 v18, s5, v11, v0, v11
	s_delay_alu instid0(VALU_DEP_4) | instskip(NEXT) | instid1(VALU_DEP_4)
	v_mul_f32_e32 v22, v17, v14
	v_dual_fmac_f32 v16, v21, v16 :: v_dual_mul_f32 v21, v19, v7
	v_div_scale_f32 v20, s6, v10, v0, v10
	s_delay_alu instid0(VALU_DEP_4) | instskip(NEXT) | instid1(VALU_DEP_4)
	v_mul_f32_e32 v23, v18, v15
	v_fma_f32 v26, -v6, v22, v17
	s_delay_alu instid0(VALU_DEP_4) | instskip(NEXT) | instid1(VALU_DEP_4)
	v_fma_f32 v25, -v5, v21, v19
	v_mul_f32_e32 v24, v20, v16
	s_delay_alu instid0(VALU_DEP_4) | instskip(NEXT) | instid1(VALU_DEP_3)
	v_fma_f32 v27, -v12, v23, v18
	v_dual_fmac_f32 v22, v26, v14 :: v_dual_fmac_f32 v21, v25, v7
	s_delay_alu instid0(VALU_DEP_3) | instskip(NEXT) | instid1(VALU_DEP_3)
	v_fma_f32 v29, -v13, v24, v20
	v_fmac_f32_e32 v23, v27, v15
	s_delay_alu instid0(VALU_DEP_3) | instskip(NEXT) | instid1(VALU_DEP_4)
	v_fma_f32 v6, -v6, v22, v17
	v_fma_f32 v5, -v5, v21, v19
	s_delay_alu instid0(VALU_DEP_4) | instskip(NEXT) | instid1(VALU_DEP_4)
	v_fmac_f32_e32 v24, v29, v16
	v_fma_f32 v12, -v12, v23, v18
	s_delay_alu instid0(VALU_DEP_3) | instskip(SKIP_3) | instid1(VALU_DEP_2)
	v_div_fmas_f32 v5, v5, v7, v21
	s_mov_b32 vcc_lo, s4
	v_div_fmas_f32 v6, v6, v14, v22
	s_mov_b32 vcc_lo, s5
	v_div_fixup_f32 v3, v5, v0, v3
	v_div_fmas_f32 v7, v12, v15, v23
	v_fma_f32 v12, -v13, v24, v20
	s_mov_b32 vcc_lo, s6
	v_div_fixup_f32 v6, v6, v0, v9
	v_trunc_f32_e32 v14, v3
	v_div_fixup_f32 v7, v7, v0, v11
	v_div_fmas_f32 v11, v12, v16, v24
	s_delay_alu instid0(VALU_DEP_2) | instskip(NEXT) | instid1(VALU_DEP_2)
	v_trunc_f32_e32 v9, v7
	v_div_fixup_f32 v10, v11, v0, v10
	v_trunc_f32_e32 v11, v6
	s_delay_alu instid0(VALU_DEP_3) | instskip(NEXT) | instid1(VALU_DEP_3)
	v_sub_f32_e32 v12, v7, v9
	v_trunc_f32_e32 v5, v10
	s_delay_alu instid0(VALU_DEP_3) | instskip(NEXT) | instid1(VALU_DEP_3)
	v_sub_f32_e32 v13, v6, v11
	v_cmp_ge_f32_e64 s4, |v12|, 0.5
	s_delay_alu instid0(VALU_DEP_3) | instskip(NEXT) | instid1(VALU_DEP_2)
	v_sub_f32_e32 v15, v10, v5
	v_cndmask_b32_e64 v12, 0, 1.0, s4
	s_delay_alu instid0(VALU_DEP_4) | instskip(NEXT) | instid1(VALU_DEP_2)
	v_cmp_ge_f32_e64 s4, |v13|, 0.5
	v_bfi_b32 v7, 0x7fffffff, v12, v7
	v_sub_f32_e32 v12, v3, v14
	s_delay_alu instid0(VALU_DEP_3) | instskip(SKIP_1) | instid1(VALU_DEP_2)
	v_cndmask_b32_e64 v13, 0, 1.0, s4
	v_cmp_ge_f32_e64 s4, |v15|, 0.5
	v_bfi_b32 v6, 0x7fffffff, v13, v6
	s_delay_alu instid0(VALU_DEP_2) | instskip(SKIP_1) | instid1(VALU_DEP_3)
	v_cndmask_b32_e64 v15, 0, 1.0, s4
	v_cmp_ge_f32_e64 s4, |v12|, 0.5
	v_dual_add_f32 v7, v9, v7 :: v_dual_add_f32 v6, v11, v6
	s_delay_alu instid0(VALU_DEP_3) | instskip(NEXT) | instid1(VALU_DEP_3)
	v_bfi_b32 v10, 0x7fffffff, v15, v10
	v_cndmask_b32_e64 v9, 0, 1.0, s4
	s_delay_alu instid0(VALU_DEP_3) | instskip(NEXT) | instid1(VALU_DEP_4)
	v_cvt_i32_f32_e32 v7, v7
	v_cvt_i32_f32_e32 v6, v6
	s_delay_alu instid0(VALU_DEP_4) | instskip(NEXT) | instid1(VALU_DEP_4)
	v_add_f32_e32 v5, v5, v10
	v_bfi_b32 v3, 0x7fffffff, v9, v3
	s_delay_alu instid0(VALU_DEP_4) | instskip(NEXT) | instid1(VALU_DEP_4)
	v_and_b32_e32 v7, 0xff, v7
	v_and_b32_e32 v6, 0xff, v6
	s_delay_alu instid0(VALU_DEP_4) | instskip(NEXT) | instid1(VALU_DEP_4)
	v_cvt_i32_f32_e32 v5, v5
	v_add_f32_e32 v3, v14, v3
	s_delay_alu instid0(VALU_DEP_4) | instskip(NEXT) | instid1(VALU_DEP_4)
	v_lshlrev_b32_e32 v7, 16, v7
	v_lshlrev_b32_e32 v6, 8, v6
	s_delay_alu instid0(VALU_DEP_3) | instskip(NEXT) | instid1(VALU_DEP_3)
	v_cvt_i32_f32_e32 v3, v3
	v_lshl_or_b32 v5, v5, 24, v7
	s_delay_alu instid0(VALU_DEP_2) | instskip(NEXT) | instid1(VALU_DEP_1)
	v_and_b32_e32 v3, 0xff, v3
	v_or3_b32 v5, v5, v6, v3
.LBB28_14:
	s_or_b32 exec_lo, exec_lo, s8
	ds_store_b32 v4, v5 offset:128
	s_and_saveexec_b32 s4, s1
	s_cbranch_execz .LBB28_16
; %bb.15:
	s_waitcnt lgkmcnt(1)
	v_add_f32_e32 v1, v1, v2
	ds_store_b64 v8, v[0:1] offset:288
.LBB28_16:
	s_or_b32 exec_lo, exec_lo, s4
.LBB28_17:
	s_delay_alu instid0(SALU_CYCLE_1)
	s_or_b32 exec_lo, exec_lo, s9
	v_and_b32_e32 v35, 1, v36
	s_waitcnt lgkmcnt(0)
	s_waitcnt_vscnt null, 0x0
	s_barrier
	buffer_gl0_inv
	ds_load_b128 v[0:3], v28 offset:256
	v_lshlrev_b32_e32 v32, 2, v35
	s_cmp_eq_u64 s[66:67], 0
	s_mov_b32 s79, s16
	ds_load_2addr_b32 v[8:9], v32 offset1:2
	ds_load_2addr_b32 v[16:17], v32 offset0:16 offset1:18
	ds_load_2addr_b32 v[24:25], v32 offset0:148 offset1:150
	s_waitcnt lgkmcnt(2)
	scratch_store_b64 off, v[8:9], off offset:40 ; 8-byte Folded Spill
	s_waitcnt lgkmcnt(1)
	scratch_store_b64 off, v[16:17], off offset:72 ; 8-byte Folded Spill
	s_waitcnt lgkmcnt(0)
	scratch_store_b64 off, v[24:25], off offset:208 ; 8-byte Folded Spill
	ds_load_2addr_b32 v[8:9], v32 offset0:4 offset1:6
	ds_load_2addr_b32 v[16:17], v32 offset0:20 offset1:22
	ds_load_2addr_b32 v[24:25], v32 offset0:152 offset1:154
	s_waitcnt lgkmcnt(2)
	scratch_store_b64 off, v[8:9], off offset:48 ; 8-byte Folded Spill
	s_waitcnt lgkmcnt(1)
	scratch_store_b64 off, v[16:17], off offset:80 ; 8-byte Folded Spill
	s_waitcnt lgkmcnt(0)
	scratch_store_b64 off, v[24:25], off offset:216 ; 8-byte Folded Spill
	ds_load_2addr_b32 v[8:9], v32 offset0:8 offset1:10
	;; [unrolled: 9-line block ×4, first 2 shown]
	ds_load_2addr_b32 v[24:25], v32 offset0:164 offset1:166
	s_waitcnt lgkmcnt(1)
	scratch_store_b64 off, v[16:17], off offset:104 ; 8-byte Folded Spill
	s_waitcnt lgkmcnt(0)
	scratch_store_b64 off, v[24:25], off offset:240 ; 8-byte Folded Spill
	ds_load_2addr_b32 v[16:17], v32 offset0:36 offset1:38
	ds_load_2addr_b32 v[24:25], v32 offset0:168 offset1:170
	s_waitcnt lgkmcnt(1)
	scratch_store_b64 off, v[16:17], off offset:112 ; 8-byte Folded Spill
	s_waitcnt lgkmcnt(0)
	scratch_store_b64 off, v[24:25], off offset:248 ; 8-byte Folded Spill
	ds_load_2addr_b32 v[16:17], v32 offset0:40 offset1:42
	;; [unrolled: 6-line block ×7, first 2 shown]
	scratch_store_b128 off, v[0:3], off offset:296 ; 16-byte Folded Spill
	ds_load_b128 v[0:3], v28 offset:272
	s_waitcnt lgkmcnt(1)
	scratch_store_b64 off, v[16:17], off offset:160 ; 8-byte Folded Spill
	ds_load_2addr_b32 v[16:17], v32 offset0:128 offset1:130
	s_waitcnt lgkmcnt(1)
	scratch_store_b128 off, v[0:3], off offset:312 ; 16-byte Folded Spill
	ds_load_b128 v[0:3], v28 offset:288
	s_waitcnt lgkmcnt(1)
	scratch_store_b64 off, v[16:17], off offset:168 ; 8-byte Folded Spill
	ds_load_2addr_b32 v[16:17], v32 offset0:132 offset1:134
	s_waitcnt lgkmcnt(1)
	scratch_store_b128 off, v[0:3], off offset:328 ; 16-byte Folded Spill
	ds_load_b128 v[0:3], v28 offset:304
	s_waitcnt lgkmcnt(1)
	scratch_store_b64 off, v[16:17], off offset:176 ; 8-byte Folded Spill
	ds_load_2addr_b32 v[16:17], v32 offset0:136 offset1:138
	s_waitcnt lgkmcnt(1)
	scratch_store_b128 off, v[0:3], off offset:344 ; 16-byte Folded Spill
	ds_load_b128 v[0:3], v28 offset:768
	s_waitcnt lgkmcnt(1)
	scratch_store_b64 off, v[16:17], off offset:184 ; 8-byte Folded Spill
	ds_load_2addr_b32 v[16:17], v32 offset0:140 offset1:142
	s_waitcnt lgkmcnt(1)
	scratch_store_b128 off, v[0:3], off offset:360 ; 16-byte Folded Spill
	ds_load_b128 v[0:3], v28 offset:784
	s_waitcnt lgkmcnt(1)
	scratch_store_b64 off, v[16:17], off offset:192 ; 8-byte Folded Spill
	ds_load_2addr_b32 v[16:17], v32 offset0:144 offset1:146
	s_waitcnt lgkmcnt(1)
	scratch_store_b128 off, v[0:3], off offset:376 ; 16-byte Folded Spill
	ds_load_b128 v[0:3], v28 offset:800
	s_waitcnt lgkmcnt(1)
	scratch_store_b64 off, v[16:17], off offset:200 ; 8-byte Folded Spill
	s_waitcnt lgkmcnt(0)
	scratch_store_b128 off, v[0:3], off offset:392 ; 16-byte Folded Spill
	ds_load_b128 v[0:3], v28 offset:816
	s_waitcnt lgkmcnt(0)
	scratch_store_b128 off, v[0:3], off offset:408 ; 16-byte Folded Spill
	s_waitcnt_vscnt null, 0x0
	s_barrier
	buffer_gl0_inv
	s_cbranch_scc1 .LBB28_19
; %bb.18:
	s_load_b32 s1, s[2:3], 0xd0
	s_mov_b32 s5, 0
	s_waitcnt lgkmcnt(0)
	s_mul_i32 s1, s1, s84
	s_delay_alu instid0(SALU_CYCLE_1) | instskip(NEXT) | instid1(SALU_CYCLE_1)
	s_add_i32 s4, s1, s13
	s_lshl_b64 s[4:5], s[4:5], 2
	s_delay_alu instid0(SALU_CYCLE_1)
	s_add_u32 s4, s66, s4
	s_addc_u32 s5, s67, s5
	s_load_b32 s79, s[4:5], 0x0
.LBB28_19:
	s_mov_b32 s8, 0
	s_mov_b32 s4, 0xfeffffff
	;; [unrolled: 1-line block ×3, first 2 shown]
	v_lshlrev_b32_e32 v241, 5, v37
	v_dual_mov_b32 v113, s9 :: v_dual_add_nc_u32 v124, 0xa00, v34
	s_mov_b32 s5, s4
	s_delay_alu instid0(VALU_DEP_2) | instskip(SKIP_3) | instid1(VALU_DEP_3)
	v_dual_mov_b32 v112, s8 :: v_dual_add_nc_u32 v33, v241, v36
	v_dual_mov_b32 v115, s5 :: v_dual_mov_b32 v114, s4
	v_lshlrev_b32_e32 v39, 2, v36
	s_lshl_b32 s56, s14, 7
	v_lshlrev_b32_e32 v34, 1, v33
	s_waitcnt lgkmcnt(0)
	s_cmp_ge_i32 s56, s79
	scratch_store_b32 off, v34, off offset:988 ; 4-byte Folded Spill
	s_cbranch_scc1 .LBB28_33
; %bb.20:
	s_clause 0x2
	scratch_store_b32 off, v33, off offset:1024
	scratch_store_b32 off, v38, off offset:1020
	;; [unrolled: 1-line block ×3, first 2 shown]
	s_clause 0x1
	s_load_b128 s[72:75], s[2:3], 0x98
	s_load_b64 s[82:83], s[2:3], 0x8c
	s_sub_i32 s1, 0, s15
	s_sub_i32 s4, 0, s12
	s_mul_i32 s1, s1, s19
	s_abs_i32 s5, s78
	s_mul_hi_u32 s1, s19, s1
	s_mul_i32 s4, s4, s18
	s_add_i32 s19, s19, s1
	s_mul_hi_u32 s1, s18, s4
	s_mul_hi_u32 s4, s5, s19
	s_ashr_i32 s11, s17, 31
	s_ashr_i32 s6, s84, 31
	s_add_i32 s18, s18, s1
	s_mul_i32 s1, s4, s15
	s_ashr_i32 s10, s78, 31
	s_sub_i32 s1, s5, s1
	s_abs_i32 s9, s84
	s_xor_b32 s10, s10, s11
	s_add_i32 s11, s4, 1
	s_waitcnt lgkmcnt(0)
	s_mul_i32 s13, s84, s73
	s_mul_hi_u32 s17, s84, s72
	s_mul_i32 s19, s6, s72
	s_add_i32 s87, s17, s13
	s_sub_i32 s5, s1, s15
	s_add_i32 s87, s87, s19
	s_cmp_ge_u32 s1, s15
	v_dual_mov_b32 v1, v36 :: v_dual_and_b32 v34, 0x7e, v36
	s_cselect_b32 s4, s11, s4
	s_cselect_b32 s1, s5, s1
	s_add_i32 s5, s4, 1
	s_cmp_ge_u32 s1, s15
	s_mul_i32 s73, s85, s7
	s_cselect_b32 s1, s5, s4
	s_mul_hi_u32 s4, s9, s18
	s_xor_b32 s1, s1, s10
	s_mul_i32 s4, s4, s12
	s_sub_i32 s90, s1, s10
	s_load_b64 s[10:11], s[2:3], 0xc8
	s_sub_i32 s1, s9, s4
	s_load_b32 s9, s[2:3], 0xd4
	s_mul_i32 s88, s90, s83
	s_mul_i32 s90, s90, s75
	s_ashr_i32 s89, s88, 31
	s_ashr_i32 s91, s90, 31
	s_sub_i32 s4, s1, s12
	s_cmp_ge_u32 s1, s12
	v_add_nc_u32_e32 v0, v241, v34
	s_cselect_b32 s1, s4, s1
	s_mov_b32 s57, s8
	s_sub_i32 s4, s1, s12
	s_cmp_ge_u32 s1, s12
	v_add_nc_u32_e32 v36, s16, v0
	s_cselect_b32 s1, s4, s1
	s_load_b64 s[4:5], s[2:3], 0xa8
	s_xor_b32 s1, s1, s6
	s_ashr_i32 s75, s73, 31
	s_sub_i32 s1, s1, s6
	v_ashrrev_i32_e32 v37, 31, v36
	s_waitcnt lgkmcnt(0)
	s_mul_i32 s11, s1, s11
	s_mul_hi_u32 s12, s1, s10
	s_ashr_i32 s13, s1, 31
	s_add_i32 s11, s12, s11
	s_mul_i32 s13, s13, s10
	s_mul_i32 s7, s1, s10
	s_add_i32 s11, s11, s13
	s_cmp_lg_u64 s[62:63], 0
	s_mov_b32 s67, s8
	s_cselect_b32 s10, -1, 0
	s_lshl_b32 s66, s9, 7
	s_cmp_lt_i32 s85, s76
	v_add_co_u32 v38, s9, v0, s16
	s_cselect_b32 s1, -1, 0
	s_clause 0x1
	scratch_store_b32 off, v1, off offset:1012
	scratch_store_b32 off, v39, off offset:1028
	s_and_b32 s83, s10, s1
	s_or_b32 s1, s85, 1
	v_bfe_u32 v40, v1, 3, 27
	s_cmp_lt_i32 s1, s76
	v_cmp_eq_u32_e64 s1, 0, v35
	v_add_nc_u32_e32 v35, 0x80, v39
	s_cselect_b32 s8, -1, 0
	v_mul_lo_u32 v42, v241, s74
	s_and_b32 s86, s10, s8
	s_ashr_i32 s8, s16, 31
	s_add_u32 s92, s58, s88
	v_lshrrev_b32_e32 v46, 5, v35
	v_and_b32_e32 v47, 12, v35
	v_add_co_ci_u32_e64 v39, null, 0, s8, s9
	s_addc_u32 s93, s59, s89
	s_lshl_b64 s[8:9], s[56:57], 1
	v_lshlrev_b64 v[35:36], 1, v[36:37]
	s_add_u32 s10, s62, s8
	s_addc_u32 s12, s63, s9
	s_add_u32 s10, s10, s7
	s_addc_u32 s12, s12, s11
	s_lshl_b64 s[80:81], s[66:67], 1
	v_add_co_u32 v27, vcc_lo, s10, v35
	v_add_co_ci_u32_e32 v33, vcc_lo, s12, v36, vcc_lo
	v_mul_hi_u32_u24_e32 v36, 20, v40
	v_mul_u32_u24_e32 v35, 20, v40
	v_lshlrev_b64 v[37:38], 1, v[38:39]
	s_add_u32 s7, s7, s8
	s_addc_u32 s8, s11, s9
	s_mul_i32 s5, s84, s5
	v_mad_u64_u32 v[44:45], null, s84, s4, v[35:36]
	s_mul_i32 s6, s6, s4
	s_add_u32 s62, s62, s7
	s_addc_u32 s57, s63, s8
	s_add_i32 s5, s5, s6
	v_mul_hi_u32_u24_e32 v40, 20, v46
	v_mul_u32_u24_e32 v39, 20, v46
	v_ashrrev_i32_e32 v43, 31, v42
	v_add_co_u32 v2, vcc_lo, s10, v37
	v_add_nc_u32_e32 v45, s5, v45
	v_add_co_ci_u32_e32 v3, vcc_lo, s12, v38, vcc_lo
	v_mad_u64_u32 v[60:61], null, s84, s4, v[39:40]
	v_add_co_u32 v11, vcc_lo, v44, v42
	s_delay_alu instid0(VALU_DEP_4) | instskip(SKIP_3) | instid1(VALU_DEP_3)
	v_add_co_ci_u32_e32 v13, vcc_lo, v45, v43, vcc_lo
	v_add_co_u32 v48, vcc_lo, v44, v47
	v_add_co_ci_u32_e32 v49, vcc_lo, 0, v45, vcc_lo
	v_add_nc_u32_e32 v57, s5, v61
	v_add_co_u32 v15, vcc_lo, v48, v42
	s_delay_alu instid0(VALU_DEP_3) | instskip(SKIP_1) | instid1(VALU_DEP_4)
	v_add_co_ci_u32_e32 v22, vcc_lo, v49, v43, vcc_lo
	v_add_co_u32 v59, vcc_lo, v60, v47
	v_add_co_ci_u32_e32 v58, vcc_lo, 0, v57, vcc_lo
	v_add_co_u32 v1, vcc_lo, v60, v42
	v_add_co_ci_u32_e32 v5, vcc_lo, v57, v43, vcc_lo
	s_delay_alu instid0(VALU_DEP_4) | instskip(SKIP_4) | instid1(VALU_DEP_4)
	v_add_co_u32 v6, vcc_lo, v59, v42
	v_add_nc_u32_e32 v55, s74, v42
	v_add_co_ci_u32_e32 v8, vcc_lo, v58, v43, vcc_lo
	v_add_co_u32 v52, vcc_lo, v44, s90
	v_add_co_ci_u32_e32 v50, vcc_lo, s91, v45, vcc_lo
	v_ashrrev_i32_e32 v56, 31, v55
	v_add_co_u32 v53, vcc_lo, v48, s90
	v_add_co_ci_u32_e32 v51, vcc_lo, s91, v49, vcc_lo
	v_add_co_u32 v9, vcc_lo, v52, v55
	s_delay_alu instid0(VALU_DEP_4) | instskip(NEXT) | instid1(VALU_DEP_4)
	v_add_co_ci_u32_e32 v10, vcc_lo, v50, v56, vcc_lo
	v_add_co_u32 v14, vcc_lo, v53, v55
	s_delay_alu instid0(VALU_DEP_4) | instskip(SKIP_4) | instid1(VALU_DEP_3)
	v_add_co_ci_u32_e32 v12, vcc_lo, v51, v56, vcc_lo
	v_add_co_u32 v54, vcc_lo, v60, s90
	v_add_nc_u32_e32 v60, 31, v241
	v_add_co_ci_u32_e32 v57, vcc_lo, s91, v57, vcc_lo
	v_add_co_u32 v59, vcc_lo, v59, s90
	v_mul_lo_u32 v60, s74, v60
	v_add_co_ci_u32_e32 v58, vcc_lo, s91, v58, vcc_lo
	v_add_co_u32 v66, vcc_lo, v54, v55
	v_add_co_ci_u32_e32 v65, vcc_lo, v57, v56, vcc_lo
	v_add_nc_u32_e32 v63, 30, v241
	v_add_co_u32 v4, vcc_lo, v59, v55
	v_ashrrev_i32_e32 v64, 31, v60
	v_add_co_ci_u32_e32 v21, vcc_lo, v58, v56, vcc_lo
	v_add_co_u32 v20, vcc_lo, v59, v60
	v_mul_lo_u32 v63, s74, v63
	s_delay_alu instid0(VALU_DEP_4)
	v_add_co_ci_u32_e32 v69, vcc_lo, v58, v64, vcc_lo
	v_add_co_u32 v17, vcc_lo, v54, v60
	v_add_co_ci_u32_e32 v19, vcc_lo, v57, v64, vcc_lo
	v_add_co_u32 v196, vcc_lo, v53, v60
	v_add_co_ci_u32_e32 v193, vcc_lo, v51, v64, vcc_lo
	v_add_nc_u32_e32 v71, 29, v241
	v_add_co_u32 v16, vcc_lo, v52, v60
	v_ashrrev_i32_e32 v72, 31, v63
	v_add_co_ci_u32_e32 v18, vcc_lo, v50, v64, vcc_lo
	v_add_co_u32 v73, vcc_lo, v59, v63
	v_mul_lo_u32 v71, s74, v71
	s_delay_alu instid0(VALU_DEP_4)
	v_add_co_ci_u32_e32 v74, vcc_lo, v58, v72, vcc_lo
	v_add_co_u32 v75, vcc_lo, v54, v63
	v_add_co_ci_u32_e32 v76, vcc_lo, v57, v72, vcc_lo
	v_add_co_u32 v77, vcc_lo, v53, v63
	v_add_co_ci_u32_e32 v78, vcc_lo, v51, v72, vcc_lo
	v_add_nc_u32_e32 v79, 28, v241
	v_add_co_u32 v170, vcc_lo, v52, v63
	v_ashrrev_i32_e32 v80, 31, v71
	v_add_co_ci_u32_e32 v72, vcc_lo, v50, v72, vcc_lo
	v_add_co_u32 v81, vcc_lo, v59, v71
	v_mul_lo_u32 v79, s74, v79
	s_delay_alu instid0(VALU_DEP_4)
	v_add_co_ci_u32_e32 v82, vcc_lo, v58, v80, vcc_lo
	v_add_co_u32 v83, vcc_lo, v54, v71
	v_add_co_ci_u32_e32 v84, vcc_lo, v57, v80, vcc_lo
	v_add_co_u32 v85, vcc_lo, v53, v71
	v_add_co_ci_u32_e32 v86, vcc_lo, v51, v80, vcc_lo
	v_add_nc_u32_e32 v87, 27, v241
	v_add_co_u32 v71, vcc_lo, v52, v71
	v_ashrrev_i32_e32 v88, 31, v79
	v_add_co_ci_u32_e32 v80, vcc_lo, v50, v80, vcc_lo
	v_add_nc_u32_e32 v95, 26, v241
	v_add_co_u32 v89, vcc_lo, v59, v79
	v_mul_lo_u32 v87, s74, v87
	v_add_co_ci_u32_e32 v90, vcc_lo, v58, v88, vcc_lo
	v_add_nc_u32_e32 v103, 25, v241
	v_add_co_u32 v91, vcc_lo, v54, v79
	v_mul_lo_u32 v95, s74, v95
	v_add_co_ci_u32_e32 v92, vcc_lo, v57, v88, vcc_lo
	v_add_co_u32 v93, vcc_lo, v53, v79
	v_mul_lo_u32 v103, s74, v103
	v_add_co_ci_u32_e32 v94, vcc_lo, v51, v88, vcc_lo
	v_add_co_u32 v79, vcc_lo, v52, v79
	v_ashrrev_i32_e32 v96, 31, v87
	v_add_nc_u32_e32 v111, 24, v241
	v_add_co_ci_u32_e32 v88, vcc_lo, v50, v88, vcc_lo
	v_add_co_u32 v97, vcc_lo, v54, v87
	v_add_co_u32 v98, s4, v53, v87
	v_add_co_u32 v99, s5, v52, v87
	;; [unrolled: 1-line block ×3, first 2 shown]
	v_ashrrev_i32_e32 v104, 31, v95
	v_add_co_ci_u32_e64 v100, s6, v58, v96, s6
	v_add_co_ci_u32_e32 v101, vcc_lo, v57, v96, vcc_lo
	v_add_co_ci_u32_e64 v102, vcc_lo, v51, v96, s4
	v_add_co_ci_u32_e64 v96, vcc_lo, v50, v96, s5
	v_mul_lo_u32 v111, s74, v111
	v_add_co_u32 v105, vcc_lo, v54, v95
	v_add_co_u32 v106, s4, v53, v95
	v_add_co_u32 v107, s5, v52, v95
	;; [unrolled: 1-line block ×3, first 2 shown]
	v_ashrrev_i32_e32 v112, 31, v103
	v_add_co_ci_u32_e64 v108, s6, v58, v104, s6
	v_add_co_ci_u32_e32 v60, vcc_lo, v57, v104, vcc_lo
	v_add_co_ci_u32_e64 v110, vcc_lo, v51, v104, s4
	v_add_co_ci_u32_e64 v104, vcc_lo, v50, v104, s5
	v_add_co_u32 v118, vcc_lo, v54, v103
	v_add_co_u32 v119, s4, v53, v103
	v_add_co_u32 v120, s5, v52, v103
	;; [unrolled: 1-line block ×3, first 2 shown]
	s_delay_alu instid0(VALU_DEP_1)
	v_add_co_ci_u32_e64 v121, s6, v58, v112, s6
	v_add_co_ci_u32_e32 v122, vcc_lo, v57, v112, vcc_lo
	v_add_co_ci_u32_e64 v123, vcc_lo, v51, v112, s4
	v_add_co_ci_u32_e64 v125, vcc_lo, v50, v112, s5
	v_add_nc_u32_e32 v112, 23, v241
	v_ashrrev_i32_e32 v113, 31, v111
	v_add_co_u32 v126, vcc_lo, v54, v111
	v_add_co_u32 v127, s4, v53, v111
	s_delay_alu instid0(VALU_DEP_4) | instskip(SKIP_2) | instid1(VALU_DEP_1)
	v_mul_lo_u32 v112, s74, v112
	v_add_co_u32 v128, s5, v52, v111
	v_add_co_u32 v111, s6, v59, v111
	v_add_co_ci_u32_e64 v129, s6, v58, v113, s6
	v_add_co_ci_u32_e32 v130, vcc_lo, v57, v113, vcc_lo
	v_add_co_ci_u32_e64 v131, vcc_lo, v51, v113, s4
	v_add_co_ci_u32_e64 v132, vcc_lo, v50, v113, s5
	v_add_nc_u32_e32 v113, 22, v241
	v_ashrrev_i32_e32 v114, 31, v112
	v_add_co_u32 v133, vcc_lo, v54, v112
	v_add_co_u32 v134, s4, v53, v112
	s_delay_alu instid0(VALU_DEP_4)
	v_mul_lo_u32 v113, s74, v113
	v_add_co_u32 v135, s5, v52, v112
	v_add_co_u32 v136, s6, v59, v112
	v_add_nc_u32_e32 v112, 21, v241
	v_add_co_ci_u32_e64 v137, s6, v58, v114, s6
	v_add_co_ci_u32_e32 v138, vcc_lo, v57, v114, vcc_lo
	s_delay_alu instid0(VALU_DEP_3)
	v_mul_lo_u32 v112, s74, v112
	v_add_co_ci_u32_e64 v139, vcc_lo, v51, v114, s4
	v_add_co_ci_u32_e64 v140, vcc_lo, v50, v114, s5
	v_ashrrev_i32_e32 v114, 31, v113
	v_add_co_u32 v141, vcc_lo, v54, v113
	v_add_co_u32 v142, s4, v53, v113
	v_add_co_u32 v143, s5, v52, v113
	;; [unrolled: 1-line block ×3, first 2 shown]
	v_add_nc_u32_e32 v113, 20, v241
	v_add_co_ci_u32_e64 v145, s6, v58, v114, s6
	v_add_co_ci_u32_e32 v146, vcc_lo, v57, v114, vcc_lo
	v_add_co_ci_u32_e64 v147, vcc_lo, v51, v114, s4
	v_add_co_ci_u32_e64 v63, vcc_lo, v50, v114, s5
	v_mul_lo_u32 v113, s74, v113
	v_ashrrev_i32_e32 v114, 31, v112
	v_add_co_u32 v149, vcc_lo, v54, v112
	v_add_co_u32 v150, s4, v53, v112
	v_add_co_u32 v151, s5, v52, v112
	;; [unrolled: 1-line block ×3, first 2 shown]
	v_add_nc_u32_e32 v112, 19, v241
	v_add_nc_u32_e32 v34, s74, v55
	v_add_co_ci_u32_e64 v48, s6, v58, v114, s6
	v_add_co_ci_u32_e32 v154, vcc_lo, v57, v114, vcc_lo
	s_delay_alu instid0(VALU_DEP_4)
	v_mul_lo_u32 v112, s74, v112
	v_add_co_ci_u32_e64 v155, vcc_lo, v51, v114, s4
	v_add_co_ci_u32_e64 v64, vcc_lo, v50, v114, s5
	v_ashrrev_i32_e32 v114, 31, v113
	v_add_nc_u32_e32 v179, s74, v34
	v_add_co_u32 v246, vcc_lo, v54, v113
	v_add_co_u32 v158, s4, v53, v113
	v_add_co_u32 v159, s5, v52, v113
	;; [unrolled: 1-line block ×3, first 2 shown]
	s_delay_alu instid0(VALU_DEP_1)
	v_add_co_ci_u32_e64 v7, s6, v58, v114, s6
	v_add_co_ci_u32_e32 v162, vcc_lo, v57, v114, vcc_lo
	v_add_co_ci_u32_e64 v163, vcc_lo, v51, v114, s4
	v_add_co_ci_u32_e64 v248, vcc_lo, v50, v114, s5
	v_ashrrev_i32_e32 v113, 31, v112
	v_add_co_u32 v166, vcc_lo, v54, v112
	v_add_co_u32 v167, s4, v53, v112
	v_add_co_u32 v109, s5, v52, v112
	;; [unrolled: 1-line block ×3, first 2 shown]
	v_add_nc_u32_e32 v112, s74, v179
	v_add_co_ci_u32_e64 v174, s6, v58, v113, s6
	v_add_co_ci_u32_e32 v175, vcc_lo, v57, v113, vcc_lo
	v_add_co_ci_u32_e64 v177, vcc_lo, v51, v113, s4
	v_add_co_ci_u32_e64 v249, vcc_lo, v50, v113, s5
	v_add_nc_u32_e32 v113, s74, v112
	v_ashrrev_i32_e32 v254, 31, v112
	v_add_co_u32 v189, s41, v59, v112
	v_ashrrev_i32_e32 v255, 31, v34
	s_delay_alu instid0(VALU_DEP_4) | instskip(SKIP_3) | instid1(VALU_DEP_4)
	v_add_nc_u32_e32 v114, s74, v113
	v_ashrrev_i32_e32 v253, 31, v113
	v_ashrrev_i32_e32 v239, 31, v179
	v_add_co_u32 v191, s54, v54, v179
	v_add_nc_u32_e32 v115, s74, v114
	v_ashrrev_i32_e32 v251, 31, v114
	v_add_co_u32 v188, s43, v53, v112
	v_add_co_u32 v56, s44, v52, v112
	s_delay_alu instid0(VALU_DEP_4) | instskip(SKIP_3) | instid1(VALU_DEP_4)
	v_add_nc_u32_e32 v116, s74, v115
	v_ashrrev_i32_e32 v247, 31, v115
	v_add_co_u32 v234, s48, v52, v34
	v_add_co_u32 v187, s42, v54, v112
	v_add_nc_u32_e32 v117, s74, v116
	v_ashrrev_i32_e32 v242, 31, v116
	v_add_co_u32 v192, s27, v52, v116
	s_delay_alu instid0(VALU_DEP_3) | instskip(SKIP_1) | instid1(VALU_DEP_2)
	v_add_nc_u32_e32 v164, s74, v117
	v_ashrrev_i32_e32 v237, 31, v117
	v_add_nc_u32_e32 v168, s74, v164
	v_ashrrev_i32_e32 v232, 31, v164
	s_delay_alu instid0(VALU_DEP_2) | instskip(SKIP_1) | instid1(VALU_DEP_2)
	v_add_nc_u32_e32 v169, s74, v168
	v_ashrrev_i32_e32 v227, 31, v168
	v_add_nc_u32_e32 v172, s74, v169
	v_ashrrev_i32_e32 v222, 31, v169
	v_add_co_u32 v156, s7, v59, v169
	s_delay_alu instid0(VALU_DEP_3) | instskip(SKIP_1) | instid1(VALU_DEP_2)
	v_add_nc_u32_e32 v181, s74, v172
	v_ashrrev_i32_e32 v217, 31, v172
	v_add_nc_u32_e32 v173, s74, v181
	v_ashrrev_i32_e32 v238, 31, v181
	v_add_co_u32 v42, s46, v53, v181
	v_add_co_u32 v44, s49, v52, v181
	s_delay_alu instid0(VALU_DEP_4) | instskip(NEXT) | instid1(VALU_DEP_4)
	v_add_nc_u32_e32 v176, s74, v173
	v_add_co_ci_u32_e64 v35, s46, v51, v238, s46
	v_add_co_ci_u32_e64 v38, s46, v50, v238, s49
	s_delay_alu instid0(VALU_DEP_3) | instskip(NEXT) | instid1(VALU_DEP_1)
	v_add_nc_u32_e32 v180, s74, v176
	v_add_nc_u32_e32 v182, s74, v180
	v_ashrrev_i32_e32 v190, 31, v180
	s_delay_alu instid0(VALU_DEP_2) | instskip(SKIP_4) | instid1(VALU_DEP_1)
	v_ashrrev_i32_e32 v183, 31, v182
	v_add_co_u32 v161, vcc_lo, v54, v182
	v_add_co_u32 v148, s4, v53, v182
	v_add_co_u32 v160, s5, v52, v182
	;; [unrolled: 1-line block ×3, first 2 shown]
	v_add_co_ci_u32_e64 v165, s6, v58, v183, s6
	v_add_co_ci_u32_e32 v178, vcc_lo, v57, v183, vcc_lo
	v_add_co_ci_u32_e64 v184, vcc_lo, v51, v183, s4
	v_add_co_ci_u32_e64 v183, vcc_lo, v50, v183, s5
	v_add_co_u32 v186, vcc_lo, v54, v180
	v_add_co_u32 v194, s4, v53, v180
	v_add_co_u32 v195, s5, v52, v180
	;; [unrolled: 1-line block ×3, first 2 shown]
	v_ashrrev_i32_e32 v180, 31, v176
	v_add_co_ci_u32_e64 v198, s6, v58, v190, s6
	v_add_co_ci_u32_e32 v199, vcc_lo, v57, v190, vcc_lo
	v_add_co_ci_u32_e64 v200, vcc_lo, v51, v190, s4
	v_add_co_ci_u32_e64 v185, vcc_lo, v50, v190, s5
	v_add_co_u32 v201, vcc_lo, v54, v176
	v_add_co_u32 v202, s4, v53, v176
	v_add_co_u32 v203, s5, v52, v176
	;; [unrolled: 1-line block ×3, first 2 shown]
	v_ashrrev_i32_e32 v176, 31, v173
	v_add_co_ci_u32_e64 v205, s6, v58, v180, s6
	v_add_co_u32 v212, s6, v59, v173
	s_delay_alu instid0(VALU_DEP_1)
	v_add_co_ci_u32_e64 v213, s6, v58, v176, s6
	v_add_co_u32 v23, s6, v52, v172
	v_add_co_ci_u32_e32 v206, vcc_lo, v57, v180, vcc_lo
	v_add_co_ci_u32_e64 v207, vcc_lo, v51, v180, s4
	scratch_store_b32 off, v23, off offset:464 ; 4-byte Folded Spill
	v_add_co_u32 v23, s8, v54, v169
	v_add_co_ci_u32_e64 v208, vcc_lo, v50, v180, s5
	v_add_co_u32 v209, vcc_lo, v54, v173
	scratch_store_b32 off, v23, off offset:448 ; 4-byte Folded Spill
	v_add_co_u32 v23, s9, v53, v169
	v_add_co_u32 v210, s4, v53, v173
	;; [unrolled: 1-line block ×3, first 2 shown]
	scratch_store_b32 off, v23, off offset:468 ; 4-byte Folded Spill
	v_add_co_u32 v23, s10, v52, v169
	v_add_co_ci_u32_e32 v214, vcc_lo, v57, v176, vcc_lo
	v_add_co_ci_u32_e64 v215, vcc_lo, v51, v176, s4
	scratch_store_b32 off, v23, off offset:432 ; 4-byte Folded Spill
	v_add_co_u32 v23, s11, v59, v168
	v_add_co_ci_u32_e64 v216, vcc_lo, v50, v176, s5
	v_add_co_u32 v152, vcc_lo, v59, v172
	scratch_store_b32 off, v23, off offset:452 ; 4-byte Folded Spill
	v_add_co_u32 v23, s12, v54, v168
	v_add_co_u32 v173, s37, v59, v113
	v_add_co_u32 v190, s47, v53, v179
	scratch_store_b32 off, v23, off offset:428 ; 4-byte Folded Spill
	v_add_co_u32 v23, s13, v53, v168
	v_add_co_u32 v153, s4, v54, v172
	v_add_co_u32 v157, s5, v53, v172
	;; [unrolled: 4-line block ×4, first 2 shown]
	scratch_store_b32 off, v23, off offset:444 ; 4-byte Folded Spill
	v_add_co_u32 v23, s17, v54, v164
	v_add_co_u32 v180, s40, v52, v113
	v_add_co_ci_u32_e32 v37, vcc_lo, v58, v217, vcc_lo
	scratch_store_b32 off, v23, off offset:456 ; 4-byte Folded Spill
	v_add_co_u32 v23, s18, v53, v164
	v_add_co_ci_u32_e64 v40, vcc_lo, v57, v217, s4
	v_add_co_ci_u32_e64 v39, vcc_lo, v51, v217, s5
	scratch_store_b32 off, v23, off offset:460 ; 4-byte Folded Spill
	v_add_co_u32 v23, s19, v52, v164
	v_add_co_ci_u32_e64 v217, vcc_lo, v50, v217, s6
	v_add_co_ci_u32_e64 v41, vcc_lo, v58, v222, s7
	scratch_store_b32 off, v23, off offset:472 ; 4-byte Folded Spill
	v_add_co_u32 v23, s20, v59, v117
	v_add_co_ci_u32_e64 v45, vcc_lo, v57, v222, s8
	v_add_co_ci_u32_e64 v43, vcc_lo, v51, v222, s9
	scratch_store_b32 off, v23, off offset:476 ; 4-byte Folded Spill
	v_add_co_u32 v23, s21, v54, v117
	v_add_co_ci_u32_e64 v222, vcc_lo, v50, v222, s10
	v_add_co_ci_u32_e64 v46, vcc_lo, v58, v227, s11
	scratch_store_b32 off, v23, off offset:488 ; 4-byte Folded Spill
	v_add_co_u32 v23, s22, v53, v117
	v_add_co_ci_u32_e64 v250, vcc_lo, v57, v227, s12
	v_add_co_ci_u32_e64 v47, vcc_lo, v51, v227, s13
	scratch_store_b32 off, v23, off offset:492 ; 4-byte Folded Spill
	v_add_co_u32 v23, s23, v52, v117
	v_add_co_ci_u32_e64 v227, vcc_lo, v50, v227, s15
	v_add_co_ci_u32_e64 v112, vcc_lo, v58, v232, s16
	scratch_store_b32 off, v23, off offset:504 ; 4-byte Folded Spill
	v_add_co_u32 v23, s24, v59, v116
	v_add_co_ci_u32_e64 v113, vcc_lo, v51, v232, s18
	v_add_co_ci_u32_e64 v117, vcc_lo, v57, v237, s21
	scratch_store_b32 off, v23, off offset:508 ; 4-byte Folded Spill
	v_add_co_u32 v23, s25, v54, v116
	v_add_co_ci_u32_e64 v252, vcc_lo, v58, v242, s24
	v_add_co_ci_u32_e64 v244, vcc_lo, v57, v242, s25
	scratch_store_b32 off, v23, off offset:520 ; 4-byte Folded Spill
	v_add_co_u32 v23, s26, v53, v116
	v_add_co_ci_u32_e64 v116, vcc_lo, v51, v237, s22
	v_add_co_ci_u32_e64 v243, vcc_lo, v51, v242, s26
	scratch_store_b32 off, v23, off offset:524 ; 4-byte Folded Spill
	v_add_co_u32 v23, s28, v59, v115
	v_add_co_ci_u32_e64 v235, vcc_lo, v50, v242, s27
	v_add_co_ci_u32_e64 v240, vcc_lo, v58, v247, s28
	scratch_store_b32 off, v23, off offset:872 ; 4-byte Folded Spill
	v_add_co_u32 v23, s29, v54, v115
	s_delay_alu instid0(VALU_DEP_1) | instskip(SKIP_3) | instid1(VALU_DEP_1)
	v_add_co_ci_u32_e64 v231, vcc_lo, v57, v247, s29
	v_add_co_ci_u32_e64 v225, vcc_lo, v57, v251, s34
	scratch_store_b32 off, v23, off offset:856 ; 4-byte Folded Spill
	v_add_co_u32 v23, s30, v53, v115
	v_add_co_ci_u32_e64 v236, vcc_lo, v51, v247, s30
	v_add_co_ci_u32_e64 v228, vcc_lo, v50, v251, s36
	scratch_store_b32 off, v23, off offset:868 ; 4-byte Folded Spill
	v_add_co_u32 v23, s31, v52, v115
	;; [unrolled: 4-line block ×7, first 2 shown]
	scratch_store_b32 off, v33, off offset:32 ; 4-byte Folded Spill
	v_add_co_u32 v33, s45, v53, v34
	scratch_store_b32 off, v23, off         ; 4-byte Folded Spill
	v_add_co_u32 v23, s53, v59, v179
	v_add_co_u32 v179, s55, v59, v181
	v_mbcnt_lo_u32_b32 v59, -1, 0
	scratch_store_b32 off, v23, off offset:864 ; 4-byte Folded Spill
	v_add_co_ci_u32_e64 v220, vcc_lo, v50, v253, s40
	v_add_co_ci_u32_e64 v218, vcc_lo, v51, v254, s43
	;; [unrolled: 1-line block ×7, first 2 shown]
	v_and_b32_e32 v50, 30, v59
	v_add_co_ci_u32_e64 v34, s55, v58, v238, s55
	v_add_co_u32 v181, s55, v54, v181
	s_delay_alu instid0(VALU_DEP_3)
	v_add_nc_u32_e32 v50, 2, v50
	v_xor_b32_e32 v54, 1, v59
	v_add_co_ci_u32_e64 v221, vcc_lo, v58, v254, s41
	v_add_co_ci_u32_e64 v224, vcc_lo, v57, v254, s42
	scratch_store_b32 off, v23, off offset:876 ; 4-byte Folded Spill
	v_add_co_ci_u32_e64 v219, vcc_lo, v58, v239, s53
	v_add_co_ci_u32_e64 v254, vcc_lo, v57, v239, s54
	;; [unrolled: 1-line block ×4, first 2 shown]
	v_cmp_lt_i32_e32 vcc_lo, v54, v50
	v_add_co_ci_u32_e64 v36, s55, v57, v238, s55
	v_xor_b32_e32 v57, 8, v59
	v_xor_b32_e32 v58, 16, v59
	v_cndmask_b32_e32 v50, v59, v54, vcc_lo
	v_xor_b32_e32 v54, 4, v59
	s_mul_i32 s8, s84, s72
	s_mul_i32 s4, s56, s74
	v_add_co_u32 v32, s9, s8, v32
	v_lshlrev_b32_e32 v50, 2, v50
	s_mul_i32 s5, s56, s82
	s_mul_i32 s6, s66, s82
	;; [unrolled: 1-line block ×3, first 2 shown]
	scratch_store_b32 off, v50, off offset:424 ; 4-byte Folded Spill
	v_xor_b32_e32 v50, 2, v59
	s_delay_alu instid0(VALU_DEP_1) | instskip(SKIP_2) | instid1(VALU_DEP_2)
	v_cmp_gt_i32_e32 vcc_lo, 32, v50
	v_cndmask_b32_e32 v50, v59, v50, vcc_lo
	v_cmp_gt_i32_e32 vcc_lo, 32, v54
	v_lshlrev_b32_e32 v50, 2, v50
	v_cndmask_b32_e32 v54, v59, v54, vcc_lo
	v_cmp_gt_i32_e32 vcc_lo, 32, v57
	scratch_store_b32 off, v50, off offset:992 ; 4-byte Folded Spill
	v_dual_cndmask_b32 v57, v59, v57 :: v_dual_lshlrev_b32 v50, 2, v54
	v_cmp_gt_i32_e32 vcc_lo, 32, v58
	v_lshlrev_b32_e32 v54, 1, v0
	scratch_store_b32 off, v50, off offset:996 ; 4-byte Folded Spill
	v_lshlrev_b32_e32 v50, 2, v57
	v_cndmask_b32_e32 v58, v59, v58, vcc_lo
	v_add_co_ci_u32_e64 v59, null, s87, 0, s9
	v_add_co_u32 v54, s9, s62, v54
	scratch_store_b32 off, v50, off offset:1000 ; 4-byte Folded Spill
	v_lshlrev_b32_e32 v50, 2, v58
	scratch_store_b32 off, v50, off offset:1004 ; 4-byte Folded Spill
	v_lshlrev_b32_e32 v50, 1, v241
	scratch_store_b32 off, v50, off offset:1008 ; 4-byte Folded Spill
	v_mul_lo_u32 v50, v0, s82
	s_delay_alu instid0(VALU_DEP_1) | instskip(NEXT) | instid1(VALU_DEP_1)
	v_add_nc_u32_e32 v57, s82, v50
	v_ashrrev_i32_e32 v58, 31, v57
	v_add_co_u32 v238, vcc_lo, v32, v57
	s_delay_alu instid0(VALU_DEP_2) | instskip(NEXT) | instid1(VALU_DEP_2)
	v_add_co_ci_u32_e32 v239, vcc_lo, v59, v58, vcc_lo
	v_add_co_u32 v238, vcc_lo, s92, v238
	s_clause 0x1
	scratch_store_b32 off, v23, off offset:880
	scratch_store_b32 off, v238, off offset:8
	v_add_co_ci_u32_e32 v238, vcc_lo, s93, v239, vcc_lo
	v_add_co_u32 v54, vcc_lo, v54, 2
	scratch_store_b32 off, v238, off offset:12 ; 4-byte Folded Spill
	v_add_co_ci_u32_e64 v238, null, s57, 0, s9
	scratch_store_b32 off, v54, off offset:16 ; 4-byte Folded Spill
	s_add_u32 s9, s60, s90
	s_addc_u32 s10, s61, s91
	v_add_co_ci_u32_e32 v54, vcc_lo, 0, v238, vcc_lo
	v_add_co_u32 v62, vcc_lo, v2, 2
	v_add_co_ci_u32_e32 v53, vcc_lo, 0, v3, vcc_lo
	scratch_store_b32 off, v54, off offset:20 ; 4-byte Folded Spill
	v_add_co_u32 v54, vcc_lo, s9, v15
	v_add_co_ci_u32_e32 v238, vcc_lo, s10, v22, vcc_lo
	v_add_co_u32 v0, vcc_lo, s9, v11
	v_add_co_ci_u32_e32 v2, vcc_lo, s10, v13, vcc_lo
	s_delay_alu instid0(VALU_DEP_4) | instskip(NEXT) | instid1(VALU_DEP_4)
	v_add_co_u32 v3, vcc_lo, v54, 4
	v_add_co_ci_u32_e32 v13, vcc_lo, 0, v238, vcc_lo
	v_add_co_u32 v1, vcc_lo, s9, v1
	s_add_u32 s11, s92, s8
	v_add_co_ci_u32_e32 v11, vcc_lo, s10, v5, vcc_lo
	v_add_co_u32 v5, vcc_lo, s11, v57
	s_addc_u32 s12, s93, s87
	v_ashrrev_i32_e32 v57, 31, v50
	s_add_u32 s8, s8, s88
	scratch_store_b32 off, v5, off offset:24 ; 4-byte Folded Spill
	v_add_co_ci_u32_e32 v5, vcc_lo, s12, v58, vcc_lo
	v_add_co_u32 v32, vcc_lo, v32, s88
	v_add_co_ci_u32_e32 v54, vcc_lo, s89, v59, vcc_lo
	s_delay_alu instid0(VALU_DEP_2) | instskip(NEXT) | instid1(VALU_DEP_2)
	v_add_co_u32 v32, vcc_lo, v32, v50
	v_add_co_ci_u32_e32 v54, vcc_lo, v54, v57, vcc_lo
	v_add_co_u32 v58, vcc_lo, s9, v6
	v_add_co_ci_u32_e32 v59, vcc_lo, s10, v8, vcc_lo
	s_delay_alu instid0(VALU_DEP_4) | instskip(NEXT) | instid1(VALU_DEP_4)
	v_add_co_u32 v52, vcc_lo, s58, v32
	v_add_co_ci_u32_e32 v8, vcc_lo, s59, v54, vcc_lo
	s_delay_alu instid0(VALU_DEP_4) | instskip(NEXT) | instid1(VALU_DEP_4)
	v_add_co_u32 v55, vcc_lo, v58, 4
	v_add_co_ci_u32_e32 v6, vcc_lo, 0, v59, vcc_lo
	v_add_co_u32 v32, vcc_lo, v14, s60
	v_add_co_ci_u32_e32 v54, vcc_lo, s61, v12, vcc_lo
	;; [unrolled: 2-line block ×3, first 2 shown]
	s_delay_alu instid0(VALU_DEP_4) | instskip(NEXT) | instid1(VALU_DEP_4)
	v_add_co_u32 v10, vcc_lo, v32, 4
	v_add_co_ci_u32_e32 v12, vcc_lo, 0, v54, vcc_lo
	v_add_co_u32 v32, vcc_lo, v4, s60
	v_add_co_ci_u32_e32 v54, vcc_lo, s61, v21, vcc_lo
	;; [unrolled: 2-line block ×3, first 2 shown]
	s_addc_u32 s9, s87, s89
	s_add_u32 s8, s58, s8
	s_addc_u32 s9, s59, s9
	scratch_store_b32 off, v4, off offset:828 ; 4-byte Folded Spill
	v_add_co_u32 v4, vcc_lo, v32, 4
	v_add_co_ci_u32_e32 v54, vcc_lo, 0, v54, vcc_lo
	v_add_co_u32 v32, vcc_lo, v33, s60
	v_add_co_ci_u32_e32 v33, vcc_lo, s61, v242, vcc_lo
	scratch_store_b32 off, v4, off offset:812 ; 4-byte Folded Spill
	v_add_co_u32 v4, vcc_lo, s60, v234
	v_add_co_ci_u32_e32 v58, vcc_lo, s61, v51, vcc_lo
	scratch_store_b32 off, v4, off offset:808 ; 4-byte Folded Spill
	v_add_co_u32 v4, vcc_lo, v32, 4
	s_clause 0x1
	scratch_store_b32 off, v5, off offset:28
	scratch_store_b32 off, v4, off offset:804
	v_add_co_ci_u32_e32 v4, vcc_lo, 0, v33, vcc_lo
	v_add_co_u32 v32, vcc_lo, s8, v50
	v_add_co_ci_u32_e32 v33, vcc_lo, s9, v57, vcc_lo
	v_add_co_u32 v50, vcc_lo, v20, s60
	v_add_co_ci_u32_e32 v51, vcc_lo, s61, v69, vcc_lo
	s_delay_alu instid0(VALU_DEP_4) | instskip(NEXT) | instid1(VALU_DEP_4)
	v_add_co_u32 v57, vcc_lo, 0x8c, v32
	v_add_co_ci_u32_e32 v59, vcc_lo, 0, v33, vcc_lo
	s_delay_alu instid0(VALU_DEP_4)
	v_add_co_u32 v5, vcc_lo, v50, 4
	s_clause 0x1
	scratch_store_b32 off, v4, off offset:844
	scratch_store_b32 off, v5, off offset:536
	v_add_co_ci_u32_e32 v5, vcc_lo, 0, v51, vcc_lo
	v_add_co_u32 v32, vcc_lo, v196, s60
	v_add_co_ci_u32_e32 v33, vcc_lo, s61, v193, vcc_lo
	scratch_store_b32 off, v5, off offset:540 ; 4-byte Folded Spill
	v_add_co_u32 v5, vcc_lo, s60, v17
	v_add_co_ci_u32_e32 v61, vcc_lo, s61, v19, vcc_lo
	scratch_store_b32 off, v5, off offset:544 ; 4-byte Folded Spill
	v_add_co_u32 v5, vcc_lo, v32, 4
	scratch_store_b32 off, v5, off offset:548 ; 4-byte Folded Spill
	v_add_co_ci_u32_e32 v5, vcc_lo, 0, v33, vcc_lo
	v_add_co_u32 v32, vcc_lo, v73, s60
	v_add_co_ci_u32_e32 v33, vcc_lo, s61, v74, vcc_lo
	scratch_store_b32 off, v5, off offset:552 ; 4-byte Folded Spill
	v_add_co_u32 v5, vcc_lo, s60, v16
	v_add_co_ci_u32_e32 v18, vcc_lo, s61, v18, vcc_lo
	v_add_co_u32 v67, vcc_lo, v32, 4
	v_add_co_ci_u32_e32 v17, vcc_lo, 0, v33, vcc_lo
	;; [unrolled: 2-line block ×3, first 2 shown]
	scratch_store_b32 off, v5, off offset:556 ; 4-byte Folded Spill
	v_add_co_u32 v5, vcc_lo, s60, v75
	scratch_store_b32 off, v5, off offset:560 ; 4-byte Folded Spill
	v_add_co_ci_u32_e32 v5, vcc_lo, s61, v76, vcc_lo
	scratch_store_b32 off, v5, off offset:564 ; 4-byte Folded Spill
	v_add_co_u32 v5, vcc_lo, v32, 4
	v_add_co_ci_u32_e32 v4, vcc_lo, 0, v33, vcc_lo
	v_add_co_u32 v32, vcc_lo, v81, s60
	v_add_co_ci_u32_e32 v33, vcc_lo, s61, v82, vcc_lo
	s_clause 0x1
	scratch_store_b32 off, v5, off offset:568
	scratch_store_b32 off, v4, off offset:832
	v_add_co_u32 v4, vcc_lo, s60, v170
	v_add_co_ci_u32_e32 v19, vcc_lo, s61, v72, vcc_lo
	v_add_co_u32 v5, vcc_lo, v32, 4
	s_clause 0x1
	scratch_store_b32 off, v4, off offset:836
	scratch_store_b32 off, v5, off offset:572
	v_add_co_ci_u32_e32 v5, vcc_lo, 0, v33, vcc_lo
	v_add_co_u32 v32, vcc_lo, v85, s60
	v_add_co_ci_u32_e32 v33, vcc_lo, s61, v86, vcc_lo
	scratch_store_b32 off, v5, off offset:576 ; 4-byte Folded Spill
	v_add_co_u32 v5, vcc_lo, s60, v83
	scratch_store_b32 off, v5, off offset:580 ; 4-byte Folded Spill
	v_add_co_ci_u32_e32 v5, vcc_lo, s61, v84, vcc_lo
	scratch_store_b32 off, v5, off offset:584 ; 4-byte Folded Spill
	v_add_co_u32 v5, vcc_lo, v32, 4
	v_add_co_ci_u32_e32 v68, vcc_lo, 0, v33, vcc_lo
	v_add_co_u32 v32, vcc_lo, v89, s60
	v_add_co_ci_u32_e32 v33, vcc_lo, s61, v90, vcc_lo
	scratch_store_b32 off, v5, off offset:588 ; 4-byte Folded Spill
	v_add_co_u32 v5, vcc_lo, s60, v71
	v_add_co_ci_u32_e32 v20, vcc_lo, s61, v80, vcc_lo
	scratch_store_b32 off, v5, off offset:592 ; 4-byte Folded Spill
	v_add_co_u32 v5, vcc_lo, v32, 4
	scratch_store_b32 off, v5, off offset:600 ; 4-byte Folded Spill
	v_add_co_ci_u32_e32 v5, vcc_lo, 0, v33, vcc_lo
	v_add_co_u32 v32, vcc_lo, v93, s60
	v_add_co_ci_u32_e32 v33, vcc_lo, s61, v94, vcc_lo
	scratch_store_b32 off, v5, off offset:604 ; 4-byte Folded Spill
	v_add_co_u32 v5, vcc_lo, s60, v91
	scratch_store_b32 off, v5, off offset:608 ; 4-byte Folded Spill
	v_add_co_ci_u32_e32 v5, vcc_lo, s61, v92, vcc_lo
	v_add_co_u32 v21, vcc_lo, v32, 4
	v_add_co_ci_u32_e32 v22, vcc_lo, 0, v33, vcc_lo
	v_add_co_u32 v32, vcc_lo, v87, s60
	;; [unrolled: 2-line block ×3, first 2 shown]
	v_add_co_ci_u32_e32 v69, vcc_lo, s61, v88, vcc_lo
	scratch_store_b32 off, v5, off offset:596 ; 4-byte Folded Spill
	v_add_co_u32 v5, vcc_lo, v32, 4
	v_add_co_ci_u32_e32 v70, vcc_lo, 0, v33, vcc_lo
	v_add_co_u32 v32, vcc_lo, v98, s60
	v_add_co_ci_u32_e32 v33, vcc_lo, s61, v102, vcc_lo
	scratch_store_b32 off, v5, off offset:612 ; 4-byte Folded Spill
	v_add_co_u32 v5, vcc_lo, s60, v97
	v_add_co_ci_u32_e32 v71, vcc_lo, s61, v101, vcc_lo
	scratch_store_b32 off, v5, off offset:616 ; 4-byte Folded Spill
	v_add_co_u32 v5, vcc_lo, v32, 4
	v_add_co_ci_u32_e32 v72, vcc_lo, 0, v33, vcc_lo
	v_add_co_u32 v32, vcc_lo, v95, s60
	v_add_co_ci_u32_e32 v33, vcc_lo, s61, v108, vcc_lo
	scratch_store_b32 off, v5, off offset:620 ; 4-byte Folded Spill
	v_add_co_u32 v5, vcc_lo, s60, v99
	;; [unrolled: 8-line block ×3, first 2 shown]
	v_add_co_ci_u32_e32 v75, vcc_lo, s61, v60, vcc_lo
	v_mov_b32_e32 v60, v27
	scratch_store_b32 off, v5, off offset:632 ; 4-byte Folded Spill
	v_add_co_u32 v5, vcc_lo, v32, 4
	v_add_co_ci_u32_e32 v76, vcc_lo, 0, v33, vcc_lo
	v_add_co_u32 v32, vcc_lo, v103, s60
	v_add_co_ci_u32_e32 v33, vcc_lo, s61, v121, vcc_lo
	scratch_store_b32 off, v5, off offset:636 ; 4-byte Folded Spill
	v_add_co_u32 v5, vcc_lo, s60, v107
	v_add_co_ci_u32_e32 v24, vcc_lo, s61, v104, vcc_lo
	scratch_store_b32 off, v5, off offset:640 ; 4-byte Folded Spill
	v_add_co_u32 v5, vcc_lo, v32, 4
	scratch_store_b32 off, v5, off offset:648 ; 4-byte Folded Spill
	v_add_co_ci_u32_e32 v5, vcc_lo, 0, v33, vcc_lo
	v_add_co_u32 v32, vcc_lo, v119, s60
	v_add_co_ci_u32_e32 v33, vcc_lo, s61, v123, vcc_lo
	scratch_store_b32 off, v5, off offset:652 ; 4-byte Folded Spill
	v_add_co_u32 v5, vcc_lo, s60, v118
	scratch_store_b32 off, v5, off offset:656 ; 4-byte Folded Spill
	v_add_co_ci_u32_e32 v5, vcc_lo, s61, v122, vcc_lo
	v_add_co_u32 v25, vcc_lo, v32, 4
	v_add_co_ci_u32_e32 v26, vcc_lo, 0, v33, vcc_lo
	v_add_co_u32 v32, vcc_lo, v111, s60
	;; [unrolled: 2-line block ×3, first 2 shown]
	v_add_co_ci_u32_e32 v77, vcc_lo, s61, v125, vcc_lo
	scratch_store_b32 off, v5, off offset:644 ; 4-byte Folded Spill
	v_add_co_u32 v5, vcc_lo, v32, 4
	v_add_co_ci_u32_e32 v28, vcc_lo, 0, v33, vcc_lo
	v_add_co_u32 v32, vcc_lo, v127, s60
	v_add_co_ci_u32_e32 v33, vcc_lo, s61, v131, vcc_lo
	scratch_store_b32 off, v5, off offset:660 ; 4-byte Folded Spill
	v_add_co_u32 v5, vcc_lo, s60, v126
	scratch_store_b32 off, v5, off offset:668 ; 4-byte Folded Spill
	v_add_co_ci_u32_e32 v5, vcc_lo, s61, v130, vcc_lo
	scratch_store_b32 off, v5, off offset:672 ; 4-byte Folded Spill
	v_add_co_u32 v5, vcc_lo, v32, 4
	scratch_store_b32 off, v5, off offset:676 ; 4-byte Folded Spill
	v_add_co_ci_u32_e32 v5, vcc_lo, 0, v33, vcc_lo
	v_add_co_u32 v32, vcc_lo, v136, s60
	v_add_co_ci_u32_e32 v33, vcc_lo, s61, v137, vcc_lo
	v_add_co_u32 v29, vcc_lo, s60, v128
	v_add_co_ci_u32_e32 v30, vcc_lo, s61, v132, vcc_lo
	s_delay_alu instid0(VALU_DEP_4) | instskip(NEXT) | instid1(VALU_DEP_4)
	v_add_co_u32 v31, vcc_lo, v32, 4
	v_add_co_ci_u32_e32 v78, vcc_lo, 0, v33, vcc_lo
	v_add_co_u32 v32, vcc_lo, v134, s60
	v_add_co_ci_u32_e32 v33, vcc_lo, s61, v139, vcc_lo
	scratch_store_b32 off, v5, off offset:664 ; 4-byte Folded Spill
	v_add_co_u32 v5, vcc_lo, s60, v133
	v_add_co_ci_u32_e32 v79, vcc_lo, s61, v138, vcc_lo
	scratch_store_b32 off, v5, off offset:680 ; 4-byte Folded Spill
	v_add_co_u32 v5, vcc_lo, v32, 4
	v_add_co_ci_u32_e32 v80, vcc_lo, 0, v33, vcc_lo
	v_add_co_u32 v32, vcc_lo, v144, s60
	v_add_co_ci_u32_e32 v33, vcc_lo, s61, v145, vcc_lo
	scratch_store_b32 off, v5, off offset:684 ; 4-byte Folded Spill
	v_add_co_u32 v5, vcc_lo, s60, v135
	v_add_co_ci_u32_e32 v81, vcc_lo, s61, v140, vcc_lo
	scratch_store_b32 off, v5, off offset:688 ; 4-byte Folded Spill
	;; [unrolled: 8-line block ×6, first 2 shown]
	v_add_co_u32 v5, vcc_lo, v32, 4
	v_add_co_ci_u32_e32 v90, vcc_lo, 0, v33, vcc_lo
	v_add_co_u32 v32, vcc_lo, v158, s60
	v_add_co_ci_u32_e32 v33, vcc_lo, s61, v163, vcc_lo
	scratch_store_b32 off, v5, off offset:724 ; 4-byte Folded Spill
	v_add_co_u32 v5, vcc_lo, s60, v246
	v_add_co_ci_u32_e32 v93, vcc_lo, s61, v162, vcc_lo
	v_add_co_u32 v92, vcc_lo, v32, 4
	v_add_co_ci_u32_e32 v4, vcc_lo, 0, v33, vcc_lo
	;; [unrolled: 2-line block ×3, first 2 shown]
	s_clause 0x1
	scratch_store_b32 off, v5, off offset:728
	scratch_store_b32 off, v4, off offset:816
	v_add_co_u32 v5, vcc_lo, s60, v159
	v_add_co_ci_u32_e32 v96, vcc_lo, s61, v248, vcc_lo
	v_add_co_u32 v95, vcc_lo, v32, 4
	v_add_co_ci_u32_e32 v4, vcc_lo, 0, v33, vcc_lo
	;; [unrolled: 2-line block ×3, first 2 shown]
	s_clause 0x1
	scratch_store_b32 off, v5, off offset:732
	scratch_store_b32 off, v4, off offset:820
	v_add_co_u32 v5, vcc_lo, s60, v166
	v_add_co_ci_u32_e32 v99, vcc_lo, s61, v175, vcc_lo
	v_add_co_u32 v98, vcc_lo, v32, 4
	v_add_co_ci_u32_e32 v4, vcc_lo, 0, v33, vcc_lo
	scratch_store_b32 off, v5, off offset:736 ; 4-byte Folded Spill
	v_add_co_u32 v32, vcc_lo, v182, s60
	scratch_store_b32 off, v4, off offset:824 ; 4-byte Folded Spill
	scratch_load_b32 v4, off, off offset:464 ; 4-byte Folded Reload
	v_add_co_ci_u32_e32 v33, vcc_lo, s61, v165, vcc_lo
	v_add_co_u32 v5, vcc_lo, s60, v109
	v_add_co_ci_u32_e32 v100, vcc_lo, s61, v249, vcc_lo
	v_add_co_u32 v101, vcc_lo, v32, 4
	s_delay_alu instid0(VALU_DEP_4)
	v_add_co_ci_u32_e32 v102, vcc_lo, 0, v33, vcc_lo
	v_add_co_u32 v32, vcc_lo, v148, s60
	v_add_co_ci_u32_e32 v33, vcc_lo, s61, v184, vcc_lo
	scratch_store_b32 off, v5, off offset:740 ; 4-byte Folded Spill
	v_add_co_u32 v5, vcc_lo, s60, v161
	v_add_co_ci_u32_e32 v103, vcc_lo, s61, v178, vcc_lo
	v_add_co_u32 v104, vcc_lo, v32, 4
	v_add_co_ci_u32_e32 v105, vcc_lo, 0, v33, vcc_lo
	v_add_co_u32 v32, vcc_lo, v197, s60
	v_add_co_ci_u32_e32 v33, vcc_lo, s61, v198, vcc_lo
	scratch_store_b32 off, v5, off offset:744 ; 4-byte Folded Spill
	v_add_co_u32 v5, vcc_lo, s60, v160
	v_add_co_ci_u32_e32 v106, vcc_lo, s61, v183, vcc_lo
	v_add_co_u32 v107, vcc_lo, v32, 4
	;; [unrolled: 7-line block ×11, first 2 shown]
	v_add_co_ci_u32_e32 v155, vcc_lo, 0, v33, vcc_lo
	v_add_co_u32 v32, vcc_lo, v156, s60
	v_add_co_ci_u32_e32 v33, vcc_lo, s61, v41, vcc_lo
	scratch_store_b32 off, v5, off offset:784 ; 4-byte Folded Spill
	v_mov_b32_e32 v40, v52
	v_dual_mov_b32 v38, v8 :: v_dual_mov_b32 v37, 0xfeffffff
	v_mov_b32_e32 v36, 0xfeffffff
	s_waitcnt vmcnt(0)
	v_add_co_u32 v5, vcc_lo, s60, v4
	scratch_load_b32 v4, off, off offset:468 ; 4-byte Folded Reload
	v_add_co_ci_u32_e32 v156, vcc_lo, s61, v217, vcc_lo
	v_add_co_u32 v157, vcc_lo, v32, 4
	v_add_co_ci_u32_e32 v158, vcc_lo, 0, v33, vcc_lo
	scratch_store_b32 off, v5, off offset:788 ; 4-byte Folded Spill
	s_waitcnt vmcnt(0)
	v_add_co_u32 v32, vcc_lo, v4, s60
	scratch_load_b32 v4, off, off offset:448 ; 4-byte Folded Reload
	v_add_co_ci_u32_e32 v33, vcc_lo, s61, v43, vcc_lo
	s_waitcnt vmcnt(0)
	v_add_co_u32 v5, vcc_lo, s60, v4
	scratch_load_b32 v4, off, off offset:452 ; 4-byte Folded Reload
	v_add_co_ci_u32_e32 v159, vcc_lo, s61, v45, vcc_lo
	v_add_co_u32 v160, vcc_lo, v32, 4
	v_add_co_ci_u32_e32 v161, vcc_lo, 0, v33, vcc_lo
	scratch_store_b32 off, v5, off offset:792 ; 4-byte Folded Spill
	s_waitcnt vmcnt(0)
	v_add_co_u32 v32, vcc_lo, v4, s60
	scratch_load_b32 v4, off, off offset:432 ; 4-byte Folded Reload
	v_add_co_ci_u32_e32 v33, vcc_lo, s61, v46, vcc_lo
	;; [unrolled: 11-line block ×3, first 2 shown]
	s_waitcnt vmcnt(0)
	v_add_co_u32 v5, vcc_lo, s60, v4
	v_add_co_ci_u32_e32 v4, vcc_lo, s61, v250, vcc_lo
	scratch_store_b32 off, v5, off offset:800 ; 4-byte Folded Spill
	scratch_load_b32 v5, off, off offset:852 ; 4-byte Folded Reload
	scratch_store_b32 off, v4, off offset:428 ; 4-byte Folded Spill
	v_add_co_u32 v4, vcc_lo, v32, 4
	scratch_store_b32 off, v4, off offset:432 ; 4-byte Folded Spill
	v_add_co_ci_u32_e32 v4, vcc_lo, 0, v33, vcc_lo
	scratch_store_b32 off, v4, off offset:436 ; 4-byte Folded Spill
	scratch_load_b32 v4, off, off offset:444 ; 4-byte Folded Reload
	s_waitcnt vmcnt(0)
	v_add_co_u32 v32, vcc_lo, v4, s60
	scratch_load_b32 v4, off, off offset:440 ; 4-byte Folded Reload
	v_add_co_ci_u32_e32 v33, vcc_lo, s61, v112, vcc_lo
	v_mov_b32_e32 v112, 0
	s_waitcnt vmcnt(0)
	v_add_co_u32 v4, vcc_lo, s60, v4
	scratch_store_b32 off, v4, off offset:440 ; 4-byte Folded Spill
	v_add_co_ci_u32_e32 v4, vcc_lo, s61, v227, vcc_lo
	scratch_store_b32 off, v4, off offset:444 ; 4-byte Folded Spill
	v_add_co_u32 v4, vcc_lo, v32, 4
	scratch_store_b32 off, v4, off offset:448 ; 4-byte Folded Spill
	v_add_co_ci_u32_e32 v4, vcc_lo, 0, v33, vcc_lo
	scratch_store_b32 off, v4, off offset:452 ; 4-byte Folded Spill
	scratch_load_b32 v4, off, off offset:460 ; 4-byte Folded Reload
	s_waitcnt vmcnt(0)
	v_add_co_u32 v32, vcc_lo, v4, s60
	scratch_load_b32 v4, off, off offset:456 ; 4-byte Folded Reload
	v_add_co_ci_u32_e32 v33, vcc_lo, s61, v113, vcc_lo
	v_mov_b32_e32 v113, 0
	s_waitcnt vmcnt(0)
	v_add_co_u32 v4, vcc_lo, s60, v4
	scratch_store_b32 off, v4, off offset:456 ; 4-byte Folded Spill
	v_add_co_ci_u32_e32 v4, vcc_lo, s61, v114, vcc_lo
	scratch_store_b32 off, v4, off offset:460 ; 4-byte Folded Spill
	v_add_co_u32 v4, vcc_lo, v32, 4
	scratch_store_b32 off, v4, off offset:464 ; 4-byte Folded Spill
	v_add_co_ci_u32_e32 v4, vcc_lo, 0, v33, vcc_lo
	scratch_store_b32 off, v4, off offset:468 ; 4-byte Folded Spill
	scratch_load_b32 v4, off, off offset:476 ; 4-byte Folded Reload
	s_waitcnt vmcnt(0)
	v_add_co_u32 v32, vcc_lo, v4, s60
	scratch_load_b32 v4, off, off offset:472 ; 4-byte Folded Reload
	v_add_co_ci_u32_e32 v33, vcc_lo, s61, v115, vcc_lo
	s_waitcnt vmcnt(0)
	v_add_co_u32 v4, vcc_lo, s60, v4
	scratch_store_b32 off, v4, off offset:472 ; 4-byte Folded Spill
	v_add_co_ci_u32_e32 v4, vcc_lo, s61, v232, vcc_lo
	scratch_store_b32 off, v4, off offset:476 ; 4-byte Folded Spill
	v_add_co_u32 v4, vcc_lo, v32, 4
	scratch_store_b32 off, v4, off offset:480 ; 4-byte Folded Spill
	v_add_co_ci_u32_e32 v4, vcc_lo, 0, v33, vcc_lo
	scratch_store_b32 off, v4, off offset:484 ; 4-byte Folded Spill
	scratch_load_b32 v4, off, off offset:492 ; 4-byte Folded Reload
	s_waitcnt vmcnt(0)
	v_add_co_u32 v32, vcc_lo, v4, s60
	scratch_load_b32 v4, off, off offset:488 ; 4-byte Folded Reload
	v_add_co_ci_u32_e32 v33, vcc_lo, s61, v116, vcc_lo
	;; [unrolled: 14-line block ×5, first 2 shown]
	v_add_co_u32 v192, vcc_lo, s60, v192
	v_add_co_ci_u32_e32 v195, vcc_lo, s61, v235, vcc_lo
	v_add_co_u32 v193, vcc_lo, v32, 4
	s_delay_alu instid0(VALU_DEP_4)
	v_add_co_ci_u32_e32 v194, vcc_lo, 0, v33, vcc_lo
	s_waitcnt vmcnt(0)
	v_add_co_u32 v32, vcc_lo, v4, s60
	scratch_load_b32 v4, off, off offset:856 ; 4-byte Folded Reload
	v_add_co_ci_u32_e32 v33, vcc_lo, s61, v236, vcc_lo
	s_waitcnt vmcnt(0)
	v_add_co_u32 v197, vcc_lo, s60, v4
	scratch_load_b32 v4, off, off offset:860 ; 4-byte Folded Reload
	v_add_co_ci_u32_e32 v198, vcc_lo, s61, v231, vcc_lo
	v_add_co_u32 v196, vcc_lo, v32, 4
	v_add_co_ci_u32_e32 v199, vcc_lo, 0, v33, vcc_lo
	s_waitcnt vmcnt(0)
	v_add_co_u32 v32, vcc_lo, v4, s60
	scratch_load_b32 v4, off, off offset:848 ; 4-byte Folded Reload
	v_add_co_ci_u32_e32 v33, vcc_lo, s61, v247, vcc_lo
	s_waitcnt vmcnt(0)
	v_add_co_u32 v200, vcc_lo, s60, v4
	v_add_co_ci_u32_e32 v201, vcc_lo, s61, v233, vcc_lo
	v_add_co_u32 v4, vcc_lo, v32, 4
	v_add_co_ci_u32_e32 v52, vcc_lo, 0, v33, vcc_lo
	v_add_co_u32 v32, vcc_lo, v5, s60
	scratch_load_b32 v5, off, off offset:864 ; 4-byte Folded Reload
	v_add_co_ci_u32_e32 v33, vcc_lo, s61, v230, vcc_lo
	v_add_co_u32 v165, vcc_lo, s60, v168
	v_add_co_ci_u32_e32 v166, vcc_lo, s61, v225, vcc_lo
	v_add_co_u32 v167, vcc_lo, v32, 4
	s_delay_alu instid0(VALU_DEP_4) | instskip(SKIP_4) | instid1(VALU_DEP_4)
	v_add_co_ci_u32_e32 v168, vcc_lo, 0, v33, vcc_lo
	v_add_co_u32 v32, vcc_lo, v173, s60
	v_add_co_ci_u32_e32 v33, vcc_lo, s61, v226, vcc_lo
	v_add_co_u32 v171, vcc_lo, s60, v169
	v_add_co_ci_u32_e32 v169, vcc_lo, s61, v228, vcc_lo
	v_add_co_u32 v170, vcc_lo, v32, 4
	s_delay_alu instid0(VALU_DEP_4) | instskip(SKIP_4) | instid1(VALU_DEP_4)
	v_add_co_ci_u32_e32 v173, vcc_lo, 0, v33, vcc_lo
	v_add_co_u32 v32, vcc_lo, v176, s60
	;; [unrolled: 7-line block ×4, first 2 shown]
	v_add_co_ci_u32_e32 v33, vcc_lo, s61, v218, vcc_lo
	v_add_co_u32 v183, vcc_lo, s60, v187
	v_add_co_ci_u32_e32 v181, vcc_lo, s61, v224, vcc_lo
	v_add_co_u32 v182, vcc_lo, v32, 4
	s_delay_alu instid0(VALU_DEP_4)
	v_add_co_ci_u32_e32 v185, vcc_lo, 0, v33, vcc_lo
	s_waitcnt vmcnt(0)
	v_add_co_u32 v32, vcc_lo, v5, s60
	scratch_load_b32 v5, off, off offset:840 ; 4-byte Folded Reload
	v_add_co_ci_u32_e32 v33, vcc_lo, s61, v219, vcc_lo
	v_add_co_u32 v186, vcc_lo, s60, v56
	v_add_co_ci_u32_e32 v184, vcc_lo, s61, v251, vcc_lo
	v_add_co_u32 v187, vcc_lo, v32, 4
	s_delay_alu instid0(VALU_DEP_4) | instskip(SKIP_4) | instid1(VALU_DEP_4)
	v_add_co_ci_u32_e32 v65, vcc_lo, 0, v33, vcc_lo
	v_add_co_u32 v32, vcc_lo, v190, s60
	v_add_co_ci_u32_e32 v33, vcc_lo, s61, v253, vcc_lo
	v_add_co_u32 v188, vcc_lo, s60, v191
	;; [unrolled: 2-line block ×3, first 2 shown]
	s_delay_alu instid0(VALU_DEP_4)
	v_add_co_ci_u32_e32 v191, vcc_lo, 0, v33, vcc_lo
	s_waitcnt vmcnt(0)
	v_add_co_u32 v32, vcc_lo, v5, s60
	scratch_load_b32 v5, off, off offset:880 ; 4-byte Folded Reload
	s_waitcnt vmcnt(0)
	v_add_co_ci_u32_e32 v33, vcc_lo, s61, v5, vcc_lo
	scratch_load_b32 v5, off, off offset:4  ; 4-byte Folded Reload
	s_waitcnt vmcnt(0)
	v_add_co_u32 v91, vcc_lo, s60, v5
	scratch_load_b32 v5, off, off offset:876 ; 4-byte Folded Reload
	s_waitcnt vmcnt(0)
	v_add_co_ci_u32_e32 v94, vcc_lo, s61, v5, vcc_lo
	scratch_load_b32 v5, off, off           ; 4-byte Folded Reload
	v_add_co_u32 v97, vcc_lo, v32, 4
	v_add_co_ci_u32_e32 v8, vcc_lo, 0, v33, vcc_lo
	s_waitcnt vmcnt(0)
	v_add_co_u32 v16, vcc_lo, s60, v5
	scratch_load_b32 v5, off, off offset:1012 ; 4-byte Folded Reload
	v_add_co_ci_u32_e32 v66, vcc_lo, s61, v255, vcc_lo
	s_waitcnt vmcnt(0)
	v_and_b32_e32 v202, 4, v5
                                        ; implicit-def: $vgpr5
                                        ; kill: killed $vgpr5
.LBB28_21:                              ; =>This Inner Loop Header: Depth=1
	s_waitcnt vmcnt(1)
	v_add_co_u32 v34, vcc_lo, v57, s5
	s_waitcnt vmcnt(0)
	v_add_co_ci_u32_e32 v35, vcc_lo, 0, v59, vcc_lo
	v_add_co_u32 v32, vcc_lo, v40, s5
	v_add_co_ci_u32_e32 v33, vcc_lo, 0, v38, vcc_lo
	global_load_b32 v39, v[34:35], off offset:-140
	v_mov_b32_e32 v5, v40
	v_mov_b32_e32 v7, v38
	s_clause 0x1
	global_load_b32 v38, v[32:33], off offset:4
	global_load_b32 v40, v[32:33], off offset:12
	global_load_b32 v41, v[34:35], off offset:-120
	s_clause 0x1
	global_load_b32 v42, v[32:33], off offset:24
	global_load_b32 v43, v[32:33], off offset:32
	s_clause 0x5
	global_load_b32 v44, v[34:35], off offset:-100
	global_load_b32 v45, v[34:35], off offset:-80
	;; [unrolled: 1-line block ×5, first 2 shown]
	global_load_b32 v34, v[34:35], off
	s_and_b32 vcc_lo, exec_lo, s83
	s_waitcnt vmcnt(10)
	v_and_b32_e32 v232, 0xf0f0f0f, v38
	v_lshrrev_b32_e32 v38, 4, v38
	s_waitcnt vmcnt(9)
	v_lshrrev_b32_e32 v203, 4, v40
	s_waitcnt vmcnt(8)
	v_cvt_f32_f16_e64 v223, v41
	s_waitcnt vmcnt(6)
	v_and_b32_e32 v226, 0xf0f0f0f, v43
	s_waitcnt vmcnt(5)
	v_cvt_f32_f16_e64 v217, v44
	v_and_b32_e32 v230, 0xf0f0f0f, v38
	v_cvt_f32_f16_e64 v229, v39
	v_lshrrev_b32_e32 v35, 16, v39
	s_clause 0x3
	global_load_b32 v39, v[32:33], off offset:44
	global_load_b32 v114, v[32:33], off offset:52
	;; [unrolled: 1-line block ×4, first 2 shown]
	s_clause 0x1
	scratch_load_b64 v[118:119], off, off offset:40
	scratch_load_b128 v[120:123], off, off offset:296
	s_waitcnt vmcnt(9)
	v_cvt_f32_f16_e64 v205, v46
	v_cvt_f32_f16_e64 v233, v35
	v_and_b32_e32 v231, 0xf0f0f0f, v40
	v_cvt_f32_f16_e64 v211, v45
	v_and_b32_e32 v225, 0xf0f0f0f, v42
	s_waitcnt vmcnt(4)
	v_and_b32_e32 v220, 0xf0f0f0f, v114
	s_waitcnt vmcnt(3)
	;; [unrolled: 2-line block ×4, first 2 shown]
	v_dot4_i32_iu8 v35, v232, v118, 0 neg_lo:[1,1,0]
	s_waitcnt vmcnt(0)
	v_mul_f32_e32 v40, v121, v233
	v_dot4_i32_iu8 v38, v231, v119, 0 neg_lo:[1,1,0]
	scratch_load_b64 v[118:119], off, off offset:48 ; 8-byte Folded Reload
	v_mul_f32_e32 v204, v120, v229
	v_cvt_f32_i32_e32 v35, v35
	v_mul_f32_e32 v234, 0x3e000000, v40
	v_cvt_f32_i32_e32 v38, v38
	s_delay_alu instid0(VALU_DEP_2) | instskip(SKIP_4) | instid1(VALU_DEP_4)
	v_fma_f32 v235, v204, v35, v234
	v_lshrrev_b32_e32 v35, 16, v41
	v_lshrrev_b32_e32 v41, 4, v43
	v_mul_f32_e32 v43, v122, v223
	v_and_b32_e32 v228, 0xf0f0f0f, v203
	v_cvt_f32_f16_e64 v227, v35
	s_delay_alu instid0(VALU_DEP_4)
	v_and_b32_e32 v222, 0xf0f0f0f, v41
	s_waitcnt vmcnt(0)
	v_dot4_i32_iu8 v40, v230, v118, 0 neg_lo:[1,1,0]
	v_dot4_i32_iu8 v203, v228, v119, 0 neg_lo:[1,1,0]
	scratch_load_b128 v[118:121], off, off offset:312 ; 16-byte Folded Reload
	v_cvt_f32_i32_e32 v40, v40
	v_cvt_f32_i32_e32 v203, v203
	s_delay_alu instid0(VALU_DEP_2) | instskip(SKIP_1) | instid1(VALU_DEP_1)
	v_fma_f32 v236, v204, v40, v234
	v_lshrrev_b32_e32 v40, 4, v42
	v_and_b32_e32 v224, 0xf0f0f0f, v40
	scratch_load_b64 v[40:41], off, off offset:56 ; 8-byte Folded Reload
	s_waitcnt vmcnt(0)
	v_dot4_i32_iu8 v35, v225, v40, 0 neg_lo:[1,1,0]
	v_dot4_i32_iu8 v40, v226, v41, 0 neg_lo:[1,1,0]
	v_mul_f32_e32 v41, v123, v227
	v_fma_f32 v38, v204, v38, v234
	v_fmac_f32_e32 v234, v204, v203
	v_cvt_f32_i32_e32 v35, v35
	v_cvt_f32_i32_e32 v40, v40
	v_mul_f32_e32 v237, 0x3e000000, v41
	scratch_load_b64 v[41:42], off, off offset:64 ; 8-byte Folded Reload
	v_fma_f32 v238, v43, v35, v237
	v_lshrrev_b32_e32 v35, 16, v44
	v_fma_f32 v239, v43, v40, v237
	v_lshrrev_b32_e32 v40, 4, v114
	s_delay_alu instid0(VALU_DEP_3) | instskip(SKIP_2) | instid1(VALU_DEP_4)
	v_cvt_f32_f16_e64 v221, v35
	v_and_b32_e32 v219, 0xf0f0f0f, v39
	v_lshrrev_b32_e32 v39, 4, v39
	v_and_b32_e32 v216, 0xf0f0f0f, v40
	s_delay_alu instid0(VALU_DEP_2) | instskip(SKIP_4) | instid1(VALU_DEP_2)
	v_and_b32_e32 v218, 0xf0f0f0f, v39
	scratch_load_b64 v[39:40], off, off offset:72 ; 8-byte Folded Reload
	s_waitcnt vmcnt(1)
	v_dot4_i32_iu8 v41, v224, v41, 0 neg_lo:[1,1,0]
	v_dot4_i32_iu8 v42, v222, v42, 0 neg_lo:[1,1,0]
	v_cvt_f32_i32_e32 v41, v41
	s_delay_alu instid0(VALU_DEP_2) | instskip(NEXT) | instid1(VALU_DEP_2)
	v_cvt_f32_i32_e32 v42, v42
	v_fma_f32 v240, v43, v41, v237
	s_delay_alu instid0(VALU_DEP_2) | instskip(SKIP_4) | instid1(VALU_DEP_3)
	v_dual_fmac_f32 v237, v43, v42 :: v_dual_mul_f32 v42, v118, v217
	s_waitcnt vmcnt(0)
	v_dot4_i32_iu8 v35, v219, v39, 0 neg_lo:[1,1,0]
	v_dot4_i32_iu8 v39, v220, v40, 0 neg_lo:[1,1,0]
	v_mul_f32_e32 v40, v119, v221
	v_cvt_f32_i32_e32 v35, v35
	s_delay_alu instid0(VALU_DEP_3) | instskip(NEXT) | instid1(VALU_DEP_3)
	v_cvt_f32_i32_e32 v39, v39
	v_mul_f32_e32 v241, 0x3e000000, v40
	scratch_load_b64 v[40:41], off, off offset:80 ; 8-byte Folded Reload
	v_fma_f32 v242, v42, v35, v241
	v_fma_f32 v243, v42, v39, v241
	v_lshrrev_b32_e32 v35, 16, v45
	v_lshrrev_b32_e32 v39, 4, v115
	s_delay_alu instid0(VALU_DEP_2) | instskip(NEXT) | instid1(VALU_DEP_2)
	v_cvt_f32_f16_e64 v215, v35
	v_and_b32_e32 v212, 0xf0f0f0f, v39
	s_waitcnt vmcnt(0)
	v_dot4_i32_iu8 v40, v218, v40, 0 neg_lo:[1,1,0]
	v_dot4_i32_iu8 v41, v216, v41, 0 neg_lo:[1,1,0]
	s_delay_alu instid0(VALU_DEP_2) | instskip(NEXT) | instid1(VALU_DEP_2)
	v_cvt_f32_i32_e32 v40, v40
	v_cvt_f32_i32_e32 v41, v41
	s_delay_alu instid0(VALU_DEP_2) | instskip(SKIP_1) | instid1(VALU_DEP_3)
	v_fma_f32 v244, v42, v40, v241
	v_lshrrev_b32_e32 v40, 4, v116
	v_dual_fmac_f32 v241, v42, v41 :: v_dual_mul_f32 v42, v120, v211
	s_delay_alu instid0(VALU_DEP_2)
	v_and_b32_e32 v209, 0xf0f0f0f, v40
	scratch_load_b64 v[39:40], off, off offset:88 ; 8-byte Folded Reload
	s_waitcnt vmcnt(0)
	v_dot4_i32_iu8 v35, v213, v39, 0 neg_lo:[1,1,0]
	v_dot4_i32_iu8 v39, v214, v40, 0 neg_lo:[1,1,0]
	v_mul_f32_e32 v40, v121, v215
	s_delay_alu instid0(VALU_DEP_3) | instskip(NEXT) | instid1(VALU_DEP_3)
	v_cvt_f32_i32_e32 v35, v35
	v_cvt_f32_i32_e32 v39, v39
	s_delay_alu instid0(VALU_DEP_3)
	v_mul_f32_e32 v245, 0x3e000000, v40
	scratch_load_b64 v[40:41], off, off offset:96 ; 8-byte Folded Reload
	v_fma_f32 v246, v42, v35, v245
	v_fma_f32 v247, v42, v39, v245
	s_waitcnt vmcnt(0)
	v_dot4_i32_iu8 v40, v212, v40, 0 neg_lo:[1,1,0]
	v_dot4_i32_iu8 v41, v209, v41, 0 neg_lo:[1,1,0]
	s_delay_alu instid0(VALU_DEP_2) | instskip(NEXT) | instid1(VALU_DEP_2)
	v_cvt_f32_i32_e32 v40, v40
	v_cvt_f32_i32_e32 v41, v41
	s_delay_alu instid0(VALU_DEP_2) | instskip(NEXT) | instid1(VALU_DEP_2)
	v_fma_f32 v248, v42, v40, v245
	v_fmac_f32_e32 v245, v42, v41
	s_clause 0x7
	global_load_b32 v35, v[32:33], off offset:84
	global_load_b32 v39, v[32:33], off offset:92
	;; [unrolled: 1-line block ×8, first 2 shown]
	v_lshrrev_b32_e32 v33, 16, v46
	scratch_load_b128 v[118:121], off, off offset:328 ; 16-byte Folded Reload
	v_cvt_f32_f16_e32 v46, v117
	s_clause 0x1
	scratch_load_b64 v[122:123], off, off offset:152
	scratch_load_b128 v[48:51], off, off offset:344
	v_cvt_f32_f16_e64 v210, v33
	s_waitcnt vmcnt(10)
	v_and_b32_e32 v207, 0xf0f0f0f, v35
	s_waitcnt vmcnt(9)
	v_lshrrev_b32_e32 v44, 4, v39
	v_lshrrev_b32_e32 v35, 4, v35
	v_and_b32_e32 v208, 0xf0f0f0f, v39
	s_waitcnt vmcnt(8)
	v_and_b32_e32 v114, 0xf0f0f0f, v40
	s_waitcnt vmcnt(7)
	v_and_b32_e32 v115, 0xf0f0f0f, v41
	v_and_b32_e32 v204, 0xf0f0f0f, v44
	scratch_load_b64 v[44:45], off, off offset:104 ; 8-byte Folded Reload
	v_and_b32_e32 v206, 0xf0f0f0f, v35
	s_waitcnt vmcnt(0)
	v_dot4_i32_iu8 v33, v207, v44, 0 neg_lo:[1,1,0]
	v_dot4_i32_iu8 v35, v208, v45, 0 neg_lo:[1,1,0]
	scratch_load_b64 v[44:45], off, off offset:112 ; 8-byte Folded Reload
	v_mul_f32_e32 v39, v119, v210
	v_mul_f32_e32 v119, v48, v46
	v_cvt_f32_i32_e32 v33, v33
	v_cvt_f32_i32_e32 v35, v35
	s_delay_alu instid0(VALU_DEP_4) | instskip(SKIP_4) | instid1(VALU_DEP_3)
	v_mul_f32_e32 v250, 0x3e000000, v39
	s_waitcnt vmcnt(0)
	v_dot4_i32_iu8 v39, v206, v44, 0 neg_lo:[1,1,0]
	v_dot4_i32_iu8 v44, v204, v45, 0 neg_lo:[1,1,0]
	v_mul_f32_e32 v45, v118, v205
	v_cvt_f32_i32_e32 v39, v39
	s_delay_alu instid0(VALU_DEP_3) | instskip(NEXT) | instid1(VALU_DEP_3)
	v_cvt_f32_i32_e32 v44, v44
	v_fma_f32 v251, v45, v33, v250
	v_fma_f32 v252, v45, v35, v250
	v_lshrrev_b32_e32 v35, 4, v40
	v_fma_f32 v253, v45, v39, v250
	v_lshrrev_b32_e32 v39, 4, v41
	v_fmac_f32_e32 v250, v45, v44
	v_lshrrev_b32_e32 v33, 16, v47
	v_cvt_f32_f16_e32 v44, v47
	v_and_b32_e32 v47, 0xf0f0f0f, v35
	v_and_b32_e32 v45, 0xf0f0f0f, v39
	scratch_load_b64 v[39:40], off, off offset:120 ; 8-byte Folded Reload
	v_cvt_f32_f16_e32 v116, v33
	v_mul_f32_e32 v41, v120, v44
	s_waitcnt vmcnt(0)
	v_dot4_i32_iu8 v33, v114, v39, 0 neg_lo:[1,1,0]
	s_delay_alu instid0(VALU_DEP_3) | instskip(SKIP_1) | instid1(VALU_DEP_3)
	v_mul_f32_e32 v39, v121, v116
	v_dot4_i32_iu8 v35, v115, v40, 0 neg_lo:[1,1,0]
	v_cvt_f32_i32_e32 v33, v33
	s_delay_alu instid0(VALU_DEP_3) | instskip(SKIP_4) | instid1(VALU_DEP_3)
	v_mul_f32_e32 v254, 0x3e000000, v39
	scratch_load_b64 v[39:40], off, off offset:128 ; 8-byte Folded Reload
	v_cvt_f32_i32_e32 v35, v35
	v_fma_f32 v255, v41, v33, v254
	v_lshrrev_b32_e32 v33, 16, v117
	v_fma_f32 v120, v41, v35, v254
	v_and_b32_e32 v117, 0xf0f0f0f, v42
	v_lshrrev_b32_e32 v35, 4, v42
	s_delay_alu instid0(VALU_DEP_4) | instskip(NEXT) | instid1(VALU_DEP_2)
	v_cvt_f32_f16_e64 v203, v33
	v_and_b32_e32 v35, 0xf0f0f0f, v35
	s_delay_alu instid0(VALU_DEP_2) | instskip(NEXT) | instid1(VALU_DEP_1)
	v_mul_f32_e32 v42, v49, v203
	v_mul_f32_e32 v121, 0x3e000000, v42
	s_waitcnt vmcnt(0)
	v_dot4_i32_iu8 v39, v47, v39, 0 neg_lo:[1,1,0]
	v_dot4_i32_iu8 v40, v45, v40, 0 neg_lo:[1,1,0]
	s_delay_alu instid0(VALU_DEP_2) | instskip(NEXT) | instid1(VALU_DEP_2)
	v_cvt_f32_i32_e32 v39, v39
	v_cvt_f32_i32_e32 v40, v40
	s_delay_alu instid0(VALU_DEP_2) | instskip(NEXT) | instid1(VALU_DEP_2)
	v_fma_f32 v125, v41, v39, v254
	v_fmac_f32_e32 v254, v41, v40
	v_lshrrev_b32_e32 v40, 4, v43
	v_and_b32_e32 v39, 0xf0f0f0f, v43
	scratch_load_b64 v[42:43], off, off offset:144 ; 8-byte Folded Reload
	v_and_b32_e32 v33, 0xf0f0f0f, v40
	scratch_load_b64 v[40:41], off, off offset:136 ; 8-byte Folded Reload
	s_waitcnt vmcnt(1)
	v_dot4_i32_iu8 v42, v35, v42, 0 neg_lo:[1,1,0]
	v_dot4_i32_iu8 v43, v33, v43, 0 neg_lo:[1,1,0]
	s_waitcnt vmcnt(0)
	v_dot4_i32_iu8 v40, v117, v40, 0 neg_lo:[1,1,0]
	v_dot4_i32_iu8 v41, v39, v41, 0 neg_lo:[1,1,0]
	v_cvt_f32_i32_e32 v42, v42
	v_cvt_f32_i32_e32 v43, v43
	s_delay_alu instid0(VALU_DEP_4) | instskip(NEXT) | instid1(VALU_DEP_4)
	v_cvt_f32_i32_e32 v40, v40
	v_cvt_f32_i32_e32 v41, v41
	s_delay_alu instid0(VALU_DEP_4) | instskip(NEXT) | instid1(VALU_DEP_3)
	v_fma_f32 v130, v119, v42, v121
	v_fma_f32 v118, v119, v40, v121
	s_delay_alu instid0(VALU_DEP_3)
	v_fma_f32 v126, v119, v41, v121
	v_fmac_f32_e32 v121, v119, v43
	v_cvt_f32_f16_e32 v41, v34
	v_lshrrev_b32_e32 v34, 16, v34
	v_and_b32_e32 v43, 0xf0f0f0f, v249
	v_lshrrev_b32_e32 v119, 4, v249
	v_lshrrev_b32_e32 v249, 4, v32
	v_and_b32_e32 v40, 0xf0f0f0f, v32
	v_cvt_f32_f16_e32 v42, v34
	s_delay_alu instid0(VALU_DEP_4) | instskip(NEXT) | instid1(VALU_DEP_4)
	v_and_b32_e32 v34, 0xf0f0f0f, v119
	v_and_b32_e32 v32, 0xf0f0f0f, v249
	v_dot4_i32_iu8 v119, v43, v122, 0 neg_lo:[1,1,0]
	v_dot4_i32_iu8 v249, v40, v123, 0 neg_lo:[1,1,0]
	scratch_load_b64 v[122:123], off, off offset:160 ; 8-byte Folded Reload
	v_mul_f32_e32 v131, v51, v42
	v_cvt_f32_i32_e32 v119, v119
	v_cvt_f32_i32_e32 v249, v249
	s_delay_alu instid0(VALU_DEP_3)
	v_mul_f32_e32 v131, 0x3e000000, v131
	s_waitcnt vmcnt(0)
	v_dot4_i32_iu8 v133, v32, v123, 0 neg_lo:[1,1,0]
	v_mul_f32_e32 v123, v50, v41
	scratch_load_b32 v50, off, off offset:424 ; 4-byte Folded Reload
	v_dot4_i32_iu8 v132, v34, v122, 0 neg_lo:[1,1,0]
	v_cvt_f32_i32_e32 v133, v133
	v_fma_f32 v119, v123, v119, v131
	v_fma_f32 v249, v123, v249, v131
	s_delay_alu instid0(VALU_DEP_4) | instskip(NEXT) | instid1(VALU_DEP_1)
	v_cvt_f32_i32_e32 v132, v132
	v_fma_f32 v132, v123, v132, v131
	v_fmac_f32_e32 v131, v123, v133
	v_add_f32_e32 v123, 0, v235
	s_delay_alu instid0(VALU_DEP_1) | instskip(NEXT) | instid1(VALU_DEP_1)
	v_add_f32_e32 v38, v123, v38
	v_add_f32_e32 v38, v38, v236
	s_delay_alu instid0(VALU_DEP_1) | instskip(NEXT) | instid1(VALU_DEP_1)
	v_add_f32_e32 v38, v38, v234
	;; [unrolled: 3-line block ×15, first 2 shown]
	v_add_f32_e32 v38, v38, v132
	s_delay_alu instid0(VALU_DEP_1)
	v_add_f32_e32 v38, v38, v131
	s_waitcnt vmcnt(0)
	ds_bpermute_b32 v118, v50, v38
	s_waitcnt lgkmcnt(0)
	v_add_f32_e32 v38, v38, v118
	s_cbranch_vccz .LBB28_23
; %bb.22:                               ;   in Loop: Header=BB28_21 Depth=1
	scratch_load_b32 v48, off, off offset:16 ; 4-byte Folded Reload
	s_waitcnt vmcnt(0)
	v_add_co_u32 v234, vcc_lo, v48, s73
	scratch_load_b32 v48, off, off offset:20 ; 4-byte Folded Reload
	s_waitcnt vmcnt(0)
	v_add_co_ci_u32_e32 v235, vcc_lo, s75, v48, vcc_lo
	global_load_u16 v118, v[234:235], off offset:-2
	scratch_load_b32 v119, off, off offset:36 ; 4-byte Folded Reload
	s_waitcnt vmcnt(0)
	v_fma_mix_f32 v38, v119, v118, v38 op_sel_hi:[0,1,0]
.LBB28_23:                              ;   in Loop: Header=BB28_21 Depth=1
	s_clause 0x1
	scratch_load_b64 v[48:49], off, off offset:168
	scratch_load_b128 v[130:133], off, off offset:360
	v_mov_b32_e32 v56, v58
	v_mov_b32_e32 v64, v59
	s_and_not1_b32 vcc_lo, exec_lo, s86
	v_mov_b32_e32 v63, v57
	s_waitcnt vmcnt(1)
	v_dot4_i32_iu8 v118, v232, v48, 0 neg_lo:[1,1,0]
	v_dot4_i32_iu8 v121, v231, v49, 0 neg_lo:[1,1,0]
	scratch_load_b64 v[48:49], off, off offset:176 ; 8-byte Folded Reload
	s_waitcnt vmcnt(1)
	v_dual_mul_f32 v119, v131, v233 :: v_dual_mul_f32 v126, v133, v227
	v_mul_f32_e32 v120, v130, v229
	v_cvt_f32_i32_e32 v118, v118
	v_cvt_f32_i32_e32 v121, v121
	s_delay_alu instid0(VALU_DEP_4) | instskip(NEXT) | instid1(VALU_DEP_1)
	v_dual_mul_f32 v119, 0x3e000000, v119 :: v_dual_mul_f32 v126, 0x3e000000, v126
	v_fma_f32 v118, v120, v118, v119
	s_delay_alu instid0(VALU_DEP_3) | instskip(NEXT) | instid1(VALU_DEP_2)
	v_fma_f32 v121, v120, v121, v119
	v_add_f32_e32 v118, 0, v118
	s_delay_alu instid0(VALU_DEP_1)
	v_add_f32_e32 v118, v118, v121
	s_waitcnt vmcnt(0)
	v_dot4_i32_iu8 v123, v230, v48, 0 neg_lo:[1,1,0]
	v_dot4_i32_iu8 v125, v228, v49, 0 neg_lo:[1,1,0]
	scratch_load_b64 v[48:49], off, off offset:184 ; 8-byte Folded Reload
	v_cvt_f32_i32_e32 v123, v123
	v_cvt_f32_i32_e32 v125, v125
	s_delay_alu instid0(VALU_DEP_2) | instskip(NEXT) | instid1(VALU_DEP_2)
	v_fma_f32 v123, v120, v123, v119
	v_fmac_f32_e32 v119, v120, v125
	v_mul_f32_e32 v125, v132, v223
	s_delay_alu instid0(VALU_DEP_3) | instskip(NEXT) | instid1(VALU_DEP_1)
	v_add_f32_e32 v118, v118, v123
	v_add_f32_e32 v118, v118, v119
	s_waitcnt vmcnt(0)
	v_dot4_i32_iu8 v120, v225, v48, 0 neg_lo:[1,1,0]
	v_dot4_i32_iu8 v130, v226, v49, 0 neg_lo:[1,1,0]
	scratch_load_b64 v[48:49], off, off offset:192 ; 8-byte Folded Reload
	v_cvt_f32_i32_e32 v120, v120
	v_cvt_f32_i32_e32 v130, v130
	s_delay_alu instid0(VALU_DEP_2) | instskip(NEXT) | instid1(VALU_DEP_2)
	v_fma_f32 v120, v125, v120, v126
	v_fma_f32 v130, v125, v130, v126
	s_delay_alu instid0(VALU_DEP_2)
	v_add_f32_e32 v118, v118, v120
	scratch_load_b128 v[119:122], off, off offset:408 ; 16-byte Folded Reload
	v_add_f32_e32 v118, v118, v130
	s_waitcnt vmcnt(1)
	v_dot4_i32_iu8 v131, v224, v48, 0 neg_lo:[1,1,0]
	v_dot4_i32_iu8 v132, v222, v49, 0 neg_lo:[1,1,0]
	s_clause 0x1
	scratch_load_b64 v[48:49], off, off offset:200
	scratch_load_b128 v[222:225], off, off offset:376
	v_cvt_f32_i32_e32 v131, v131
	v_cvt_f32_i32_e32 v132, v132
	s_delay_alu instid0(VALU_DEP_2) | instskip(NEXT) | instid1(VALU_DEP_2)
	v_fma_f32 v131, v125, v131, v126
	v_fmac_f32_e32 v126, v125, v132
	s_waitcnt vmcnt(2)
	v_mul_f32_e32 v46, v119, v46
	s_delay_alu instid0(VALU_DEP_3) | instskip(SKIP_1) | instid1(VALU_DEP_1)
	v_add_f32_e32 v118, v118, v131
	v_dual_mul_f32 v42, v122, v42 :: v_dual_mul_f32 v41, v121, v41
	v_mul_f32_e32 v42, 0x3e000000, v42
	s_waitcnt vmcnt(1)
	v_dot4_i32_iu8 v125, v219, v48, 0 neg_lo:[1,1,0]
	s_waitcnt vmcnt(0)
	v_mul_f32_e32 v133, v223, v221
	v_mul_f32_e32 v132, v222, v217
	v_dot4_i32_iu8 v217, v220, v49, 0 neg_lo:[1,1,0]
	s_clause 0x1
	scratch_load_b64 v[48:49], off, off offset:208
	scratch_load_b128 v[219:222], off, off offset:392
	v_cvt_f32_i32_e32 v125, v125
	v_mul_f32_e32 v133, 0x3e000000, v133
	v_cvt_f32_i32_e32 v217, v217
	v_dual_mul_f32 v211, v224, v211 :: v_dual_add_f32 v118, v118, v126
	s_delay_alu instid0(VALU_DEP_3) | instskip(NEXT) | instid1(VALU_DEP_3)
	v_fma_f32 v125, v132, v125, v133
	v_fma_f32 v217, v132, v217, v133
	s_delay_alu instid0(VALU_DEP_2) | instskip(NEXT) | instid1(VALU_DEP_1)
	v_add_f32_e32 v118, v118, v125
	v_add_f32_e32 v118, v118, v217
	s_waitcnt vmcnt(1)
	v_dot4_i32_iu8 v218, v218, v48, 0 neg_lo:[1,1,0]
	v_dot4_i32_iu8 v216, v216, v49, 0 neg_lo:[1,1,0]
	scratch_load_b64 v[48:49], off, off offset:216 ; 8-byte Folded Reload
	s_waitcnt vmcnt(1)
	v_mul_f32_e32 v116, v222, v116
	v_mul_f32_e32 v44, v221, v44
	v_cvt_f32_i32_e32 v218, v218
	v_cvt_f32_i32_e32 v216, v216
	s_delay_alu instid0(VALU_DEP_4) | instskip(NEXT) | instid1(VALU_DEP_3)
	v_mul_f32_e32 v116, 0x3e000000, v116
	v_fma_f32 v218, v132, v218, v133
	s_delay_alu instid0(VALU_DEP_1) | instskip(NEXT) | instid1(VALU_DEP_1)
	v_dual_fmac_f32 v133, v132, v216 :: v_dual_add_f32 v118, v118, v218
	v_add_f32_e32 v118, v118, v133
	s_waitcnt vmcnt(0)
	v_dot4_i32_iu8 v132, v213, v48, 0 neg_lo:[1,1,0]
	v_dot4_i32_iu8 v214, v214, v49, 0 neg_lo:[1,1,0]
	scratch_load_b64 v[48:49], off, off offset:224 ; 8-byte Folded Reload
	v_mul_f32_e32 v213, v225, v215
	v_cvt_f32_i32_e32 v132, v132
	v_cvt_f32_i32_e32 v214, v214
	s_delay_alu instid0(VALU_DEP_3) | instskip(NEXT) | instid1(VALU_DEP_1)
	v_mul_f32_e32 v213, 0x3e000000, v213
	v_fma_f32 v132, v211, v132, v213
	s_delay_alu instid0(VALU_DEP_3) | instskip(NEXT) | instid1(VALU_DEP_2)
	v_fma_f32 v214, v211, v214, v213
	v_dual_add_f32 v118, v118, v132 :: v_dual_mul_f32 v205, v219, v205
	s_delay_alu instid0(VALU_DEP_1)
	v_add_f32_e32 v118, v118, v214
	s_waitcnt vmcnt(0)
	v_dot4_i32_iu8 v212, v212, v48, 0 neg_lo:[1,1,0]
	v_dot4_i32_iu8 v209, v209, v49, 0 neg_lo:[1,1,0]
	scratch_load_b64 v[48:49], off, off offset:232 ; 8-byte Folded Reload
	v_cvt_f32_i32_e32 v212, v212
	v_cvt_f32_i32_e32 v209, v209
	s_delay_alu instid0(VALU_DEP_2) | instskip(NEXT) | instid1(VALU_DEP_2)
	v_fma_f32 v212, v211, v212, v213
	v_fmac_f32_e32 v213, v211, v209
	s_delay_alu instid0(VALU_DEP_2) | instskip(NEXT) | instid1(VALU_DEP_1)
	v_dual_mul_f32 v209, v220, v210 :: v_dual_add_f32 v118, v118, v212
	v_add_f32_e32 v118, v118, v213
	s_delay_alu instid0(VALU_DEP_2)
	v_mul_f32_e32 v209, 0x3e000000, v209
	s_waitcnt vmcnt(0)
	v_dot4_i32_iu8 v207, v207, v48, 0 neg_lo:[1,1,0]
	v_dot4_i32_iu8 v208, v208, v49, 0 neg_lo:[1,1,0]
	scratch_load_b64 v[48:49], off, off offset:240 ; 8-byte Folded Reload
	v_cvt_f32_i32_e32 v207, v207
	v_cvt_f32_i32_e32 v208, v208
	s_delay_alu instid0(VALU_DEP_2) | instskip(NEXT) | instid1(VALU_DEP_1)
	v_fma_f32 v207, v205, v207, v209
	v_add_f32_e32 v118, v118, v207
	s_delay_alu instid0(VALU_DEP_3) | instskip(NEXT) | instid1(VALU_DEP_1)
	v_fma_f32 v208, v205, v208, v209
	v_add_f32_e32 v118, v118, v208
	s_waitcnt vmcnt(0)
	v_dot4_i32_iu8 v206, v206, v48, 0 neg_lo:[1,1,0]
	v_dot4_i32_iu8 v204, v204, v49, 0 neg_lo:[1,1,0]
	scratch_load_b64 v[48:49], off, off offset:248 ; 8-byte Folded Reload
	v_cvt_f32_i32_e32 v206, v206
	v_cvt_f32_i32_e32 v204, v204
	s_delay_alu instid0(VALU_DEP_2) | instskip(NEXT) | instid1(VALU_DEP_1)
	v_fma_f32 v206, v205, v206, v209
	v_dual_fmac_f32 v209, v205, v204 :: v_dual_add_f32 v118, v118, v206
	s_delay_alu instid0(VALU_DEP_1)
	v_add_f32_e32 v118, v118, v209
	s_waitcnt vmcnt(0)
	v_dot4_i32_iu8 v114, v114, v48, 0 neg_lo:[1,1,0]
	v_dot4_i32_iu8 v115, v115, v49, 0 neg_lo:[1,1,0]
	scratch_load_b64 v[48:49], off, off offset:256 ; 8-byte Folded Reload
	v_cvt_f32_i32_e32 v114, v114
	v_cvt_f32_i32_e32 v115, v115
	s_delay_alu instid0(VALU_DEP_2) | instskip(NEXT) | instid1(VALU_DEP_2)
	v_fma_f32 v114, v44, v114, v116
	v_fma_f32 v115, v44, v115, v116
	s_delay_alu instid0(VALU_DEP_2) | instskip(SKIP_1) | instid1(VALU_DEP_2)
	v_add_f32_e32 v114, v118, v114
	v_mul_f32_e32 v118, v120, v203
	v_add_f32_e32 v114, v114, v115
	s_waitcnt vmcnt(0)
	v_dot4_i32_iu8 v47, v47, v48, 0 neg_lo:[1,1,0]
	v_dot4_i32_iu8 v45, v45, v49, 0 neg_lo:[1,1,0]
	scratch_load_b64 v[48:49], off, off offset:264 ; 8-byte Folded Reload
	v_cvt_f32_i32_e32 v47, v47
	v_cvt_f32_i32_e32 v45, v45
	s_delay_alu instid0(VALU_DEP_2) | instskip(NEXT) | instid1(VALU_DEP_2)
	v_fma_f32 v47, v44, v47, v116
	v_fmac_f32_e32 v116, v44, v45
	s_delay_alu instid0(VALU_DEP_2) | instskip(NEXT) | instid1(VALU_DEP_1)
	v_add_f32_e32 v44, v114, v47
	v_add_f32_e32 v44, v44, v116
	s_waitcnt vmcnt(0)
	v_dot4_i32_iu8 v117, v117, v48, 0 neg_lo:[1,1,0]
	scratch_load_b64 v[47:48], off, off offset:272 ; 8-byte Folded Reload
	v_dot4_i32_iu8 v39, v39, v49, 0 neg_lo:[1,1,0]
	v_cvt_f32_i32_e32 v115, v117
	v_mul_f32_e32 v117, 0x3e000000, v118
	s_delay_alu instid0(VALU_DEP_3) | instskip(NEXT) | instid1(VALU_DEP_2)
	v_cvt_f32_i32_e32 v39, v39
	v_fma_f32 v45, v46, v115, v117
	s_delay_alu instid0(VALU_DEP_2) | instskip(NEXT) | instid1(VALU_DEP_2)
	v_fma_f32 v39, v46, v39, v117
	v_add_f32_e32 v44, v44, v45
	s_delay_alu instid0(VALU_DEP_1)
	v_add_f32_e32 v39, v44, v39
	scratch_load_b64 v[44:45], off, off offset:288 ; 8-byte Folded Reload
	s_waitcnt vmcnt(1)
	v_dot4_i32_iu8 v35, v35, v47, 0 neg_lo:[1,1,0]
	v_dot4_i32_iu8 v33, v33, v48, 0 neg_lo:[1,1,0]
	scratch_load_b64 v[47:48], off, off offset:280 ; 8-byte Folded Reload
	v_cvt_f32_i32_e32 v35, v35
	v_cvt_f32_i32_e32 v33, v33
	s_delay_alu instid0(VALU_DEP_2) | instskip(NEXT) | instid1(VALU_DEP_2)
	v_fma_f32 v35, v46, v35, v117
	v_fmac_f32_e32 v117, v46, v33
	s_delay_alu instid0(VALU_DEP_2) | instskip(NEXT) | instid1(VALU_DEP_1)
	v_add_f32_e32 v33, v39, v35
	v_add_f32_e32 v33, v33, v117
	s_waitcnt vmcnt(1)
	v_dot4_i32_iu8 v34, v34, v44, 0 neg_lo:[1,1,0]
	v_dot4_i32_iu8 v32, v32, v45, 0 neg_lo:[1,1,0]
	s_delay_alu instid0(VALU_DEP_2) | instskip(NEXT) | instid1(VALU_DEP_2)
	v_cvt_f32_i32_e32 v34, v34
	v_cvt_f32_i32_e32 v32, v32
	s_delay_alu instid0(VALU_DEP_2) | instskip(SKIP_3) | instid1(VALU_DEP_2)
	v_fma_f32 v34, v41, v34, v42
	s_waitcnt vmcnt(0)
	v_dot4_i32_iu8 v43, v43, v47, 0 neg_lo:[1,1,0]
	v_dot4_i32_iu8 v40, v40, v48, 0 neg_lo:[1,1,0]
	v_cvt_f32_i32_e32 v43, v43
	s_delay_alu instid0(VALU_DEP_2) | instskip(NEXT) | instid1(VALU_DEP_2)
	v_cvt_f32_i32_e32 v35, v40
	v_fma_f32 v39, v41, v43, v42
	s_delay_alu instid0(VALU_DEP_2) | instskip(SKIP_1) | instid1(VALU_DEP_3)
	v_fma_f32 v35, v41, v35, v42
	v_fmac_f32_e32 v42, v41, v32
	v_add_f32_e32 v33, v33, v39
	s_delay_alu instid0(VALU_DEP_1) | instskip(NEXT) | instid1(VALU_DEP_1)
	v_add_f32_e32 v33, v33, v35
	v_add_f32_e32 v33, v33, v34
	s_delay_alu instid0(VALU_DEP_1)
	v_add_f32_e32 v32, v33, v42
	ds_bpermute_b32 v33, v50, v32
	s_waitcnt lgkmcnt(0)
	v_add_f32_e32 v39, v32, v33
	s_cbranch_vccnz .LBB28_25
; %bb.24:                               ;   in Loop: Header=BB28_21 Depth=1
	scratch_load_b32 v33, off, off offset:32 ; 4-byte Folded Reload
	v_add_co_u32 v32, vcc_lo, v60, s73
	v_mov_b32_e32 v50, v60
	s_waitcnt vmcnt(0)
	v_add_co_ci_u32_e32 v33, vcc_lo, s75, v33, vcc_lo
	global_load_u16 v32, v[32:33], off
	scratch_load_b32 v33, off, off offset:36 ; 4-byte Folded Reload
	s_waitcnt vmcnt(0)
	v_fma_mix_f32 v39, v33, v32, v39 op_sel_hi:[0,1,0]
	s_branch .LBB28_26
.LBB28_25:                              ;   in Loop: Header=BB28_21 Depth=1
	v_mov_b32_e32 v50, v60
.LBB28_26:                              ;   in Loop: Header=BB28_21 Depth=1
	scratch_load_b32 v32, off, off offset:24 ; 4-byte Folded Reload
	s_waitcnt vmcnt(0)
	v_add_co_u32 v34, vcc_lo, v32, s5
	scratch_load_b32 v32, off, off offset:28 ; 4-byte Folded Reload
	s_waitcnt vmcnt(0)
	v_add_co_ci_u32_e32 v35, vcc_lo, 0, v32, vcc_lo
	global_load_b32 v41, v[34:35], off
	s_clause 0x1
	scratch_load_b32 v32, off, off offset:8
	scratch_load_b32 v33, off, off offset:12
	s_waitcnt vmcnt(2)
	v_cvt_f32_f16_e64 v231, v41
	s_waitcnt vmcnt(1)
	v_add_co_u32 v32, vcc_lo, v32, s5
	s_waitcnt vmcnt(0)
	v_add_co_ci_u32_e32 v33, vcc_lo, 0, v33, vcc_lo
	s_and_not1_b32 vcc_lo, exec_lo, s83
	s_clause 0x1
	global_load_b32 v40, v[32:33], off offset:4
	global_load_b32 v42, v[32:33], off offset:12
	;; [unrolled: 1-line block ×3, first 2 shown]
	s_clause 0x1
	global_load_b32 v44, v[32:33], off offset:24
	global_load_b32 v45, v[32:33], off offset:32
	s_clause 0x5
	global_load_b32 v46, v[34:35], off offset:40
	global_load_b32 v47, v[34:35], off offset:60
	;; [unrolled: 1-line block ×6, first 2 shown]
	v_lshrrev_b32_e32 v35, 16, v41
	s_clause 0x3
	global_load_b32 v41, v[32:33], off offset:44
	global_load_b32 v116, v[32:33], off offset:52
	;; [unrolled: 1-line block ×4, first 2 shown]
	s_clause 0x1
	scratch_load_b128 v[129:132], off, off offset:296
	scratch_load_b128 v[203:206], off, off offset:312
	v_cvt_f32_f16_e64 v235, v35
	s_waitcnt vmcnt(16)
	v_and_b32_e32 v234, 0xf0f0f0f, v40
	s_waitcnt vmcnt(15)
	v_lshrrev_b32_e32 v120, 4, v42
	v_lshrrev_b32_e32 v40, 4, v40
	v_and_b32_e32 v233, 0xf0f0f0f, v42
	s_waitcnt vmcnt(14)
	v_cvt_f32_f16_e64 v225, v43
	s_waitcnt vmcnt(11)
	v_cvt_f32_f16_e64 v219, v46
	v_and_b32_e32 v230, 0xf0f0f0f, v120
	scratch_load_b64 v[120:121], off, off offset:40 ; 8-byte Folded Reload
	v_and_b32_e32 v232, 0xf0f0f0f, v40
	s_waitcnt vmcnt(11)
	v_cvt_f32_f16_e64 v213, v47
	v_and_b32_e32 v228, 0xf0f0f0f, v45
	s_waitcnt vmcnt(6)
	v_and_b32_e32 v221, 0xf0f0f0f, v41
	v_cvt_f32_f16_e64 v207, v114
	s_waitcnt vmcnt(2)
	v_mul_f32_e32 v42, v130, v235
	v_dual_mul_f32 v123, v129, v231 :: v_dual_and_b32 v222, 0xf0f0f0f, v116
	v_and_b32_e32 v215, 0xf0f0f0f, v117
	v_and_b32_e32 v216, 0xf0f0f0f, v119
	;; [unrolled: 1-line block ×3, first 2 shown]
	s_waitcnt vmcnt(0)
	v_dot4_i32_iu8 v40, v233, v121, 0 neg_lo:[1,1,0]
	scratch_load_b64 v[121:122], off, off offset:48 ; 8-byte Folded Reload
	v_dot4_i32_iu8 v35, v234, v120, 0 neg_lo:[1,1,0]
	v_mul_f32_e32 v120, 0x3e000000, v42
	v_cvt_f32_i32_e32 v40, v40
	s_delay_alu instid0(VALU_DEP_3) | instskip(NEXT) | instid1(VALU_DEP_2)
	v_cvt_f32_i32_e32 v35, v35
	v_fma_f32 v126, v123, v40, v120
	v_lshrrev_b32_e32 v40, 4, v44
	s_delay_alu instid0(VALU_DEP_3) | instskip(SKIP_2) | instid1(VALU_DEP_4)
	v_fma_f32 v125, v123, v35, v120
	v_lshrrev_b32_e32 v35, 16, v43
	v_mul_f32_e32 v44, v131, v225
	v_and_b32_e32 v226, 0xf0f0f0f, v40
	s_delay_alu instid0(VALU_DEP_3) | instskip(SKIP_3) | instid1(VALU_DEP_2)
	v_cvt_f32_f16_e64 v229, v35
	s_waitcnt vmcnt(0)
	v_dot4_i32_iu8 v42, v232, v121, 0 neg_lo:[1,1,0]
	v_dot4_i32_iu8 v121, v230, v122, 0 neg_lo:[1,1,0]
	v_cvt_f32_i32_e32 v42, v42
	s_delay_alu instid0(VALU_DEP_2) | instskip(NEXT) | instid1(VALU_DEP_2)
	v_cvt_f32_i32_e32 v121, v121
	v_fma_f32 v130, v123, v42, v120
	v_lshrrev_b32_e32 v42, 4, v45
	s_delay_alu instid0(VALU_DEP_3) | instskip(NEXT) | instid1(VALU_DEP_2)
	v_fmac_f32_e32 v120, v123, v121
	v_and_b32_e32 v224, 0xf0f0f0f, v42
	scratch_load_b64 v[42:43], off, off offset:56 ; 8-byte Folded Reload
	s_waitcnt vmcnt(0)
	v_dot4_i32_iu8 v35, v227, v42, 0 neg_lo:[1,1,0]
	v_dot4_i32_iu8 v40, v228, v43, 0 neg_lo:[1,1,0]
	v_mul_f32_e32 v42, v132, v229
	s_delay_alu instid0(VALU_DEP_3) | instskip(NEXT) | instid1(VALU_DEP_3)
	v_cvt_f32_i32_e32 v35, v35
	v_cvt_f32_i32_e32 v40, v40
	s_delay_alu instid0(VALU_DEP_3)
	v_mul_f32_e32 v45, 0x3e000000, v42
	scratch_load_b64 v[42:43], off, off offset:64 ; 8-byte Folded Reload
	v_fma_f32 v123, v44, v40, v45
	v_lshrrev_b32_e32 v40, 4, v41
	v_lshrrev_b32_e32 v41, 4, v116
	v_fma_f32 v121, v44, v35, v45
	v_lshrrev_b32_e32 v35, 16, v46
	v_cvt_f32_f16_e32 v116, v118
	v_and_b32_e32 v220, 0xf0f0f0f, v40
	v_and_b32_e32 v218, 0xf0f0f0f, v41
	scratch_load_b64 v[40:41], off, off offset:72 ; 8-byte Folded Reload
	v_cvt_f32_f16_e64 v223, v35
	s_waitcnt vmcnt(1)
	v_dot4_i32_iu8 v42, v226, v42, 0 neg_lo:[1,1,0]
	v_dot4_i32_iu8 v43, v224, v43, 0 neg_lo:[1,1,0]
	s_delay_alu instid0(VALU_DEP_2) | instskip(NEXT) | instid1(VALU_DEP_2)
	v_cvt_f32_i32_e32 v42, v42
	v_cvt_f32_i32_e32 v43, v43
	s_delay_alu instid0(VALU_DEP_2) | instskip(NEXT) | instid1(VALU_DEP_2)
	v_fma_f32 v131, v44, v42, v45
	v_fmac_f32_e32 v45, v44, v43
	s_waitcnt vmcnt(0)
	v_dot4_i32_iu8 v35, v221, v40, 0 neg_lo:[1,1,0]
	v_dot4_i32_iu8 v40, v222, v41, 0 neg_lo:[1,1,0]
	v_mul_f32_e32 v41, v204, v223
	v_mul_f32_e32 v43, v203, v219
	s_delay_alu instid0(VALU_DEP_4) | instskip(NEXT) | instid1(VALU_DEP_4)
	v_cvt_f32_i32_e32 v35, v35
	v_cvt_f32_i32_e32 v40, v40
	s_delay_alu instid0(VALU_DEP_4)
	v_mul_f32_e32 v132, 0x3e000000, v41
	scratch_load_b64 v[41:42], off, off offset:80 ; 8-byte Folded Reload
	v_fma_f32 v236, v43, v40, v132
	v_lshrrev_b32_e32 v40, 4, v117
	v_fma_f32 v133, v43, v35, v132
	v_lshrrev_b32_e32 v35, 16, v47
	s_delay_alu instid0(VALU_DEP_3) | instskip(NEXT) | instid1(VALU_DEP_2)
	v_and_b32_e32 v214, 0xf0f0f0f, v40
	v_cvt_f32_f16_e64 v217, v35
	s_waitcnt vmcnt(0)
	v_dot4_i32_iu8 v41, v220, v41, 0 neg_lo:[1,1,0]
	v_dot4_i32_iu8 v42, v218, v42, 0 neg_lo:[1,1,0]
	s_delay_alu instid0(VALU_DEP_2) | instskip(NEXT) | instid1(VALU_DEP_2)
	v_cvt_f32_i32_e32 v41, v41
	v_cvt_f32_i32_e32 v42, v42
	s_delay_alu instid0(VALU_DEP_2) | instskip(SKIP_1) | instid1(VALU_DEP_3)
	v_fma_f32 v237, v43, v41, v132
	v_lshrrev_b32_e32 v41, 4, v119
	v_dual_fmac_f32 v132, v43, v42 :: v_dual_mul_f32 v43, v205, v213
	s_delay_alu instid0(VALU_DEP_2)
	v_and_b32_e32 v211, 0xf0f0f0f, v41
	scratch_load_b64 v[40:41], off, off offset:88 ; 8-byte Folded Reload
	s_waitcnt vmcnt(0)
	v_dot4_i32_iu8 v35, v215, v40, 0 neg_lo:[1,1,0]
	v_dot4_i32_iu8 v40, v216, v41, 0 neg_lo:[1,1,0]
	v_mul_f32_e32 v41, v206, v217
	s_delay_alu instid0(VALU_DEP_3) | instskip(NEXT) | instid1(VALU_DEP_3)
	v_cvt_f32_i32_e32 v35, v35
	v_cvt_f32_i32_e32 v40, v40
	s_delay_alu instid0(VALU_DEP_3)
	v_mul_f32_e32 v119, 0x3e000000, v41
	scratch_load_b64 v[41:42], off, off offset:96 ; 8-byte Folded Reload
	v_fma_f32 v238, v43, v35, v119
	v_fma_f32 v239, v43, v40, v119
	s_waitcnt vmcnt(0)
	v_dot4_i32_iu8 v41, v214, v41, 0 neg_lo:[1,1,0]
	v_dot4_i32_iu8 v42, v211, v42, 0 neg_lo:[1,1,0]
	s_delay_alu instid0(VALU_DEP_2) | instskip(NEXT) | instid1(VALU_DEP_2)
	v_cvt_f32_i32_e32 v41, v41
	v_cvt_f32_i32_e32 v42, v42
	s_delay_alu instid0(VALU_DEP_2) | instskip(NEXT) | instid1(VALU_DEP_2)
	v_fma_f32 v240, v43, v41, v119
	v_fmac_f32_e32 v119, v43, v42
	s_clause 0x7
	global_load_b32 v35, v[32:33], off offset:84
	global_load_b32 v40, v[32:33], off offset:92
	;; [unrolled: 1-line block ×8, first 2 shown]
	v_lshrrev_b32_e32 v32, 16, v114
	s_clause 0x3
	scratch_load_b128 v[245:248], off, off offset:328
	scratch_load_b64 v[254:255], off, off offset:152
	scratch_load_b64 v[48:49], off, off offset:160
	scratch_load_b128 v[57:60], off, off offset:344
	v_cvt_f32_f16_e64 v212, v32
	s_waitcnt vmcnt(11)
	v_and_b32_e32 v209, 0xf0f0f0f, v35
	s_waitcnt vmcnt(10)
	v_lshrrev_b32_e32 v46, 4, v40
	v_lshrrev_b32_e32 v35, 4, v35
	v_and_b32_e32 v210, 0xf0f0f0f, v40
	s_waitcnt vmcnt(7)
	v_and_b32_e32 v204, 0xf0f0f0f, v43
	v_and_b32_e32 v206, 0xf0f0f0f, v46
	scratch_load_b64 v[46:47], off, off offset:104 ; 8-byte Folded Reload
	v_and_b32_e32 v208, 0xf0f0f0f, v35
	s_waitcnt vmcnt(4)
	v_mul_f32_e32 v40, v246, v212
	s_waitcnt vmcnt(1)
	v_mul_f32_e32 v250, v57, v116
	s_delay_alu instid0(VALU_DEP_2)
	v_mul_f32_e32 v242, 0x3e000000, v40
	s_waitcnt vmcnt(0)
	v_dot4_i32_iu8 v32, v209, v46, 0 neg_lo:[1,1,0]
	v_dot4_i32_iu8 v35, v210, v47, 0 neg_lo:[1,1,0]
	scratch_load_b64 v[46:47], off, off offset:112 ; 8-byte Folded Reload
	v_cvt_f32_i32_e32 v32, v32
	v_cvt_f32_i32_e32 v35, v35
	s_waitcnt vmcnt(0)
	v_dot4_i32_iu8 v40, v208, v46, 0 neg_lo:[1,1,0]
	v_dot4_i32_iu8 v46, v206, v47, 0 neg_lo:[1,1,0]
	v_mul_f32_e32 v47, v245, v207
	s_delay_alu instid0(VALU_DEP_3) | instskip(NEXT) | instid1(VALU_DEP_3)
	v_cvt_f32_i32_e32 v40, v40
	v_cvt_f32_i32_e32 v46, v46
	s_delay_alu instid0(VALU_DEP_3)
	v_fma_f32 v243, v47, v32, v242
	v_lshrrev_b32_e32 v32, 16, v115
	v_fma_f32 v244, v47, v35, v242
	v_fma_f32 v245, v47, v40, v242
	v_lshrrev_b32_e32 v40, 4, v42
	v_lshrrev_b32_e32 v35, 4, v41
	v_cvt_f32_f16_e64 v203, v32
	v_dual_fmac_f32 v242, v47, v46 :: v_dual_and_b32 v117, 0xf0f0f0f, v41
	s_delay_alu instid0(VALU_DEP_4)
	v_and_b32_e32 v114, 0xf0f0f0f, v40
	scratch_load_b64 v[40:41], off, off offset:120 ; 8-byte Folded Reload
	v_cvt_f32_f16_e32 v46, v115
	v_and_b32_e32 v115, 0xf0f0f0f, v35
	s_waitcnt vmcnt(0)
	v_dot4_i32_iu8 v32, v117, v40, 0 neg_lo:[1,1,0]
	v_mul_f32_e32 v40, v248, v203
	s_delay_alu instid0(VALU_DEP_2) | instskip(NEXT) | instid1(VALU_DEP_2)
	v_cvt_f32_i32_e32 v32, v32
	v_mul_f32_e32 v246, 0x3e000000, v40
	v_and_b32_e32 v47, 0xf0f0f0f, v42
	v_mul_f32_e32 v42, v247, v46
	s_delay_alu instid0(VALU_DEP_2) | instskip(SKIP_4) | instid1(VALU_DEP_2)
	v_dot4_i32_iu8 v35, v47, v41, 0 neg_lo:[1,1,0]
	scratch_load_b64 v[40:41], off, off offset:128 ; 8-byte Folded Reload
	v_fma_f32 v247, v42, v32, v246
	v_lshrrev_b32_e32 v32, 16, v118
	v_cvt_f32_i32_e32 v35, v35
	v_cvt_f32_f16_e64 v205, v32
	s_delay_alu instid0(VALU_DEP_2) | instskip(SKIP_1) | instid1(VALU_DEP_3)
	v_fma_f32 v248, v42, v35, v246
	v_lshrrev_b32_e32 v35, 4, v43
	v_mul_f32_e32 v43, v58, v205
	s_delay_alu instid0(VALU_DEP_2) | instskip(NEXT) | instid1(VALU_DEP_2)
	v_and_b32_e32 v35, 0xf0f0f0f, v35
	v_mul_f32_e32 v118, 0x3e000000, v43
	s_waitcnt vmcnt(0)
	v_dot4_i32_iu8 v40, v115, v40, 0 neg_lo:[1,1,0]
	v_dot4_i32_iu8 v41, v114, v41, 0 neg_lo:[1,1,0]
	s_delay_alu instid0(VALU_DEP_2) | instskip(NEXT) | instid1(VALU_DEP_2)
	v_cvt_f32_i32_e32 v40, v40
	v_cvt_f32_i32_e32 v41, v41
	s_delay_alu instid0(VALU_DEP_2) | instskip(SKIP_1) | instid1(VALU_DEP_3)
	v_fma_f32 v249, v42, v40, v246
	v_lshrrev_b32_e32 v40, 4, v44
	v_fmac_f32_e32 v246, v42, v41
	v_and_b32_e32 v42, 0xf0f0f0f, v44
	scratch_load_b64 v[43:44], off, off offset:144 ; 8-byte Folded Reload
	v_and_b32_e32 v32, 0xf0f0f0f, v40
	scratch_load_b64 v[40:41], off, off offset:136 ; 8-byte Folded Reload
	s_waitcnt vmcnt(1)
	v_dot4_i32_iu8 v43, v35, v43, 0 neg_lo:[1,1,0]
	v_dot4_i32_iu8 v44, v32, v44, 0 neg_lo:[1,1,0]
	s_waitcnt vmcnt(0)
	v_dot4_i32_iu8 v40, v204, v40, 0 neg_lo:[1,1,0]
	v_dot4_i32_iu8 v41, v42, v41, 0 neg_lo:[1,1,0]
	v_cvt_f32_i32_e32 v43, v43
	v_cvt_f32_i32_e32 v44, v44
	s_delay_alu instid0(VALU_DEP_4) | instskip(NEXT) | instid1(VALU_DEP_4)
	v_cvt_f32_i32_e32 v40, v40
	v_cvt_f32_i32_e32 v41, v41
	s_delay_alu instid0(VALU_DEP_4)
	v_fma_f32 v253, v250, v43, v118
	v_and_b32_e32 v43, 0xf0f0f0f, v241
	v_lshrrev_b32_e32 v241, 4, v241
	v_fma_f32 v251, v250, v40, v118
	v_fma_f32 v252, v250, v41, v118
	v_fmac_f32_e32 v118, v250, v44
	v_cvt_f32_f16_e32 v41, v34
	v_lshrrev_b32_e32 v34, 16, v34
	v_lshrrev_b32_e32 v250, 4, v33
	v_and_b32_e32 v40, 0xf0f0f0f, v33
	s_delay_alu instid0(VALU_DEP_4) | instskip(NEXT) | instid1(VALU_DEP_4)
	v_mul_f32_e32 v129, v59, v41
	v_cvt_f32_f16_e32 v44, v34
	v_and_b32_e32 v34, 0xf0f0f0f, v241
	v_and_b32_e32 v33, 0xf0f0f0f, v250
	v_dot4_i32_iu8 v241, v43, v254, 0 neg_lo:[1,1,0]
	v_dot4_i32_iu8 v250, v40, v255, 0 neg_lo:[1,1,0]
	v_mul_f32_e32 v254, v60, v44
	v_dot4_i32_iu8 v255, v34, v48, 0 neg_lo:[1,1,0]
	v_dot4_i32_iu8 v122, v33, v49, 0 neg_lo:[1,1,0]
	v_cvt_f32_i32_e32 v241, v241
	v_cvt_f32_i32_e32 v250, v250
	v_mul_f32_e32 v254, 0x3e000000, v254
	v_cvt_f32_i32_e32 v255, v255
	v_cvt_f32_i32_e32 v122, v122
	s_delay_alu instid0(VALU_DEP_3) | instskip(SKIP_1) | instid1(VALU_DEP_4)
	v_fma_f32 v241, v129, v241, v254
	v_fma_f32 v250, v129, v250, v254
	;; [unrolled: 1-line block ×3, first 2 shown]
	s_delay_alu instid0(VALU_DEP_4) | instskip(SKIP_1) | instid1(VALU_DEP_1)
	v_fmac_f32_e32 v254, v129, v122
	v_add_f32_e32 v122, 0, v125
	v_add_f32_e32 v122, v122, v126
	s_delay_alu instid0(VALU_DEP_1) | instskip(NEXT) | instid1(VALU_DEP_1)
	v_add_f32_e32 v122, v122, v130
	v_add_f32_e32 v120, v122, v120
	s_delay_alu instid0(VALU_DEP_1) | instskip(NEXT) | instid1(VALU_DEP_1)
	;; [unrolled: 3-line block ×5, first 2 shown]
	v_add_f32_e32 v45, v45, v237
	v_add_f32_e32 v45, v45, v132
	s_delay_alu instid0(VALU_DEP_1)
	v_add_f32_e32 v45, v45, v238
	scratch_load_b32 v238, off, off offset:424 ; 4-byte Folded Reload
	s_clause 0x2
	scratch_store_b32 off, v63, off
	scratch_store_b32 off, v64, off offset:4
	scratch_store_b32 off, v7, off offset:848
	v_add_f32_e32 v45, v45, v239
	s_delay_alu instid0(VALU_DEP_1) | instskip(NEXT) | instid1(VALU_DEP_1)
	v_add_f32_e32 v45, v45, v240
	v_add_f32_e32 v45, v45, v119
	s_delay_alu instid0(VALU_DEP_1) | instskip(NEXT) | instid1(VALU_DEP_1)
	v_add_f32_e32 v45, v45, v243
	;; [unrolled: 3-line block ×9, first 2 shown]
	v_add_f32_e32 v45, v45, v254
	s_waitcnt vmcnt(0)
	ds_bpermute_b32 v118, v238, v45
	s_waitcnt lgkmcnt(0)
	v_add_f32_e32 v45, v45, v118
	s_cbranch_vccnz .LBB28_28
; %bb.27:                               ;   in Loop: Header=BB28_21 Depth=1
	scratch_load_b32 v48, off, off offset:16 ; 4-byte Folded Reload
	s_waitcnt vmcnt(0)
	v_add_co_u32 v236, vcc_lo, v48, s73
	scratch_load_b32 v48, off, off offset:20 ; 4-byte Folded Reload
	s_waitcnt vmcnt(0)
	v_add_co_ci_u32_e32 v237, vcc_lo, s75, v48, vcc_lo
	global_load_u16 v118, v[236:237], off
	scratch_load_b32 v119, off, off offset:36 ; 4-byte Folded Reload
	s_waitcnt vmcnt(0)
	v_fma_mix_f32 v45, v119, v118, v45 op_sel_hi:[0,1,0]
.LBB28_28:                              ;   in Loop: Header=BB28_21 Depth=1
	s_clause 0x1
	scratch_load_b64 v[48:49], off, off offset:168
	scratch_load_b128 v[129:132], off, off offset:360
	v_mov_b32_e32 v254, v159
	v_dual_mov_b32 v242, v103 :: v_dual_mov_b32 v245, v134
	v_dual_mov_b32 v246, v139 :: v_dual_mov_b32 v249, v144
	;; [unrolled: 1-line block ×9, first 2 shown]
	v_mov_b32_e32 v64, v67
	v_mov_b32_e32 v100, v101
	;; [unrolled: 1-line block ×9, first 2 shown]
	s_and_not1_b32 vcc_lo, exec_lo, s86
	v_mov_b32_e32 v139, v140
	v_mov_b32_e32 v7, v14
	;; [unrolled: 1-line block ×13, first 2 shown]
	s_waitcnt vmcnt(1)
	v_dot4_i32_iu8 v118, v234, v48, 0 neg_lo:[1,1,0]
	v_dot4_i32_iu8 v121, v233, v49, 0 neg_lo:[1,1,0]
	scratch_load_b64 v[48:49], off, off offset:176 ; 8-byte Folded Reload
	s_waitcnt vmcnt(1)
	v_mul_f32_e32 v119, v130, v235
	v_mul_f32_e32 v120, v129, v231
	v_cvt_f32_i32_e32 v118, v118
	v_cvt_f32_i32_e32 v121, v121
	s_delay_alu instid0(VALU_DEP_4) | instskip(NEXT) | instid1(VALU_DEP_1)
	v_mul_f32_e32 v119, 0x3e000000, v119
	v_fma_f32 v118, v120, v118, v119
	s_delay_alu instid0(VALU_DEP_1) | instskip(NEXT) | instid1(VALU_DEP_4)
	v_add_f32_e32 v118, 0, v118
	v_fma_f32 v121, v120, v121, v119
	s_delay_alu instid0(VALU_DEP_1)
	v_add_f32_e32 v118, v118, v121
	s_waitcnt vmcnt(0)
	v_dot4_i32_iu8 v122, v232, v48, 0 neg_lo:[1,1,0]
	v_dot4_i32_iu8 v123, v230, v49, 0 neg_lo:[1,1,0]
	scratch_load_b64 v[48:49], off, off offset:184 ; 8-byte Folded Reload
	v_cvt_f32_i32_e32 v122, v122
	v_cvt_f32_i32_e32 v123, v123
	s_delay_alu instid0(VALU_DEP_2) | instskip(NEXT) | instid1(VALU_DEP_2)
	v_fma_f32 v122, v120, v122, v119
	v_fmac_f32_e32 v119, v120, v123
	v_mul_f32_e32 v125, v132, v229
	s_delay_alu instid0(VALU_DEP_3) | instskip(NEXT) | instid1(VALU_DEP_1)
	v_dual_mul_f32 v123, v131, v225 :: v_dual_add_f32 v118, v118, v122
	v_add_f32_e32 v118, v118, v119
	s_waitcnt vmcnt(0)
	v_dot4_i32_iu8 v120, v227, v48, 0 neg_lo:[1,1,0]
	v_dot4_i32_iu8 v126, v228, v49, 0 neg_lo:[1,1,0]
	scratch_load_b64 v[48:49], off, off offset:192 ; 8-byte Folded Reload
	v_cvt_f32_i32_e32 v120, v120
	v_cvt_f32_i32_e32 v126, v126
	s_waitcnt vmcnt(0)
	v_dot4_i32_iu8 v129, v226, v48, 0 neg_lo:[1,1,0]
	v_dot4_i32_iu8 v130, v224, v49, 0 neg_lo:[1,1,0]
	s_clause 0x1
	scratch_load_b64 v[48:49], off, off offset:200
	scratch_load_b128 v[224:227], off, off offset:376
	v_mul_f32_e32 v125, 0x3e000000, v125
	v_cvt_f32_i32_e32 v129, v129
	v_cvt_f32_i32_e32 v130, v130
	s_delay_alu instid0(VALU_DEP_3) | instskip(SKIP_1) | instid1(VALU_DEP_4)
	v_fma_f32 v120, v123, v120, v125
	v_fma_f32 v126, v123, v126, v125
	;; [unrolled: 1-line block ×3, first 2 shown]
	s_delay_alu instid0(VALU_DEP_3) | instskip(NEXT) | instid1(VALU_DEP_1)
	v_dual_fmac_f32 v125, v123, v130 :: v_dual_add_f32 v118, v118, v120
	v_add_f32_e32 v118, v118, v126
	s_delay_alu instid0(VALU_DEP_1) | instskip(NEXT) | instid1(VALU_DEP_1)
	v_add_f32_e32 v118, v118, v129
	v_add_f32_e32 v118, v118, v125
	s_waitcnt vmcnt(1)
	v_dot4_i32_iu8 v123, v221, v48, 0 neg_lo:[1,1,0]
	v_dot4_i32_iu8 v132, v222, v49, 0 neg_lo:[1,1,0]
	scratch_load_b64 v[48:49], off, off offset:208 ; 8-byte Folded Reload
	s_waitcnt vmcnt(1)
	v_mul_f32_e32 v131, v225, v223
	v_mul_f32_e32 v130, v224, v219
	v_cvt_f32_i32_e32 v123, v123
	v_cvt_f32_i32_e32 v132, v132
	s_delay_alu instid0(VALU_DEP_4) | instskip(NEXT) | instid1(VALU_DEP_1)
	v_mul_f32_e32 v131, 0x3e000000, v131
	v_fma_f32 v123, v130, v123, v131
	s_delay_alu instid0(VALU_DEP_3)
	v_fma_f32 v132, v130, v132, v131
	s_waitcnt vmcnt(0)
	v_dot4_i32_iu8 v133, v220, v48, 0 neg_lo:[1,1,0]
	v_dot4_i32_iu8 v218, v218, v49, 0 neg_lo:[1,1,0]
	scratch_load_b64 v[48:49], off, off offset:216 ; 8-byte Folded Reload
	v_cvt_f32_i32_e32 v133, v133
	v_cvt_f32_i32_e32 v218, v218
	s_delay_alu instid0(VALU_DEP_2) | instskip(NEXT) | instid1(VALU_DEP_2)
	v_fma_f32 v133, v130, v133, v131
	v_fmac_f32_e32 v131, v130, v218
	s_waitcnt vmcnt(0)
	v_dot4_i32_iu8 v130, v215, v48, 0 neg_lo:[1,1,0]
	v_dot4_i32_iu8 v216, v216, v49, 0 neg_lo:[1,1,0]
	scratch_load_b64 v[48:49], off, off offset:224 ; 8-byte Folded Reload
	v_mul_f32_e32 v215, v227, v217
	scratch_load_b128 v[217:220], off, off offset:392 ; 16-byte Folded Reload
	v_mul_f32_e32 v213, v226, v213
	v_cvt_f32_i32_e32 v130, v130
	v_cvt_f32_i32_e32 v216, v216
	s_waitcnt vmcnt(1)
	v_dot4_i32_iu8 v214, v214, v48, 0 neg_lo:[1,1,0]
	v_dot4_i32_iu8 v211, v211, v49, 0 neg_lo:[1,1,0]
	s_waitcnt vmcnt(0)
	v_mul_f32_e32 v46, v219, v46
	scratch_load_b64 v[48:49], off, off offset:232 ; 8-byte Folded Reload
	v_mul_f32_e32 v119, v220, v203
	v_cvt_f32_i32_e32 v214, v214
	v_cvt_f32_i32_e32 v211, v211
	s_delay_alu instid0(VALU_DEP_3) | instskip(SKIP_1) | instid1(VALU_DEP_1)
	v_mul_f32_e32 v119, 0x3e000000, v119
	v_add_f32_e32 v118, v118, v123
	v_dual_mul_f32 v215, 0x3e000000, v215 :: v_dual_add_f32 v118, v118, v132
	s_delay_alu instid0(VALU_DEP_1) | instskip(SKIP_2) | instid1(VALU_DEP_4)
	v_fma_f32 v130, v213, v130, v215
	v_fma_f32 v216, v213, v216, v215
	;; [unrolled: 1-line block ×3, first 2 shown]
	v_dual_fmac_f32 v215, v213, v211 :: v_dual_add_f32 v118, v118, v133
	s_delay_alu instid0(VALU_DEP_1) | instskip(NEXT) | instid1(VALU_DEP_1)
	v_add_f32_e32 v118, v118, v131
	v_dual_mul_f32 v207, v217, v207 :: v_dual_add_f32 v118, v118, v130
	scratch_load_b128 v[129:132], off, off offset:408 ; 16-byte Folded Reload
	v_add_f32_e32 v118, v118, v216
	s_waitcnt vmcnt(1)
	v_dot4_i32_iu8 v209, v209, v48, 0 neg_lo:[1,1,0]
	v_dot4_i32_iu8 v210, v210, v49, 0 neg_lo:[1,1,0]
	scratch_load_b64 v[48:49], off, off offset:240 ; 8-byte Folded Reload
	v_cvt_f32_i32_e32 v209, v209
	v_cvt_f32_i32_e32 v210, v210
	s_waitcnt vmcnt(1)
	v_mul_f32_e32 v120, v130, v205
	v_mul_f32_e32 v116, v129, v116
	v_dual_mul_f32 v44, v132, v44 :: v_dual_mul_f32 v41, v131, v41
	s_delay_alu instid0(VALU_DEP_1)
	v_mul_f32_e32 v44, 0x3e000000, v44
	s_waitcnt vmcnt(0)
	v_dot4_i32_iu8 v208, v208, v48, 0 neg_lo:[1,1,0]
	v_dot4_i32_iu8 v206, v206, v49, 0 neg_lo:[1,1,0]
	scratch_load_b64 v[48:49], off, off offset:248 ; 8-byte Folded Reload
	v_cvt_f32_i32_e32 v208, v208
	v_cvt_f32_i32_e32 v206, v206
	s_waitcnt vmcnt(0)
	v_dot4_i32_iu8 v117, v117, v48, 0 neg_lo:[1,1,0]
	v_dot4_i32_iu8 v47, v47, v49, 0 neg_lo:[1,1,0]
	scratch_load_b64 v[48:49], off, off offset:256 ; 8-byte Folded Reload
	v_cvt_f32_i32_e32 v117, v117
	v_cvt_f32_i32_e32 v47, v47
	s_delay_alu instid0(VALU_DEP_2) | instskip(NEXT) | instid1(VALU_DEP_2)
	v_fma_f32 v117, v46, v117, v119
	v_fma_f32 v47, v46, v47, v119
	v_add_f32_e32 v118, v118, v214
	s_delay_alu instid0(VALU_DEP_1)
	v_add_f32_e32 v118, v118, v215
	s_waitcnt vmcnt(0)
	v_dot4_i32_iu8 v115, v115, v48, 0 neg_lo:[1,1,0]
	v_dot4_i32_iu8 v114, v114, v49, 0 neg_lo:[1,1,0]
	scratch_load_b64 v[48:49], off, off offset:264 ; 8-byte Folded Reload
	v_cvt_f32_i32_e32 v115, v115
	v_cvt_f32_i32_e32 v114, v114
	s_delay_alu instid0(VALU_DEP_2) | instskip(SKIP_1) | instid1(VALU_DEP_3)
	v_fma_f32 v115, v46, v115, v119
	v_mul_f32_e32 v211, v218, v212
	v_fmac_f32_e32 v119, v46, v114
	s_delay_alu instid0(VALU_DEP_2) | instskip(NEXT) | instid1(VALU_DEP_1)
	v_mul_f32_e32 v211, 0x3e000000, v211
	v_fma_f32 v209, v207, v209, v211
	v_fma_f32 v210, v207, v210, v211
	;; [unrolled: 1-line block ×3, first 2 shown]
	s_delay_alu instid0(VALU_DEP_3) | instskip(NEXT) | instid1(VALU_DEP_1)
	v_dual_fmac_f32 v211, v207, v206 :: v_dual_add_f32 v118, v118, v209
	v_add_f32_e32 v118, v118, v210
	s_delay_alu instid0(VALU_DEP_1) | instskip(NEXT) | instid1(VALU_DEP_1)
	v_add_f32_e32 v118, v118, v208
	v_add_f32_e32 v118, v118, v211
	s_delay_alu instid0(VALU_DEP_1) | instskip(NEXT) | instid1(VALU_DEP_1)
	v_add_f32_e32 v117, v118, v117
	;; [unrolled: 3-line block ×3, first 2 shown]
	v_add_f32_e32 v46, v46, v119
	s_waitcnt vmcnt(0)
	v_dot4_i32_iu8 v118, v204, v48, 0 neg_lo:[1,1,0]
	scratch_load_b64 v[47:48], off, off offset:272 ; 8-byte Folded Reload
	v_dot4_i32_iu8 v42, v42, v49, 0 neg_lo:[1,1,0]
	v_cvt_f32_i32_e32 v117, v118
	v_mul_f32_e32 v118, 0x3e000000, v120
	s_delay_alu instid0(VALU_DEP_3) | instskip(NEXT) | instid1(VALU_DEP_1)
	v_cvt_f32_i32_e32 v42, v42
	v_fma_f32 v42, v116, v42, v118
	s_waitcnt vmcnt(0)
	v_dot4_i32_iu8 v35, v35, v47, 0 neg_lo:[1,1,0]
	v_fma_f32 v47, v116, v117, v118
	v_dot4_i32_iu8 v32, v32, v48, 0 neg_lo:[1,1,0]
	scratch_load_b64 v[48:49], off, off offset:280 ; 8-byte Folded Reload
	v_cvt_f32_i32_e32 v35, v35
	v_add_f32_e32 v46, v46, v47
	v_cvt_f32_i32_e32 v32, v32
	s_delay_alu instid0(VALU_DEP_3) | instskip(NEXT) | instid1(VALU_DEP_3)
	v_fma_f32 v35, v116, v35, v118
	v_add_f32_e32 v42, v46, v42
	scratch_load_b64 v[46:47], off, off offset:288 ; 8-byte Folded Reload
	v_fmac_f32_e32 v118, v116, v32
	s_clause 0x3
	scratch_store_b32 off, v62, off offset:852
	scratch_store_b32 off, v53, off offset:856
	;; [unrolled: 1-line block ×4, first 2 shown]
	v_add_f32_e32 v32, v42, v35
	s_delay_alu instid0(VALU_DEP_1) | instskip(SKIP_3) | instid1(VALU_DEP_2)
	v_add_f32_e32 v32, v32, v118
	s_waitcnt vmcnt(1)
	v_dot4_i32_iu8 v43, v43, v48, 0 neg_lo:[1,1,0]
	v_dot4_i32_iu8 v40, v40, v49, 0 neg_lo:[1,1,0]
	v_cvt_f32_i32_e32 v43, v43
	s_delay_alu instid0(VALU_DEP_2) | instskip(SKIP_2) | instid1(VALU_DEP_3)
	v_cvt_f32_i32_e32 v35, v40
	s_waitcnt vmcnt(0)
	v_dot4_i32_iu8 v34, v34, v46, 0 neg_lo:[1,1,0]
	v_fma_f32 v40, v41, v43, v44
	s_delay_alu instid0(VALU_DEP_3) | instskip(SKIP_1) | instid1(VALU_DEP_4)
	v_fma_f32 v35, v41, v35, v44
	v_dot4_i32_iu8 v33, v33, v47, 0 neg_lo:[1,1,0]
	v_cvt_f32_i32_e32 v34, v34
	s_delay_alu instid0(VALU_DEP_4) | instskip(NEXT) | instid1(VALU_DEP_3)
	v_add_f32_e32 v32, v32, v40
	v_cvt_f32_i32_e32 v33, v33
	s_delay_alu instid0(VALU_DEP_3) | instskip(NEXT) | instid1(VALU_DEP_3)
	v_fma_f32 v34, v41, v34, v44
	v_add_f32_e32 v32, v32, v35
	s_delay_alu instid0(VALU_DEP_3) | instskip(NEXT) | instid1(VALU_DEP_2)
	v_fmac_f32_e32 v44, v41, v33
	v_add_f32_e32 v32, v32, v34
	s_delay_alu instid0(VALU_DEP_1)
	v_add_f32_e32 v32, v32, v44
	ds_bpermute_b32 v33, v238, v32
	s_waitcnt lgkmcnt(0)
	v_add_f32_e32 v32, v32, v33
	s_cbranch_vccnz .LBB28_30
; %bb.29:                               ;   in Loop: Header=BB28_21 Depth=1
	v_add_co_u32 v33, vcc_lo, v62, s73
	v_add_co_ci_u32_e32 v34, vcc_lo, s75, v53, vcc_lo
	global_load_u16 v33, v[33:34], off
	scratch_load_b32 v34, off, off offset:36 ; 4-byte Folded Reload
	s_waitcnt vmcnt(0)
	v_fma_mix_f32 v32, v34, v33, v32 op_sel_hi:[0,1,0]
.LBB28_30:                              ;   in Loop: Header=BB28_21 Depth=1
	s_clause 0xa
	scratch_load_b32 v123, off, off offset:832
	scratch_load_b32 v129, off, off offset:836
	;; [unrolled: 1-line block ×11, first 2 shown]
	v_dual_mov_b32 v157, v158 :: v_dual_add_f32 v34, 0x40051340, v38
	v_add_f32_e32 v35, 0x40051340, v45
	v_dual_mov_b32 v163, v164 :: v_dual_mov_b32 v238, v9
	v_mov_b32_e32 v67, v19
	v_dual_mov_b32 v127, v128 :: v_dual_mov_b32 v142, v143
	s_delay_alu instid0(VALU_DEP_4)
	v_max3_f32 v34, v37, v34, v35
	v_add_f32_e32 v35, 0x40051340, v39
	v_cndmask_b32_e64 v39, v32, v39, s1
	v_dual_mov_b32 v137, v138 :: v_dual_mov_b32 v148, v149
	v_dual_mov_b32 v145, v146 :: v_dual_mov_b32 v154, v155
	;; [unrolled: 1-line block ×23, first 2 shown]
	s_add_i32 s56, s56, s66
	v_mov_b32_e32 v9, v15
	s_cmp_ge_i32 s56, s79
	v_mov_b32_e32 v15, v54
	s_waitcnt vmcnt(5)
	v_cndmask_b32_e64 v33, v5, v38, s1
	v_add_f32_e32 v38, 0x40051340, v32
	s_delay_alu instid0(VALU_DEP_2) | instskip(SKIP_4) | instid1(VALU_DEP_1)
	v_cndmask_b32_e64 v32, v45, v33, s1
	s_waitcnt vmcnt(4)
	ds_bpermute_b32 v33, v48, v34
	s_waitcnt lgkmcnt(0)
	v_max_f32_e32 v33, v33, v33
	v_max_f32_e32 v33, v34, v33
	s_waitcnt vmcnt(3)
	ds_bpermute_b32 v34, v49, v33
	s_waitcnt lgkmcnt(0)
	v_max_f32_e32 v34, v34, v34
	s_delay_alu instid0(VALU_DEP_1)
	v_max_f32_e32 v33, v33, v34
	s_waitcnt vmcnt(2)
	ds_bpermute_b32 v34, v50, v33
	s_waitcnt lgkmcnt(0)
	v_max_f32_e32 v34, v34, v34
	v_max3_f32 v38, v36, v35, v38
	s_delay_alu instid0(VALU_DEP_2) | instskip(SKIP_4) | instid1(VALU_DEP_1)
	v_max_f32_e32 v33, v33, v34
	s_waitcnt vmcnt(1)
	ds_bpermute_b32 v34, v115, v33
	s_waitcnt lgkmcnt(0)
	v_max_f32_e32 v34, v34, v34
	v_max_f32_e32 v114, v33, v34
	s_delay_alu instid0(VALU_DEP_1) | instskip(NEXT) | instid1(VALU_DEP_1)
	v_sub_f32_e32 v33, v37, v114
	v_mul_f32_e32 v34, 0x3fb8aa3b, v33
	v_cmp_ngt_f32_e32 vcc_lo, 0xc2ce8ed0, v33
	s_delay_alu instid0(VALU_DEP_2) | instskip(SKIP_1) | instid1(VALU_DEP_2)
	v_fma_f32 v35, 0x3fb8aa3b, v33, -v34
	v_rndne_f32_e32 v37, v34
	v_fmac_f32_e32 v35, 0x32a5705f, v33
	s_delay_alu instid0(VALU_DEP_2) | instskip(SKIP_1) | instid1(VALU_DEP_2)
	v_sub_f32_e32 v34, v34, v37
	v_sub_f32_e32 v32, v32, v114
	v_add_f32_e32 v34, v34, v35
	v_cvt_i32_f32_e32 v35, v37
	s_delay_alu instid0(VALU_DEP_2) | instskip(SKIP_2) | instid1(VALU_DEP_1)
	v_exp_f32_e32 v34, v34
	s_waitcnt_depctr 0xfff
	v_ldexp_f32 v34, v34, v35
	v_cndmask_b32_e32 v34, 0, v34, vcc_lo
	v_cmp_nlt_f32_e32 vcc_lo, 0x42b17218, v33
	s_delay_alu instid0(VALU_DEP_2) | instskip(SKIP_2) | instid1(VALU_DEP_2)
	v_cndmask_b32_e32 v33, 0x7f800000, v34, vcc_lo
	v_mul_f32_e32 v34, 0x3fb8aa3b, v32
	v_cmp_ngt_f32_e32 vcc_lo, 0xc2ce8ed0, v32
	v_fma_f32 v35, 0x3fb8aa3b, v32, -v34
	v_rndne_f32_e32 v37, v34
	s_delay_alu instid0(VALU_DEP_1) | instskip(NEXT) | instid1(VALU_DEP_1)
	v_dual_fmac_f32 v35, 0x32a5705f, v32 :: v_dual_sub_f32 v34, v34, v37
	v_add_f32_e32 v34, v34, v35
	v_cvt_i32_f32_e32 v35, v37
	v_cvt_f16_f32_e32 v37, v33
	s_delay_alu instid0(VALU_DEP_3) | instskip(SKIP_2) | instid1(VALU_DEP_1)
	v_exp_f32_e32 v34, v34
	s_waitcnt_depctr 0xfff
	v_ldexp_f32 v34, v34, v35
	v_cndmask_b32_e32 v34, 0, v34, vcc_lo
	v_cmp_nlt_f32_e32 vcc_lo, 0x42b17218, v32
	s_delay_alu instid0(VALU_DEP_2) | instskip(NEXT) | instid1(VALU_DEP_1)
	v_cndmask_b32_e32 v5, 0x7f800000, v34, vcc_lo
	v_cvt_f16_f32_e32 v32, v5
	scratch_store_b32 off, v5, off offset:840 ; 4-byte Folded Spill
	v_fma_f32 v112, v112, v33, v5
	v_mov_b32_e32 v5, v55
	s_waitcnt vmcnt(0)
	ds_store_b16 v116, v32
	ds_load_b128 v[32:35], v124
	ds_load_b128 v[40:43], v124 offset:16
	s_waitcnt lgkmcnt(1)
	v_pk_mul_f16 v47, v37, v32 op_sel_hi:[0,1]
	ds_bpermute_b32 v32, v48, v38
	scratch_load_b32 v48, off, off offset:1008 ; 4-byte Folded Reload
	v_pk_mul_f16 v46, v37, v33 op_sel_hi:[0,1]
	v_pk_mul_f16 v45, v37, v34 op_sel_hi:[0,1]
	;; [unrolled: 1-line block ×3, first 2 shown]
	s_waitcnt lgkmcnt(0)
	v_max_f32_e32 v32, v32, v32
	s_delay_alu instid0(VALU_DEP_1)
	v_max_f32_e32 v32, v38, v32
	ds_bpermute_b32 v33, v49, v32
	v_dual_mov_b32 v49, v0 :: v_dual_mov_b32 v0, v1
	v_mov_b32_e32 v1, v11
	v_mov_b32_e32 v11, v12
	s_waitcnt lgkmcnt(0)
	v_max_f32_e32 v33, v33, v33
	s_delay_alu instid0(VALU_DEP_1)
	v_max_f32_e32 v32, v32, v33
	ds_bpermute_b32 v33, v50, v32
	v_mov_b32_e32 v50, v2
	v_dual_mov_b32 v2, v3 :: v_dual_mov_b32 v3, v13
	s_waitcnt lgkmcnt(0)
	v_max_f32_e32 v33, v33, v33
	s_delay_alu instid0(VALU_DEP_1) | instskip(SKIP_3) | instid1(VALU_DEP_1)
	v_max_f32_e32 v32, v32, v33
	ds_bpermute_b32 v33, v115, v32
	s_waitcnt lgkmcnt(0)
	v_max_f32_e32 v33, v33, v33
	v_max_f32_e32 v115, v32, v33
	s_delay_alu instid0(VALU_DEP_1) | instskip(NEXT) | instid1(VALU_DEP_1)
	v_sub_f32_e32 v32, v36, v115
	v_mul_f32_e32 v33, 0x3fb8aa3b, v32
	v_cmp_ngt_f32_e32 vcc_lo, 0xc2ce8ed0, v32
	s_delay_alu instid0(VALU_DEP_2) | instskip(SKIP_1) | instid1(VALU_DEP_1)
	v_fma_f32 v34, 0x3fb8aa3b, v32, -v33
	v_rndne_f32_e32 v35, v33
	v_dual_fmac_f32 v34, 0x32a5705f, v32 :: v_dual_sub_f32 v33, v33, v35
	s_delay_alu instid0(VALU_DEP_1) | instskip(SKIP_1) | instid1(VALU_DEP_2)
	v_add_f32_e32 v33, v33, v34
	v_cvt_i32_f32_e32 v34, v35
	v_exp_f32_e32 v33, v33
	s_waitcnt_depctr 0xfff
	v_ldexp_f32 v33, v33, v34
	s_delay_alu instid0(VALU_DEP_1) | instskip(SKIP_1) | instid1(VALU_DEP_2)
	v_cndmask_b32_e32 v33, 0, v33, vcc_lo
	v_cmp_nlt_f32_e32 vcc_lo, 0x42b17218, v32
	v_dual_cndmask_b32 v32, 0x7f800000, v33 :: v_dual_sub_f32 v33, v39, v115
	s_delay_alu instid0(VALU_DEP_1) | instskip(NEXT) | instid1(VALU_DEP_2)
	v_cvt_f16_f32_e32 v118, v32
	v_mul_f32_e32 v34, 0x3fb8aa3b, v33
	v_cmp_ngt_f32_e32 vcc_lo, 0xc2ce8ed0, v33
	s_delay_alu instid0(VALU_DEP_3) | instskip(NEXT) | instid1(VALU_DEP_3)
	v_pk_mul_f16 v42, v118, v42 op_sel_hi:[0,1]
	v_fma_f32 v35, 0x3fb8aa3b, v33, -v34
	v_rndne_f32_e32 v36, v34
	v_pk_mul_f16 v43, v118, v43 op_sel_hi:[0,1]
	s_delay_alu instid0(VALU_DEP_2) | instskip(NEXT) | instid1(VALU_DEP_1)
	v_dual_fmac_f32 v35, 0x32a5705f, v33 :: v_dual_sub_f32 v34, v34, v36
	v_add_f32_e32 v34, v34, v35
	v_cvt_i32_f32_e32 v35, v36
	s_delay_alu instid0(VALU_DEP_2) | instskip(SKIP_2) | instid1(VALU_DEP_1)
	v_exp_f32_e32 v34, v34
	s_waitcnt_depctr 0xfff
	v_ldexp_f32 v34, v34, v35
	v_cndmask_b32_e32 v34, 0, v34, vcc_lo
	v_cmp_nlt_f32_e32 vcc_lo, 0x42b17218, v33
	s_delay_alu instid0(VALU_DEP_2) | instskip(NEXT) | instid1(VALU_DEP_1)
	v_cndmask_b32_e32 v33, 0x7f800000, v34, vcc_lo
	v_fma_f32 v113, v113, v32, v33
	v_cvt_f16_f32_e32 v33, v33
	ds_store_b16 v116, v33 offset:256
	v_add_co_u32 v116, vcc_lo, v49, s4
	v_add_co_ci_u32_e32 v117, vcc_lo, 0, v50, vcc_lo
	v_add_co_u32 v203, vcc_lo, v2, s4
	v_add_co_ci_u32_e32 v204, vcc_lo, 0, v3, vcc_lo
	s_waitcnt vmcnt(0)
	ds_load_b128 v[32:35], v48
	ds_load_b128 v[36:39], v48 offset:256
	global_load_b32 v119, v[203:204], off
	global_load_b32 v116, v[116:117], off
	s_waitcnt vmcnt(1)
	v_ashrrev_i32_e32 v119, v202, v119
	s_delay_alu instid0(VALU_DEP_1) | instskip(SKIP_3) | instid1(VALU_DEP_4)
	v_and_b32_e32 v120, 15, v119
	v_lshrrev_b32_e32 v121, 8, v119
	v_lshrrev_b32_e32 v122, 16, v119
	v_bfe_u32 v119, v119, 24, 4
	v_cvt_f16_u16_e32 v117, v120
	s_delay_alu instid0(VALU_DEP_4) | instskip(NEXT) | instid1(VALU_DEP_4)
	v_and_b32_e32 v121, 15, v121
	v_and_b32_e32 v122, 15, v122
	s_delay_alu instid0(VALU_DEP_4) | instskip(NEXT) | instid1(VALU_DEP_3)
	v_cvt_f16_u16_e32 v119, v119
	v_cvt_f16_u16_e32 v120, v121
	s_delay_alu instid0(VALU_DEP_1) | instskip(NEXT) | instid1(VALU_DEP_4)
	v_pack_b32_f16 v117, v117, v120
	v_cvt_f16_u16_e32 v120, v122
	s_waitcnt vmcnt(0)
	s_delay_alu instid0(VALU_DEP_2) | instskip(NEXT) | instid1(VALU_DEP_2)
	v_pk_fma_f16 v117, v116, v117, v116 op_sel:[0,0,1] op_sel_hi:[0,1,1]
	v_pack_b32_f16 v119, v120, v119
	s_delay_alu instid0(VALU_DEP_1) | instskip(SKIP_1) | instid1(VALU_DEP_3)
	v_pk_fma_f16 v116, v116, v119, v116 op_sel:[0,0,1] op_sel_hi:[0,1,1]
	s_waitcnt lgkmcnt(1)
	v_pk_fma_f16 v119, v117, v32, v47 op_sel_hi:[1,0,1]
	s_waitcnt lgkmcnt(0)
	v_pk_mul_f16 v47, v117, v36 op_sel_hi:[1,0]
	v_pk_fma_f16 v120, v116, v32, v46 op_sel_hi:[1,0,1]
	v_pk_mul_f16 v46, v116, v36 op_sel_hi:[1,0]
	s_delay_alu instid0(VALU_DEP_3) | instskip(NEXT) | instid1(VALU_DEP_2)
	v_pk_fma_f16 v40, v118, v40, v47 op_sel_hi:[0,1,1]
	v_pk_fma_f16 v41, v118, v41, v46 op_sel_hi:[0,1,1]
	ds_store_b128 v124, v[40:43] offset:16
	v_add_co_u32 v40, vcc_lo, v0, s4
	v_add_co_ci_u32_e32 v41, vcc_lo, 0, v1, vcc_lo
	v_add_co_u32 v46, vcc_lo, v5, s4
	v_add_co_ci_u32_e32 v47, vcc_lo, 0, v6, vcc_lo
	global_load_b32 v40, v[40:41], off
	global_load_b32 v43, v[46:47], off
	s_waitcnt vmcnt(0)
	v_ashrrev_i32_e32 v43, v202, v43
	s_delay_alu instid0(VALU_DEP_1) | instskip(SKIP_3) | instid1(VALU_DEP_4)
	v_lshrrev_b32_e32 v47, 8, v43
	v_and_b32_e32 v46, 15, v43
	v_lshrrev_b32_e32 v116, 16, v43
	v_bfe_u32 v43, v43, 24, 4
	v_and_b32_e32 v47, 15, v47
	s_delay_alu instid0(VALU_DEP_4) | instskip(NEXT) | instid1(VALU_DEP_4)
	v_cvt_f16_u16_e32 v41, v46
	v_and_b32_e32 v116, 15, v116
	s_delay_alu instid0(VALU_DEP_4) | instskip(NEXT) | instid1(VALU_DEP_4)
	v_cvt_f16_u16_e32 v43, v43
	v_cvt_f16_u16_e32 v46, v47
	s_delay_alu instid0(VALU_DEP_1) | instskip(NEXT) | instid1(VALU_DEP_4)
	v_pack_b32_f16 v41, v41, v46
	v_cvt_f16_u16_e32 v46, v116
	s_delay_alu instid0(VALU_DEP_2) | instskip(NEXT) | instid1(VALU_DEP_2)
	v_pk_fma_f16 v41, v40, v41, v40 op_sel:[0,0,1] op_sel_hi:[0,1,1]
	v_pack_b32_f16 v43, v46, v43
	s_delay_alu instid0(VALU_DEP_2) | instskip(NEXT) | instid1(VALU_DEP_2)
	v_pk_fma_f16 v205, v41, v36, v42 op_sel_hi:[1,0,1]
	v_pk_fma_f16 v40, v40, v43, v40 op_sel:[0,0,1] op_sel_hi:[0,1,1]
	v_pk_fma_f16 v43, v41, v32, v45 op_sel_hi:[1,0,1]
	ds_load_b64 v[45:46], v124 offset:16
	ds_load_b32 v41, v124 offset:28
	s_clause 0x1
	scratch_load_b32 v12, off, off offset:828
	scratch_load_b32 v54, off, off offset:844
	v_pk_fma_f16 v44, v40, v32, v44 op_sel_hi:[1,0,1]
	s_clause 0x2
	scratch_load_b32 v14, off, off offset:812
	scratch_load_b32 v13, off, off offset:808
	;; [unrolled: 1-line block ×3, first 2 shown]
	s_clause 0xc
	scratch_store_b32 off, v165, off offset:968
	scratch_store_b32 off, v52, off offset:972
	;; [unrolled: 1-line block ×13, first 2 shown]
	s_waitcnt lgkmcnt(0)
	v_pk_fma_f16 v206, v40, v36, v41 op_sel_hi:[1,0,1]
	v_add_co_u32 v40, vcc_lo, v7, s4
	v_add_co_ci_u32_e32 v41, vcc_lo, 0, v9, vcc_lo
	v_add_co_u32 v116, vcc_lo, v10, s4
	v_add_co_ci_u32_e32 v117, vcc_lo, 0, v11, vcc_lo
	global_load_b32 v40, v[40:41], off
	s_clause 0x1
	scratch_store_b32 off, v183, off offset:904
	scratch_store_b32 off, v180, off offset:908
	global_load_b32 v42, v[116:117], off
	s_clause 0xe
	scratch_store_b32 off, v181, off offset:900
	scratch_store_b32 off, v179, off offset:912
	;; [unrolled: 1-line block ×15, first 2 shown]
	s_waitcnt vmcnt(0)
	v_ashrrev_i32_e32 v42, v202, v42
	s_delay_alu instid0(VALU_DEP_1) | instskip(SKIP_3) | instid1(VALU_DEP_4)
	v_lshrrev_b32_e32 v116, 8, v42
	v_and_b32_e32 v47, 15, v42
	v_lshrrev_b32_e32 v117, 16, v42
	v_bfe_u32 v42, v42, 24, 4
	v_and_b32_e32 v116, 15, v116
	s_delay_alu instid0(VALU_DEP_4) | instskip(NEXT) | instid1(VALU_DEP_4)
	v_cvt_f16_u16_e32 v41, v47
	v_and_b32_e32 v117, 15, v117
	s_delay_alu instid0(VALU_DEP_4) | instskip(NEXT) | instid1(VALU_DEP_4)
	v_cvt_f16_u16_e32 v42, v42
	v_cvt_f16_u16_e32 v47, v116
	s_delay_alu instid0(VALU_DEP_1) | instskip(NEXT) | instid1(VALU_DEP_1)
	v_pack_b32_f16 v41, v41, v47
	v_pk_fma_f16 v47, v40, v41, v40 op_sel:[0,0,1] op_sel_hi:[0,1,1]
	v_cvt_f16_u16_e32 v41, v117
	s_delay_alu instid0(VALU_DEP_2) | instskip(NEXT) | instid1(VALU_DEP_2)
	v_pk_fma_f16 v203, v47, v36, v45 op_sel:[0,1,0]
	v_pack_b32_f16 v41, v41, v42
	v_add_co_u32 v45, vcc_lo, v238, s4
	s_delay_alu instid0(VALU_DEP_2) | instskip(SKIP_1) | instid1(VALU_DEP_2)
	v_pk_fma_f16 v40, v40, v41, v40 op_sel:[0,0,1] op_sel_hi:[0,1,1]
	v_pk_fma_f16 v41, v47, v32, v119 op_sel:[0,1,0]
	v_pk_fma_f16 v204, v40, v36, v46 op_sel:[0,1,0]
	v_add_co_ci_u32_e32 v46, vcc_lo, 0, v12, vcc_lo
	v_add_co_u32 v116, vcc_lo, v14, s4
	v_add_co_ci_u32_e32 v117, vcc_lo, 0, v15, vcc_lo
	v_pk_fma_f16 v42, v40, v32, v120 op_sel:[0,1,0]
	global_load_b32 v45, v[45:46], off
	ds_store_b128 v124, v[203:206] offset:16
	global_load_b32 v40, v[116:117], off
	ds_store_b128 v124, v[41:44]
	s_waitcnt vmcnt(0)
	v_ashrrev_i32_e32 v40, v202, v40
	s_delay_alu instid0(VALU_DEP_1) | instskip(SKIP_3) | instid1(VALU_DEP_4)
	v_lshrrev_b32_e32 v116, 8, v40
	v_and_b32_e32 v47, 15, v40
	v_lshrrev_b32_e32 v117, 16, v40
	v_bfe_u32 v40, v40, 24, 4
	v_and_b32_e32 v116, 15, v116
	s_delay_alu instid0(VALU_DEP_4) | instskip(NEXT) | instid1(VALU_DEP_4)
	v_cvt_f16_u16_e32 v46, v47
	v_and_b32_e32 v117, 15, v117
	s_delay_alu instid0(VALU_DEP_4) | instskip(NEXT) | instid1(VALU_DEP_4)
	v_cvt_f16_u16_e32 v40, v40
	v_cvt_f16_u16_e32 v47, v116
	s_delay_alu instid0(VALU_DEP_1) | instskip(NEXT) | instid1(VALU_DEP_4)
	v_pack_b32_f16 v46, v46, v47
	v_cvt_f16_u16_e32 v47, v117
	s_delay_alu instid0(VALU_DEP_2) | instskip(NEXT) | instid1(VALU_DEP_2)
	v_pk_fma_f16 v46, v45, v46, v45 op_sel:[0,0,1] op_sel_hi:[0,1,1]
	v_pack_b32_f16 v40, v47, v40
	s_delay_alu instid0(VALU_DEP_2) | instskip(NEXT) | instid1(VALU_DEP_2)
	v_pk_fma_f16 v43, v46, v32, v43 op_sel:[0,1,0]
	v_pk_fma_f16 v40, v45, v40, v45 op_sel:[0,0,1] op_sel_hi:[0,1,1]
	v_add_co_u32 v45, vcc_lo, v13, s4
	v_pk_fma_f16 v205, v46, v36, v205 op_sel:[0,1,0]
	v_add_co_ci_u32_e32 v46, vcc_lo, 0, v56, vcc_lo
	v_add_co_u32 v116, vcc_lo, v53, s4
	v_add_co_ci_u32_e32 v117, vcc_lo, 0, v54, vcc_lo
	v_pk_fma_f16 v44, v40, v32, v44 op_sel:[0,1,0]
	global_load_b32 v45, v[45:46], off
	v_pk_fma_f16 v206, v40, v36, v206 op_sel:[0,1,0]
	global_load_b32 v32, v[116:117], off
	s_waitcnt vmcnt(0)
	v_ashrrev_i32_e32 v32, v202, v32
	s_delay_alu instid0(VALU_DEP_1) | instskip(SKIP_3) | instid1(VALU_DEP_4)
	v_lshrrev_b32_e32 v40, 8, v32
	v_and_b32_e32 v36, 15, v32
	v_lshrrev_b32_e32 v47, 16, v32
	v_bfe_u32 v32, v32, 24, 4
	v_and_b32_e32 v40, 15, v40
	s_delay_alu instid0(VALU_DEP_4) | instskip(NEXT) | instid1(VALU_DEP_4)
	v_cvt_f16_u16_e32 v36, v36
	v_and_b32_e32 v47, 15, v47
	s_delay_alu instid0(VALU_DEP_4) | instskip(NEXT) | instid1(VALU_DEP_4)
	v_cvt_f16_u16_e32 v32, v32
	v_cvt_f16_u16_e32 v40, v40
	s_delay_alu instid0(VALU_DEP_1) | instskip(NEXT) | instid1(VALU_DEP_4)
	v_pack_b32_f16 v36, v36, v40
	v_cvt_f16_u16_e32 v40, v47
	s_delay_alu instid0(VALU_DEP_2) | instskip(NEXT) | instid1(VALU_DEP_2)
	v_pk_fma_f16 v36, v45, v36, v45 op_sel:[0,0,1] op_sel_hi:[0,1,1]
	v_pack_b32_f16 v32, v40, v32
	s_delay_alu instid0(VALU_DEP_2) | instskip(NEXT) | instid1(VALU_DEP_2)
	v_pk_fma_f16 v41, v36, v33, v41 op_sel_hi:[1,0,1]
	v_pk_fma_f16 v32, v45, v32, v45 op_sel:[0,0,1] op_sel_hi:[0,1,1]
	v_add_co_u32 v45, vcc_lo, v16, s4
	v_add_co_ci_u32_e32 v46, vcc_lo, 0, v66, vcc_lo
	v_add_co_u32 v116, vcc_lo, v97, s4
	v_add_co_ci_u32_e32 v117, vcc_lo, 0, v8, vcc_lo
	v_pk_fma_f16 v42, v32, v33, v42 op_sel_hi:[1,0,1]
	v_pk_fma_f16 v204, v32, v37, v204 op_sel_hi:[1,0,1]
	global_load_b32 v45, v[45:46], off
	global_load_b32 v32, v[116:117], off
	v_pk_fma_f16 v203, v36, v37, v203 op_sel_hi:[1,0,1]
	ds_store_b128 v124, v[41:44]
	ds_store_b128 v124, v[203:206] offset:16
	s_waitcnt vmcnt(0)
	v_ashrrev_i32_e32 v32, v202, v32
	s_delay_alu instid0(VALU_DEP_1) | instskip(SKIP_3) | instid1(VALU_DEP_4)
	v_lshrrev_b32_e32 v40, 8, v32
	v_and_b32_e32 v36, 15, v32
	v_lshrrev_b32_e32 v47, 16, v32
	v_bfe_u32 v32, v32, 24, 4
	v_and_b32_e32 v40, 15, v40
	s_delay_alu instid0(VALU_DEP_4) | instskip(NEXT) | instid1(VALU_DEP_4)
	v_cvt_f16_u16_e32 v36, v36
	v_and_b32_e32 v47, 15, v47
	s_delay_alu instid0(VALU_DEP_4) | instskip(NEXT) | instid1(VALU_DEP_4)
	v_cvt_f16_u16_e32 v32, v32
	v_cvt_f16_u16_e32 v40, v40
	s_delay_alu instid0(VALU_DEP_1) | instskip(NEXT) | instid1(VALU_DEP_4)
	v_pack_b32_f16 v36, v36, v40
	v_cvt_f16_u16_e32 v40, v47
	s_delay_alu instid0(VALU_DEP_2) | instskip(NEXT) | instid1(VALU_DEP_2)
	v_pk_fma_f16 v36, v45, v36, v45 op_sel:[0,0,1] op_sel_hi:[0,1,1]
	v_pack_b32_f16 v32, v40, v32
	s_delay_alu instid0(VALU_DEP_2) | instskip(NEXT) | instid1(VALU_DEP_2)
	v_pk_fma_f16 v43, v36, v33, v43 op_sel_hi:[1,0,1]
	v_pk_fma_f16 v32, v45, v32, v45 op_sel:[0,0,1] op_sel_hi:[0,1,1]
	v_add_co_u32 v45, vcc_lo, v91, s4
	v_add_co_ci_u32_e32 v46, vcc_lo, 0, v94, vcc_lo
	v_add_co_u32 v116, vcc_lo, v190, s4
	v_add_co_ci_u32_e32 v117, vcc_lo, 0, v191, vcc_lo
	v_pk_fma_f16 v44, v32, v33, v44 op_sel_hi:[1,0,1]
	v_pk_fma_f16 v206, v32, v37, v206 op_sel_hi:[1,0,1]
	global_load_b32 v45, v[45:46], off
	global_load_b32 v32, v[116:117], off
	v_pk_fma_f16 v205, v36, v37, v205 op_sel_hi:[1,0,1]
	s_waitcnt vmcnt(0)
	v_ashrrev_i32_e32 v32, v202, v32
	s_delay_alu instid0(VALU_DEP_1) | instskip(SKIP_3) | instid1(VALU_DEP_4)
	v_lshrrev_b32_e32 v40, 8, v32
	v_and_b32_e32 v36, 15, v32
	v_lshrrev_b32_e32 v47, 16, v32
	v_bfe_u32 v32, v32, 24, 4
	v_and_b32_e32 v40, 15, v40
	s_delay_alu instid0(VALU_DEP_4) | instskip(NEXT) | instid1(VALU_DEP_4)
	v_cvt_f16_u16_e32 v36, v36
	v_and_b32_e32 v47, 15, v47
	s_delay_alu instid0(VALU_DEP_4) | instskip(NEXT) | instid1(VALU_DEP_4)
	v_cvt_f16_u16_e32 v32, v32
	v_cvt_f16_u16_e32 v40, v40
	s_delay_alu instid0(VALU_DEP_1) | instskip(NEXT) | instid1(VALU_DEP_4)
	v_pack_b32_f16 v36, v36, v40
	v_cvt_f16_u16_e32 v40, v47
	s_delay_alu instid0(VALU_DEP_2) | instskip(NEXT) | instid1(VALU_DEP_2)
	v_pk_fma_f16 v36, v45, v36, v45 op_sel:[0,0,1] op_sel_hi:[0,1,1]
	v_pack_b32_f16 v32, v40, v32
	s_delay_alu instid0(VALU_DEP_2) | instskip(NEXT) | instid1(VALU_DEP_2)
	v_pk_fma_f16 v41, v36, v33, v41 op_sel:[0,1,0]
	v_pk_fma_f16 v32, v45, v32, v45 op_sel:[0,0,1] op_sel_hi:[0,1,1]
	v_add_co_u32 v45, vcc_lo, v188, s4
	v_add_co_ci_u32_e32 v46, vcc_lo, 0, v189, vcc_lo
	v_add_co_u32 v116, vcc_lo, v187, s4
	v_add_co_ci_u32_e32 v117, vcc_lo, 0, v65, vcc_lo
	v_pk_fma_f16 v42, v32, v33, v42 op_sel:[0,1,0]
	v_pk_fma_f16 v204, v32, v37, v204 op_sel:[0,1,0]
	global_load_b32 v45, v[45:46], off
	global_load_b32 v32, v[116:117], off
	v_pk_fma_f16 v203, v36, v37, v203 op_sel:[0,1,0]
	ds_store_b128 v124, v[41:44]
	ds_store_b128 v124, v[203:206] offset:16
	s_waitcnt vmcnt(0)
	v_ashrrev_i32_e32 v32, v202, v32
	s_delay_alu instid0(VALU_DEP_1) | instskip(SKIP_3) | instid1(VALU_DEP_4)
	v_lshrrev_b32_e32 v40, 8, v32
	v_and_b32_e32 v36, 15, v32
	v_lshrrev_b32_e32 v47, 16, v32
	v_bfe_u32 v32, v32, 24, 4
	v_and_b32_e32 v40, 15, v40
	s_delay_alu instid0(VALU_DEP_4) | instskip(NEXT) | instid1(VALU_DEP_4)
	v_cvt_f16_u16_e32 v36, v36
	v_and_b32_e32 v47, 15, v47
	s_delay_alu instid0(VALU_DEP_4) | instskip(NEXT) | instid1(VALU_DEP_4)
	v_cvt_f16_u16_e32 v32, v32
	v_cvt_f16_u16_e32 v40, v40
	s_delay_alu instid0(VALU_DEP_1) | instskip(NEXT) | instid1(VALU_DEP_4)
	v_pack_b32_f16 v36, v36, v40
	v_cvt_f16_u16_e32 v40, v47
	s_delay_alu instid0(VALU_DEP_2) | instskip(NEXT) | instid1(VALU_DEP_2)
	v_pk_fma_f16 v36, v45, v36, v45 op_sel:[0,0,1] op_sel_hi:[0,1,1]
	v_pack_b32_f16 v32, v40, v32
	s_delay_alu instid0(VALU_DEP_2) | instskip(NEXT) | instid1(VALU_DEP_2)
	v_pk_fma_f16 v43, v36, v33, v43 op_sel:[0,1,0]
	v_pk_fma_f16 v32, v45, v32, v45 op_sel:[0,0,1] op_sel_hi:[0,1,1]
	v_pk_fma_f16 v205, v36, v37, v205 op_sel:[0,1,0]
	s_delay_alu instid0(VALU_DEP_2)
	v_pk_fma_f16 v44, v32, v33, v44 op_sel:[0,1,0]
	v_pk_fma_f16 v206, v32, v37, v206 op_sel:[0,1,0]
	v_add_co_u32 v32, vcc_lo, v186, s4
	v_add_co_ci_u32_e32 v33, vcc_lo, 0, v184, vcc_lo
	v_add_co_u32 v36, vcc_lo, v182, s4
	v_add_co_ci_u32_e32 v37, vcc_lo, 0, v185, vcc_lo
	global_load_b32 v32, v[32:33], off
	global_load_b32 v36, v[36:37], off
	s_waitcnt vmcnt(0)
	v_ashrrev_i32_e32 v36, v202, v36
	s_delay_alu instid0(VALU_DEP_1) | instskip(SKIP_3) | instid1(VALU_DEP_4)
	v_lshrrev_b32_e32 v40, 8, v36
	v_and_b32_e32 v37, 15, v36
	v_lshrrev_b32_e32 v45, 16, v36
	v_bfe_u32 v36, v36, 24, 4
	v_and_b32_e32 v40, 15, v40
	s_delay_alu instid0(VALU_DEP_4) | instskip(NEXT) | instid1(VALU_DEP_4)
	v_cvt_f16_u16_e32 v33, v37
	v_and_b32_e32 v45, 15, v45
	s_delay_alu instid0(VALU_DEP_4) | instskip(NEXT) | instid1(VALU_DEP_4)
	v_cvt_f16_u16_e32 v36, v36
	v_cvt_f16_u16_e32 v37, v40
	s_delay_alu instid0(VALU_DEP_1) | instskip(NEXT) | instid1(VALU_DEP_4)
	v_pack_b32_f16 v33, v33, v37
	v_cvt_f16_u16_e32 v37, v45
	s_delay_alu instid0(VALU_DEP_2) | instskip(NEXT) | instid1(VALU_DEP_2)
	v_pk_fma_f16 v33, v32, v33, v32 op_sel:[0,0,1] op_sel_hi:[0,1,1]
	v_pack_b32_f16 v36, v37, v36
	s_delay_alu instid0(VALU_DEP_2) | instskip(NEXT) | instid1(VALU_DEP_2)
	v_pk_fma_f16 v41, v33, v34, v41 op_sel_hi:[1,0,1]
	v_pk_fma_f16 v32, v32, v36, v32 op_sel:[0,0,1] op_sel_hi:[0,1,1]
	v_pk_fma_f16 v203, v33, v38, v203 op_sel_hi:[1,0,1]
	s_delay_alu instid0(VALU_DEP_2)
	v_pk_fma_f16 v42, v32, v34, v42 op_sel_hi:[1,0,1]
	v_pk_fma_f16 v204, v32, v38, v204 op_sel_hi:[1,0,1]
	v_add_co_u32 v32, vcc_lo, v183, s4
	v_add_co_ci_u32_e32 v33, vcc_lo, 0, v181, vcc_lo
	v_add_co_u32 v36, vcc_lo, v179, s4
	v_add_co_ci_u32_e32 v37, vcc_lo, 0, v180, vcc_lo
	global_load_b32 v32, v[32:33], off
	ds_store_b128 v124, v[41:44]
	ds_store_b128 v124, v[203:206] offset:16
	global_load_b32 v36, v[36:37], off
	s_waitcnt vmcnt(0)
	v_ashrrev_i32_e32 v36, v202, v36
	s_delay_alu instid0(VALU_DEP_1) | instskip(SKIP_3) | instid1(VALU_DEP_4)
	v_lshrrev_b32_e32 v40, 8, v36
	v_and_b32_e32 v37, 15, v36
	v_lshrrev_b32_e32 v45, 16, v36
	v_bfe_u32 v36, v36, 24, 4
	v_and_b32_e32 v40, 15, v40
	s_delay_alu instid0(VALU_DEP_4) | instskip(NEXT) | instid1(VALU_DEP_4)
	v_cvt_f16_u16_e32 v33, v37
	v_and_b32_e32 v45, 15, v45
	s_delay_alu instid0(VALU_DEP_4) | instskip(NEXT) | instid1(VALU_DEP_4)
	v_cvt_f16_u16_e32 v36, v36
	v_cvt_f16_u16_e32 v37, v40
	s_delay_alu instid0(VALU_DEP_1) | instskip(NEXT) | instid1(VALU_DEP_4)
	v_pack_b32_f16 v33, v33, v37
	v_cvt_f16_u16_e32 v37, v45
	s_delay_alu instid0(VALU_DEP_2) | instskip(NEXT) | instid1(VALU_DEP_2)
	v_pk_fma_f16 v33, v32, v33, v32 op_sel:[0,0,1] op_sel_hi:[0,1,1]
	v_pack_b32_f16 v36, v37, v36
	s_delay_alu instid0(VALU_DEP_2) | instskip(NEXT) | instid1(VALU_DEP_2)
	v_pk_fma_f16 v43, v33, v34, v43 op_sel_hi:[1,0,1]
	v_pk_fma_f16 v32, v32, v36, v32 op_sel:[0,0,1] op_sel_hi:[0,1,1]
	v_pk_fma_f16 v205, v33, v38, v205 op_sel_hi:[1,0,1]
	s_delay_alu instid0(VALU_DEP_2)
	v_pk_fma_f16 v44, v32, v34, v44 op_sel_hi:[1,0,1]
	v_pk_fma_f16 v206, v32, v38, v206 op_sel_hi:[1,0,1]
	v_add_co_u32 v32, vcc_lo, v177, s4
	v_add_co_ci_u32_e32 v33, vcc_lo, 0, v178, vcc_lo
	v_add_co_u32 v36, vcc_lo, v175, s4
	v_add_co_ci_u32_e32 v37, vcc_lo, 0, v176, vcc_lo
	global_load_b32 v32, v[32:33], off
	global_load_b32 v36, v[36:37], off
	s_waitcnt vmcnt(0)
	v_ashrrev_i32_e32 v36, v202, v36
	s_delay_alu instid0(VALU_DEP_1) | instskip(SKIP_3) | instid1(VALU_DEP_4)
	v_lshrrev_b32_e32 v40, 8, v36
	v_and_b32_e32 v37, 15, v36
	v_lshrrev_b32_e32 v45, 16, v36
	v_bfe_u32 v36, v36, 24, 4
	v_and_b32_e32 v40, 15, v40
	s_delay_alu instid0(VALU_DEP_4) | instskip(NEXT) | instid1(VALU_DEP_4)
	v_cvt_f16_u16_e32 v33, v37
	v_and_b32_e32 v45, 15, v45
	s_delay_alu instid0(VALU_DEP_4) | instskip(NEXT) | instid1(VALU_DEP_4)
	v_cvt_f16_u16_e32 v36, v36
	v_cvt_f16_u16_e32 v37, v40
	s_delay_alu instid0(VALU_DEP_1) | instskip(NEXT) | instid1(VALU_DEP_4)
	v_pack_b32_f16 v33, v33, v37
	v_cvt_f16_u16_e32 v37, v45
	s_delay_alu instid0(VALU_DEP_2) | instskip(NEXT) | instid1(VALU_DEP_2)
	v_pk_fma_f16 v33, v32, v33, v32 op_sel:[0,0,1] op_sel_hi:[0,1,1]
	v_pack_b32_f16 v36, v37, v36
	s_delay_alu instid0(VALU_DEP_2) | instskip(NEXT) | instid1(VALU_DEP_2)
	v_pk_fma_f16 v41, v33, v34, v41 op_sel:[0,1,0]
	v_pk_fma_f16 v32, v32, v36, v32 op_sel:[0,0,1] op_sel_hi:[0,1,1]
	v_pk_fma_f16 v203, v33, v38, v203 op_sel:[0,1,0]
	s_delay_alu instid0(VALU_DEP_2)
	v_pk_fma_f16 v42, v32, v34, v42 op_sel:[0,1,0]
	v_pk_fma_f16 v204, v32, v38, v204 op_sel:[0,1,0]
	v_add_co_u32 v32, vcc_lo, v174, s4
	v_add_co_ci_u32_e32 v33, vcc_lo, 0, v172, vcc_lo
	v_add_co_u32 v36, vcc_lo, v170, s4
	v_add_co_ci_u32_e32 v37, vcc_lo, 0, v173, vcc_lo
	global_load_b32 v32, v[32:33], off
	ds_store_b128 v124, v[41:44]
	ds_store_b128 v124, v[203:206] offset:16
	global_load_b32 v36, v[36:37], off
	s_waitcnt vmcnt(0)
	v_ashrrev_i32_e32 v36, v202, v36
	s_delay_alu instid0(VALU_DEP_1) | instskip(SKIP_3) | instid1(VALU_DEP_4)
	v_lshrrev_b32_e32 v40, 8, v36
	v_and_b32_e32 v37, 15, v36
	v_lshrrev_b32_e32 v45, 16, v36
	v_bfe_u32 v36, v36, 24, 4
	v_and_b32_e32 v40, 15, v40
	s_delay_alu instid0(VALU_DEP_4) | instskip(NEXT) | instid1(VALU_DEP_4)
	v_cvt_f16_u16_e32 v33, v37
	v_and_b32_e32 v45, 15, v45
	s_delay_alu instid0(VALU_DEP_4) | instskip(NEXT) | instid1(VALU_DEP_4)
	v_cvt_f16_u16_e32 v36, v36
	v_cvt_f16_u16_e32 v37, v40
	s_delay_alu instid0(VALU_DEP_1) | instskip(NEXT) | instid1(VALU_DEP_4)
	v_pack_b32_f16 v33, v33, v37
	v_cvt_f16_u16_e32 v37, v45
	s_delay_alu instid0(VALU_DEP_2) | instskip(NEXT) | instid1(VALU_DEP_2)
	v_pk_fma_f16 v33, v32, v33, v32 op_sel:[0,0,1] op_sel_hi:[0,1,1]
	v_pack_b32_f16 v36, v37, v36
	s_delay_alu instid0(VALU_DEP_2) | instskip(NEXT) | instid1(VALU_DEP_2)
	v_pk_fma_f16 v46, v33, v34, v43 op_sel:[0,1,0]
	v_pk_fma_f16 v32, v32, v36, v32 op_sel:[0,0,1] op_sel_hi:[0,1,1]
	v_pk_fma_f16 v205, v33, v38, v205 op_sel:[0,1,0]
	s_delay_alu instid0(VALU_DEP_2)
	v_pk_fma_f16 v47, v32, v34, v44 op_sel:[0,1,0]
	v_pk_fma_f16 v206, v32, v38, v206 op_sel:[0,1,0]
	v_add_co_u32 v32, vcc_lo, v171, s4
	v_add_co_ci_u32_e32 v33, vcc_lo, 0, v169, vcc_lo
	v_add_co_u32 v36, vcc_lo, v167, s4
	v_add_co_ci_u32_e32 v37, vcc_lo, 0, v168, vcc_lo
	global_load_b32 v32, v[32:33], off
	global_load_b32 v34, v[36:37], off
	s_waitcnt vmcnt(0)
	v_ashrrev_i32_e32 v34, v202, v34
	s_delay_alu instid0(VALU_DEP_1) | instskip(SKIP_3) | instid1(VALU_DEP_4)
	v_lshrrev_b32_e32 v37, 8, v34
	v_and_b32_e32 v36, 15, v34
	v_lshrrev_b32_e32 v38, 16, v34
	v_bfe_u32 v34, v34, 24, 4
	v_and_b32_e32 v37, 15, v37
	s_delay_alu instid0(VALU_DEP_4) | instskip(NEXT) | instid1(VALU_DEP_4)
	v_cvt_f16_u16_e32 v33, v36
	v_and_b32_e32 v38, 15, v38
	s_delay_alu instid0(VALU_DEP_4) | instskip(NEXT) | instid1(VALU_DEP_4)
	v_cvt_f16_u16_e32 v34, v34
	v_cvt_f16_u16_e32 v36, v37
	s_delay_alu instid0(VALU_DEP_1) | instskip(NEXT) | instid1(VALU_DEP_4)
	v_pack_b32_f16 v33, v33, v36
	v_cvt_f16_u16_e32 v36, v38
	s_delay_alu instid0(VALU_DEP_2) | instskip(NEXT) | instid1(VALU_DEP_2)
	v_pk_fma_f16 v33, v32, v33, v32 op_sel:[0,0,1] op_sel_hi:[0,1,1]
	v_pack_b32_f16 v34, v36, v34
	s_delay_alu instid0(VALU_DEP_2) | instskip(NEXT) | instid1(VALU_DEP_2)
	v_pk_fma_f16 v44, v33, v35, v41 op_sel_hi:[1,0,1]
	v_pk_fma_f16 v32, v32, v34, v32 op_sel:[0,0,1] op_sel_hi:[0,1,1]
	v_pk_fma_f16 v203, v33, v39, v203 op_sel_hi:[1,0,1]
	s_delay_alu instid0(VALU_DEP_2)
	v_pk_fma_f16 v45, v32, v35, v42 op_sel_hi:[1,0,1]
	v_pk_fma_f16 v204, v32, v39, v204 op_sel_hi:[1,0,1]
	v_add_co_u32 v32, vcc_lo, v165, s4
	v_add_co_ci_u32_e32 v33, vcc_lo, 0, v166, vcc_lo
	v_add_co_u32 v36, vcc_lo, v4, s4
	v_add_co_ci_u32_e32 v37, vcc_lo, 0, v52, vcc_lo
	global_load_b32 v32, v[32:33], off
	ds_store_b128 v124, v[44:47]
	ds_store_b128 v124, v[203:206] offset:16
	global_load_b32 v34, v[36:37], off
	s_waitcnt vmcnt(0)
	v_ashrrev_i32_e32 v34, v202, v34
	s_delay_alu instid0(VALU_DEP_1) | instskip(SKIP_3) | instid1(VALU_DEP_4)
	v_lshrrev_b32_e32 v37, 8, v34
	v_and_b32_e32 v36, 15, v34
	v_lshrrev_b32_e32 v38, 16, v34
	v_bfe_u32 v34, v34, 24, 4
	v_and_b32_e32 v37, 15, v37
	s_delay_alu instid0(VALU_DEP_4) | instskip(NEXT) | instid1(VALU_DEP_4)
	v_cvt_f16_u16_e32 v33, v36
	v_and_b32_e32 v38, 15, v38
	s_delay_alu instid0(VALU_DEP_4) | instskip(NEXT) | instid1(VALU_DEP_4)
	v_cvt_f16_u16_e32 v34, v34
	v_cvt_f16_u16_e32 v36, v37
	s_delay_alu instid0(VALU_DEP_1) | instskip(NEXT) | instid1(VALU_DEP_4)
	v_pack_b32_f16 v33, v33, v36
	v_cvt_f16_u16_e32 v36, v38
	s_delay_alu instid0(VALU_DEP_2) | instskip(NEXT) | instid1(VALU_DEP_2)
	v_pk_fma_f16 v33, v32, v33, v32 op_sel:[0,0,1] op_sel_hi:[0,1,1]
	v_pack_b32_f16 v34, v36, v34
	s_delay_alu instid0(VALU_DEP_2) | instskip(NEXT) | instid1(VALU_DEP_2)
	v_pk_fma_f16 v46, v33, v35, v46 op_sel_hi:[1,0,1]
	v_pk_fma_f16 v32, v32, v34, v32 op_sel:[0,0,1] op_sel_hi:[0,1,1]
	v_pk_fma_f16 v42, v33, v39, v205 op_sel_hi:[1,0,1]
	s_delay_alu instid0(VALU_DEP_2)
	v_pk_fma_f16 v47, v32, v35, v47 op_sel_hi:[1,0,1]
	v_pk_fma_f16 v43, v32, v39, v206 op_sel_hi:[1,0,1]
	v_add_co_u32 v32, vcc_lo, v200, s4
	v_add_co_ci_u32_e32 v33, vcc_lo, 0, v201, vcc_lo
	v_add_co_u32 v36, vcc_lo, v196, s4
	v_add_co_ci_u32_e32 v37, vcc_lo, 0, v199, vcc_lo
	global_load_b32 v32, v[32:33], off
	v_mov_b32_e32 v196, v197
	v_mov_b32_e32 v197, v193
	global_load_b32 v34, v[36:37], off
	s_waitcnt vmcnt(0)
	v_ashrrev_i32_e32 v34, v202, v34
	s_delay_alu instid0(VALU_DEP_1) | instskip(SKIP_3) | instid1(VALU_DEP_4)
	v_lshrrev_b32_e32 v37, 8, v34
	v_and_b32_e32 v36, 15, v34
	v_lshrrev_b32_e32 v38, 16, v34
	v_bfe_u32 v34, v34, 24, 4
	v_and_b32_e32 v37, 15, v37
	s_delay_alu instid0(VALU_DEP_4) | instskip(NEXT) | instid1(VALU_DEP_4)
	v_cvt_f16_u16_e32 v33, v36
	v_and_b32_e32 v38, 15, v38
	s_delay_alu instid0(VALU_DEP_4) | instskip(NEXT) | instid1(VALU_DEP_4)
	v_cvt_f16_u16_e32 v34, v34
	v_cvt_f16_u16_e32 v36, v37
	s_delay_alu instid0(VALU_DEP_1) | instskip(NEXT) | instid1(VALU_DEP_4)
	v_pack_b32_f16 v33, v33, v36
	v_cvt_f16_u16_e32 v36, v38
	s_delay_alu instid0(VALU_DEP_2) | instskip(NEXT) | instid1(VALU_DEP_2)
	v_pk_fma_f16 v33, v32, v33, v32 op_sel:[0,0,1] op_sel_hi:[0,1,1]
	v_pack_b32_f16 v34, v36, v34
	s_delay_alu instid0(VALU_DEP_2) | instskip(NEXT) | instid1(VALU_DEP_2)
	v_pk_fma_f16 v44, v33, v35, v44 op_sel:[0,1,0]
	v_pk_fma_f16 v32, v32, v34, v32 op_sel:[0,0,1] op_sel_hi:[0,1,1]
	v_pk_fma_f16 v40, v33, v39, v203 op_sel:[0,1,0]
	s_delay_alu instid0(VALU_DEP_2)
	v_pk_fma_f16 v45, v32, v35, v45 op_sel:[0,1,0]
	v_pk_fma_f16 v41, v32, v39, v204 op_sel:[0,1,0]
	v_add_co_u32 v32, vcc_lo, v196, s4
	v_add_co_ci_u32_e32 v33, vcc_lo, 0, v198, vcc_lo
	v_add_co_u32 v36, vcc_lo, v197, s4
	v_add_co_ci_u32_e32 v37, vcc_lo, 0, v194, vcc_lo
	global_load_b32 v32, v[32:33], off
	ds_store_b128 v124, v[44:47]
	ds_store_b128 v124, v[40:43] offset:16
	global_load_b32 v34, v[36:37], off
	v_add_co_u32 v116, vcc_lo, v192, s4
	v_add_co_ci_u32_e32 v117, vcc_lo, 0, v195, vcc_lo
	s_waitcnt vmcnt(0)
	v_ashrrev_i32_e32 v34, v202, v34
	s_delay_alu instid0(VALU_DEP_1) | instskip(SKIP_3) | instid1(VALU_DEP_4)
	v_lshrrev_b32_e32 v37, 8, v34
	v_and_b32_e32 v36, 15, v34
	v_lshrrev_b32_e32 v38, 16, v34
	v_bfe_u32 v34, v34, 24, 4
	v_and_b32_e32 v37, 15, v37
	s_delay_alu instid0(VALU_DEP_4) | instskip(NEXT) | instid1(VALU_DEP_4)
	v_cvt_f16_u16_e32 v33, v36
	v_and_b32_e32 v38, 15, v38
	s_delay_alu instid0(VALU_DEP_4) | instskip(NEXT) | instid1(VALU_DEP_4)
	v_cvt_f16_u16_e32 v34, v34
	v_cvt_f16_u16_e32 v36, v37
	s_delay_alu instid0(VALU_DEP_1) | instskip(NEXT) | instid1(VALU_DEP_4)
	v_pack_b32_f16 v33, v33, v36
	v_cvt_f16_u16_e32 v36, v38
	s_delay_alu instid0(VALU_DEP_2) | instskip(NEXT) | instid1(VALU_DEP_2)
	v_pk_fma_f16 v33, v32, v33, v32 op_sel:[0,0,1] op_sel_hi:[0,1,1]
	v_pack_b32_f16 v34, v36, v34
	s_delay_alu instid0(VALU_DEP_2) | instskip(NEXT) | instid1(VALU_DEP_2)
	v_pk_fma_f16 v46, v33, v35, v46 op_sel:[0,1,0]
	v_pk_fma_f16 v32, v32, v34, v32 op_sel:[0,0,1] op_sel_hi:[0,1,1]
	v_pk_fma_f16 v42, v33, v39, v42 op_sel:[0,1,0]
	s_delay_alu instid0(VALU_DEP_2)
	v_pk_fma_f16 v47, v32, v35, v47 op_sel:[0,1,0]
	v_pk_fma_f16 v43, v32, v39, v43 op_sel:[0,1,0]
	ds_load_b128 v[32:35], v48 offset:16
	ds_load_b128 v[36:39], v48 offset:272
	s_clause 0x7
	scratch_load_b32 v188, off, off offset:528
	scratch_load_b32 v189, off, off offset:532
	;; [unrolled: 1-line block ×8, first 2 shown]
	global_load_b32 v116, v[116:117], off
	s_clause 0x1b
	scratch_load_b32 v65, off, off offset:520
	scratch_load_b32 v184, off, off offset:516
	;; [unrolled: 1-line block ×28, first 2 shown]
	s_waitcnt vmcnt(36)
	v_add_co_u32 v203, vcc_lo, v188, s4
	s_waitcnt vmcnt(35)
	v_add_co_ci_u32_e32 v204, vcc_lo, 0, v189, vcc_lo
	global_load_b32 v118, v[203:204], off
	s_waitcnt vmcnt(0)
	v_ashrrev_i32_e32 v118, v202, v118
	s_delay_alu instid0(VALU_DEP_1) | instskip(SKIP_3) | instid1(VALU_DEP_4)
	v_lshrrev_b32_e32 v120, 8, v118
	v_and_b32_e32 v119, 15, v118
	v_lshrrev_b32_e32 v121, 16, v118
	v_bfe_u32 v118, v118, 24, 4
	v_and_b32_e32 v120, 15, v120
	s_delay_alu instid0(VALU_DEP_4) | instskip(NEXT) | instid1(VALU_DEP_4)
	v_cvt_f16_u16_e32 v117, v119
	v_and_b32_e32 v121, 15, v121
	s_delay_alu instid0(VALU_DEP_4) | instskip(NEXT) | instid1(VALU_DEP_4)
	v_cvt_f16_u16_e32 v118, v118
	v_cvt_f16_u16_e32 v119, v120
	s_delay_alu instid0(VALU_DEP_1) | instskip(NEXT) | instid1(VALU_DEP_4)
	v_pack_b32_f16 v117, v117, v119
	v_cvt_f16_u16_e32 v119, v121
	s_delay_alu instid0(VALU_DEP_2) | instskip(NEXT) | instid1(VALU_DEP_2)
	v_pk_fma_f16 v117, v116, v117, v116 op_sel:[0,0,1] op_sel_hi:[0,1,1]
	v_pack_b32_f16 v118, v119, v118
	s_waitcnt lgkmcnt(1)
	s_delay_alu instid0(VALU_DEP_2) | instskip(NEXT) | instid1(VALU_DEP_2)
	v_pk_fma_f16 v44, v117, v32, v44 op_sel_hi:[1,0,1]
	v_pk_fma_f16 v116, v116, v118, v116 op_sel:[0,0,1] op_sel_hi:[0,1,1]
	s_waitcnt lgkmcnt(0)
	v_pk_fma_f16 v40, v117, v36, v40 op_sel_hi:[1,0,1]
	s_delay_alu instid0(VALU_DEP_2)
	v_pk_fma_f16 v45, v116, v32, v45 op_sel_hi:[1,0,1]
	v_pk_fma_f16 v41, v116, v36, v41 op_sel_hi:[1,0,1]
	v_add_co_u32 v116, vcc_lo, v65, s4
	v_add_co_ci_u32_e32 v117, vcc_lo, 0, v187, vcc_lo
	v_add_co_u32 v203, vcc_lo, v186, s4
	v_add_co_ci_u32_e32 v204, vcc_lo, 0, v184, vcc_lo
	global_load_b32 v116, v[116:117], off
	ds_store_b128 v124, v[44:47]
	ds_store_b128 v124, v[40:43] offset:16
	global_load_b32 v118, v[203:204], off
	s_waitcnt vmcnt(0)
	v_ashrrev_i32_e32 v118, v202, v118
	s_delay_alu instid0(VALU_DEP_1) | instskip(SKIP_3) | instid1(VALU_DEP_4)
	v_lshrrev_b32_e32 v120, 8, v118
	v_and_b32_e32 v119, 15, v118
	v_lshrrev_b32_e32 v121, 16, v118
	v_bfe_u32 v118, v118, 24, 4
	v_and_b32_e32 v120, 15, v120
	s_delay_alu instid0(VALU_DEP_4) | instskip(NEXT) | instid1(VALU_DEP_4)
	v_cvt_f16_u16_e32 v117, v119
	v_and_b32_e32 v121, 15, v121
	s_delay_alu instid0(VALU_DEP_4) | instskip(NEXT) | instid1(VALU_DEP_4)
	v_cvt_f16_u16_e32 v118, v118
	v_cvt_f16_u16_e32 v119, v120
	s_delay_alu instid0(VALU_DEP_1) | instskip(NEXT) | instid1(VALU_DEP_4)
	v_pack_b32_f16 v117, v117, v119
	v_cvt_f16_u16_e32 v119, v121
	s_delay_alu instid0(VALU_DEP_2) | instskip(NEXT) | instid1(VALU_DEP_2)
	v_pk_fma_f16 v117, v116, v117, v116 op_sel:[0,0,1] op_sel_hi:[0,1,1]
	v_pack_b32_f16 v118, v119, v118
	s_delay_alu instid0(VALU_DEP_2) | instskip(NEXT) | instid1(VALU_DEP_2)
	v_pk_fma_f16 v46, v117, v32, v46 op_sel_hi:[1,0,1]
	v_pk_fma_f16 v116, v116, v118, v116 op_sel:[0,0,1] op_sel_hi:[0,1,1]
	v_pk_fma_f16 v42, v117, v36, v42 op_sel_hi:[1,0,1]
	s_delay_alu instid0(VALU_DEP_2)
	v_pk_fma_f16 v47, v116, v32, v47 op_sel_hi:[1,0,1]
	v_pk_fma_f16 v43, v116, v36, v43 op_sel_hi:[1,0,1]
	v_add_co_u32 v116, vcc_lo, v52, s4
	v_add_co_ci_u32_e32 v117, vcc_lo, 0, v185, vcc_lo
	v_add_co_u32 v203, vcc_lo, v181, s4
	v_add_co_ci_u32_e32 v204, vcc_lo, 0, v182, vcc_lo
	global_load_b32 v116, v[116:117], off
	global_load_b32 v118, v[203:204], off
	s_waitcnt vmcnt(0)
	v_ashrrev_i32_e32 v118, v202, v118
	s_delay_alu instid0(VALU_DEP_1) | instskip(SKIP_3) | instid1(VALU_DEP_4)
	v_lshrrev_b32_e32 v120, 8, v118
	v_and_b32_e32 v119, 15, v118
	v_lshrrev_b32_e32 v121, 16, v118
	v_bfe_u32 v118, v118, 24, 4
	v_and_b32_e32 v120, 15, v120
	s_delay_alu instid0(VALU_DEP_4) | instskip(NEXT) | instid1(VALU_DEP_4)
	v_cvt_f16_u16_e32 v117, v119
	v_and_b32_e32 v121, 15, v121
	s_delay_alu instid0(VALU_DEP_4) | instskip(NEXT) | instid1(VALU_DEP_4)
	v_cvt_f16_u16_e32 v118, v118
	v_cvt_f16_u16_e32 v119, v120
	s_delay_alu instid0(VALU_DEP_1) | instskip(NEXT) | instid1(VALU_DEP_4)
	v_pack_b32_f16 v117, v117, v119
	v_cvt_f16_u16_e32 v119, v121
	s_delay_alu instid0(VALU_DEP_2) | instskip(NEXT) | instid1(VALU_DEP_2)
	v_pk_fma_f16 v117, v116, v117, v116 op_sel:[0,0,1] op_sel_hi:[0,1,1]
	v_pack_b32_f16 v118, v119, v118
	s_delay_alu instid0(VALU_DEP_2) | instskip(NEXT) | instid1(VALU_DEP_2)
	v_pk_fma_f16 v44, v117, v32, v44 op_sel:[0,1,0]
	v_pk_fma_f16 v116, v116, v118, v116 op_sel:[0,0,1] op_sel_hi:[0,1,1]
	v_pk_fma_f16 v40, v117, v36, v40 op_sel:[0,1,0]
	s_delay_alu instid0(VALU_DEP_2)
	v_pk_fma_f16 v45, v116, v32, v45 op_sel:[0,1,0]
	v_pk_fma_f16 v41, v116, v36, v41 op_sel:[0,1,0]
	v_add_co_u32 v116, vcc_lo, v180, s4
	v_add_co_ci_u32_e32 v117, vcc_lo, 0, v183, vcc_lo
	v_add_co_u32 v203, vcc_lo, v178, s4
	v_add_co_ci_u32_e32 v204, vcc_lo, 0, v179, vcc_lo
	global_load_b32 v116, v[116:117], off
	ds_store_b128 v124, v[44:47]
	ds_store_b128 v124, v[40:43] offset:16
	global_load_b32 v118, v[203:204], off
	s_waitcnt vmcnt(0)
	v_ashrrev_i32_e32 v118, v202, v118
	s_delay_alu instid0(VALU_DEP_1) | instskip(SKIP_3) | instid1(VALU_DEP_4)
	v_lshrrev_b32_e32 v120, 8, v118
	v_and_b32_e32 v119, 15, v118
	v_lshrrev_b32_e32 v121, 16, v118
	v_bfe_u32 v118, v118, 24, 4
	v_and_b32_e32 v120, 15, v120
	s_delay_alu instid0(VALU_DEP_4) | instskip(NEXT) | instid1(VALU_DEP_4)
	v_cvt_f16_u16_e32 v117, v119
	v_and_b32_e32 v121, 15, v121
	s_delay_alu instid0(VALU_DEP_4) | instskip(NEXT) | instid1(VALU_DEP_4)
	v_cvt_f16_u16_e32 v118, v118
	v_cvt_f16_u16_e32 v119, v120
	s_delay_alu instid0(VALU_DEP_1) | instskip(NEXT) | instid1(VALU_DEP_4)
	v_pack_b32_f16 v117, v117, v119
	v_cvt_f16_u16_e32 v119, v121
	s_delay_alu instid0(VALU_DEP_2) | instskip(NEXT) | instid1(VALU_DEP_2)
	v_pk_fma_f16 v117, v116, v117, v116 op_sel:[0,0,1] op_sel_hi:[0,1,1]
	v_pack_b32_f16 v118, v119, v118
	s_delay_alu instid0(VALU_DEP_2) | instskip(NEXT) | instid1(VALU_DEP_2)
	v_pk_fma_f16 v46, v117, v32, v46 op_sel:[0,1,0]
	v_pk_fma_f16 v116, v116, v118, v116 op_sel:[0,0,1] op_sel_hi:[0,1,1]
	v_pk_fma_f16 v42, v117, v36, v42 op_sel:[0,1,0]
	s_delay_alu instid0(VALU_DEP_2)
	v_pk_fma_f16 v47, v116, v32, v47 op_sel:[0,1,0]
	v_pk_fma_f16 v43, v116, v36, v43 op_sel:[0,1,0]
	v_add_co_u32 v116, vcc_lo, v176, s4
	v_add_co_ci_u32_e32 v117, vcc_lo, 0, v177, vcc_lo
	v_add_co_u32 v203, vcc_lo, v172, s4
	v_add_co_ci_u32_e32 v204, vcc_lo, 0, v175, vcc_lo
	global_load_b32 v116, v[116:117], off
	global_load_b32 v32, v[203:204], off
	s_waitcnt vmcnt(0)
	v_ashrrev_i32_e32 v32, v202, v32
	s_delay_alu instid0(VALU_DEP_1) | instskip(SKIP_3) | instid1(VALU_DEP_4)
	v_lshrrev_b32_e32 v118, 8, v32
	v_and_b32_e32 v36, 15, v32
	v_lshrrev_b32_e32 v119, 16, v32
	v_bfe_u32 v32, v32, 24, 4
	v_and_b32_e32 v118, 15, v118
	s_delay_alu instid0(VALU_DEP_4) | instskip(NEXT) | instid1(VALU_DEP_4)
	v_cvt_f16_u16_e32 v36, v36
	v_and_b32_e32 v119, 15, v119
	s_delay_alu instid0(VALU_DEP_4) | instskip(NEXT) | instid1(VALU_DEP_4)
	v_cvt_f16_u16_e32 v32, v32
	v_cvt_f16_u16_e32 v117, v118
	s_delay_alu instid0(VALU_DEP_1) | instskip(NEXT) | instid1(VALU_DEP_4)
	v_pack_b32_f16 v36, v36, v117
	v_cvt_f16_u16_e32 v117, v119
	s_delay_alu instid0(VALU_DEP_2) | instskip(NEXT) | instid1(VALU_DEP_2)
	v_pk_fma_f16 v36, v116, v36, v116 op_sel:[0,0,1] op_sel_hi:[0,1,1]
	v_pack_b32_f16 v32, v117, v32
	s_delay_alu instid0(VALU_DEP_2) | instskip(NEXT) | instid1(VALU_DEP_2)
	v_pk_fma_f16 v44, v36, v33, v44 op_sel_hi:[1,0,1]
	v_pk_fma_f16 v32, v116, v32, v116 op_sel:[0,0,1] op_sel_hi:[0,1,1]
	v_add_co_u32 v116, vcc_lo, v173, s4
	v_add_co_ci_u32_e32 v117, vcc_lo, 0, v174, vcc_lo
	v_add_co_u32 v203, vcc_lo, v169, s4
	v_add_co_ci_u32_e32 v204, vcc_lo, 0, v170, vcc_lo
	v_pk_fma_f16 v45, v32, v33, v45 op_sel_hi:[1,0,1]
	v_pk_fma_f16 v41, v32, v37, v41 op_sel_hi:[1,0,1]
	global_load_b32 v116, v[116:117], off
	global_load_b32 v32, v[203:204], off
	v_pk_fma_f16 v40, v36, v37, v40 op_sel_hi:[1,0,1]
	ds_store_b128 v124, v[44:47]
	ds_store_b128 v124, v[40:43] offset:16
	s_waitcnt vmcnt(0)
	v_ashrrev_i32_e32 v32, v202, v32
	s_delay_alu instid0(VALU_DEP_1) | instskip(SKIP_3) | instid1(VALU_DEP_4)
	v_lshrrev_b32_e32 v118, 8, v32
	v_and_b32_e32 v36, 15, v32
	v_lshrrev_b32_e32 v119, 16, v32
	v_bfe_u32 v32, v32, 24, 4
	v_and_b32_e32 v118, 15, v118
	s_delay_alu instid0(VALU_DEP_4) | instskip(NEXT) | instid1(VALU_DEP_4)
	v_cvt_f16_u16_e32 v36, v36
	v_and_b32_e32 v119, 15, v119
	s_delay_alu instid0(VALU_DEP_4) | instskip(NEXT) | instid1(VALU_DEP_4)
	v_cvt_f16_u16_e32 v32, v32
	v_cvt_f16_u16_e32 v117, v118
	s_delay_alu instid0(VALU_DEP_1) | instskip(NEXT) | instid1(VALU_DEP_4)
	v_pack_b32_f16 v36, v36, v117
	v_cvt_f16_u16_e32 v117, v119
	s_delay_alu instid0(VALU_DEP_2) | instskip(NEXT) | instid1(VALU_DEP_2)
	v_pk_fma_f16 v36, v116, v36, v116 op_sel:[0,0,1] op_sel_hi:[0,1,1]
	v_pack_b32_f16 v32, v117, v32
	s_delay_alu instid0(VALU_DEP_2) | instskip(NEXT) | instid1(VALU_DEP_2)
	v_pk_fma_f16 v46, v36, v33, v46 op_sel_hi:[1,0,1]
	v_pk_fma_f16 v32, v116, v32, v116 op_sel:[0,0,1] op_sel_hi:[0,1,1]
	v_add_co_u32 v116, vcc_lo, v168, s4
	v_add_co_ci_u32_e32 v117, vcc_lo, 0, v171, vcc_lo
	v_add_co_u32 v203, vcc_lo, v166, s4
	v_add_co_ci_u32_e32 v204, vcc_lo, 0, v167, vcc_lo
	v_pk_fma_f16 v47, v32, v33, v47 op_sel_hi:[1,0,1]
	v_pk_fma_f16 v43, v32, v37, v43 op_sel_hi:[1,0,1]
	global_load_b32 v116, v[116:117], off
	global_load_b32 v32, v[203:204], off
	v_pk_fma_f16 v42, v36, v37, v42 op_sel_hi:[1,0,1]
	s_waitcnt vmcnt(0)
	v_ashrrev_i32_e32 v32, v202, v32
	s_delay_alu instid0(VALU_DEP_1) | instskip(SKIP_3) | instid1(VALU_DEP_4)
	v_lshrrev_b32_e32 v118, 8, v32
	v_and_b32_e32 v36, 15, v32
	v_lshrrev_b32_e32 v119, 16, v32
	v_bfe_u32 v32, v32, 24, 4
	v_and_b32_e32 v118, 15, v118
	s_delay_alu instid0(VALU_DEP_4) | instskip(NEXT) | instid1(VALU_DEP_4)
	v_cvt_f16_u16_e32 v36, v36
	v_and_b32_e32 v119, 15, v119
	s_delay_alu instid0(VALU_DEP_4) | instskip(NEXT) | instid1(VALU_DEP_4)
	v_cvt_f16_u16_e32 v32, v32
	v_cvt_f16_u16_e32 v117, v118
	s_delay_alu instid0(VALU_DEP_1) | instskip(NEXT) | instid1(VALU_DEP_4)
	v_pack_b32_f16 v36, v36, v117
	v_cvt_f16_u16_e32 v117, v119
	s_delay_alu instid0(VALU_DEP_2) | instskip(NEXT) | instid1(VALU_DEP_2)
	v_pk_fma_f16 v36, v116, v36, v116 op_sel:[0,0,1] op_sel_hi:[0,1,1]
	v_pack_b32_f16 v32, v117, v32
	s_delay_alu instid0(VALU_DEP_2) | instskip(NEXT) | instid1(VALU_DEP_2)
	v_pk_fma_f16 v44, v36, v33, v44 op_sel:[0,1,0]
	v_pk_fma_f16 v32, v116, v32, v116 op_sel:[0,0,1] op_sel_hi:[0,1,1]
	v_add_co_u32 v116, vcc_lo, v164, s4
	v_add_co_ci_u32_e32 v117, vcc_lo, 0, v165, vcc_lo
	v_add_co_u32 v203, vcc_lo, v162, s4
	v_add_co_ci_u32_e32 v204, vcc_lo, 0, v163, vcc_lo
	v_pk_fma_f16 v45, v32, v33, v45 op_sel:[0,1,0]
	v_pk_fma_f16 v41, v32, v37, v41 op_sel:[0,1,0]
	global_load_b32 v116, v[116:117], off
	global_load_b32 v32, v[203:204], off
	v_pk_fma_f16 v40, v36, v37, v40 op_sel:[0,1,0]
	ds_store_b128 v124, v[44:47]
	ds_store_b128 v124, v[40:43] offset:16
	s_waitcnt vmcnt(0)
	v_ashrrev_i32_e32 v32, v202, v32
	s_delay_alu instid0(VALU_DEP_1) | instskip(SKIP_3) | instid1(VALU_DEP_4)
	v_lshrrev_b32_e32 v118, 8, v32
	v_and_b32_e32 v36, 15, v32
	v_lshrrev_b32_e32 v119, 16, v32
	v_bfe_u32 v32, v32, 24, 4
	v_and_b32_e32 v118, 15, v118
	s_delay_alu instid0(VALU_DEP_4) | instskip(NEXT) | instid1(VALU_DEP_4)
	v_cvt_f16_u16_e32 v36, v36
	v_and_b32_e32 v119, 15, v119
	s_delay_alu instid0(VALU_DEP_4) | instskip(NEXT) | instid1(VALU_DEP_4)
	v_cvt_f16_u16_e32 v32, v32
	v_cvt_f16_u16_e32 v117, v118
	s_delay_alu instid0(VALU_DEP_1) | instskip(NEXT) | instid1(VALU_DEP_4)
	v_pack_b32_f16 v36, v36, v117
	v_cvt_f16_u16_e32 v117, v119
	s_delay_alu instid0(VALU_DEP_2) | instskip(NEXT) | instid1(VALU_DEP_2)
	v_pk_fma_f16 v36, v116, v36, v116 op_sel:[0,0,1] op_sel_hi:[0,1,1]
	v_pack_b32_f16 v32, v117, v32
	s_delay_alu instid0(VALU_DEP_2) | instskip(NEXT) | instid1(VALU_DEP_2)
	v_pk_fma_f16 v46, v36, v33, v46 op_sel:[0,1,0]
	v_pk_fma_f16 v32, v116, v32, v116 op_sel:[0,0,1] op_sel_hi:[0,1,1]
	v_pk_fma_f16 v42, v36, v37, v42 op_sel:[0,1,0]
	s_delay_alu instid0(VALU_DEP_2)
	v_pk_fma_f16 v47, v32, v33, v47 op_sel:[0,1,0]
	v_pk_fma_f16 v43, v32, v37, v43 op_sel:[0,1,0]
	v_add_co_u32 v32, vcc_lo, v161, s4
	v_add_co_ci_u32_e32 v33, vcc_lo, 0, v255, vcc_lo
	v_add_co_u32 v36, vcc_lo, v159, s4
	v_add_co_ci_u32_e32 v37, vcc_lo, 0, v160, vcc_lo
	global_load_b32 v32, v[32:33], off
	global_load_b32 v36, v[36:37], off
	s_waitcnt vmcnt(0)
	v_ashrrev_i32_e32 v36, v202, v36
	s_delay_alu instid0(VALU_DEP_1) | instskip(SKIP_3) | instid1(VALU_DEP_4)
	v_lshrrev_b32_e32 v116, 8, v36
	v_and_b32_e32 v37, 15, v36
	v_lshrrev_b32_e32 v117, 16, v36
	v_bfe_u32 v36, v36, 24, 4
	v_and_b32_e32 v116, 15, v116
	s_delay_alu instid0(VALU_DEP_4) | instskip(NEXT) | instid1(VALU_DEP_4)
	v_cvt_f16_u16_e32 v33, v37
	v_and_b32_e32 v117, 15, v117
	s_delay_alu instid0(VALU_DEP_4) | instskip(NEXT) | instid1(VALU_DEP_4)
	v_cvt_f16_u16_e32 v36, v36
	v_cvt_f16_u16_e32 v37, v116
	s_delay_alu instid0(VALU_DEP_1) | instskip(NEXT) | instid1(VALU_DEP_4)
	v_pack_b32_f16 v33, v33, v37
	v_cvt_f16_u16_e32 v37, v117
	s_delay_alu instid0(VALU_DEP_2) | instskip(NEXT) | instid1(VALU_DEP_2)
	v_pk_fma_f16 v33, v32, v33, v32 op_sel:[0,0,1] op_sel_hi:[0,1,1]
	v_pack_b32_f16 v36, v37, v36
	s_delay_alu instid0(VALU_DEP_2) | instskip(NEXT) | instid1(VALU_DEP_2)
	v_pk_fma_f16 v44, v33, v34, v44 op_sel_hi:[1,0,1]
	v_pk_fma_f16 v32, v32, v36, v32 op_sel:[0,0,1] op_sel_hi:[0,1,1]
	v_pk_fma_f16 v40, v33, v38, v40 op_sel_hi:[1,0,1]
	s_delay_alu instid0(VALU_DEP_2)
	v_pk_fma_f16 v45, v32, v34, v45 op_sel_hi:[1,0,1]
	v_pk_fma_f16 v41, v32, v38, v41 op_sel_hi:[1,0,1]
	v_add_co_u32 v32, vcc_lo, v158, s4
	v_add_co_ci_u32_e32 v33, vcc_lo, 0, v254, vcc_lo
	v_add_co_u32 v36, vcc_lo, v156, s4
	v_add_co_ci_u32_e32 v37, vcc_lo, 0, v157, vcc_lo
	global_load_b32 v32, v[32:33], off
	ds_store_b128 v124, v[44:47]
	ds_store_b128 v124, v[40:43] offset:16
	global_load_b32 v36, v[36:37], off
	s_waitcnt vmcnt(0)
	v_ashrrev_i32_e32 v36, v202, v36
	s_delay_alu instid0(VALU_DEP_1) | instskip(SKIP_3) | instid1(VALU_DEP_4)
	v_lshrrev_b32_e32 v116, 8, v36
	v_and_b32_e32 v37, 15, v36
	v_lshrrev_b32_e32 v117, 16, v36
	v_bfe_u32 v36, v36, 24, 4
	v_and_b32_e32 v116, 15, v116
	s_delay_alu instid0(VALU_DEP_4) | instskip(NEXT) | instid1(VALU_DEP_4)
	v_cvt_f16_u16_e32 v33, v37
	v_and_b32_e32 v117, 15, v117
	s_delay_alu instid0(VALU_DEP_4) | instskip(NEXT) | instid1(VALU_DEP_4)
	v_cvt_f16_u16_e32 v36, v36
	v_cvt_f16_u16_e32 v37, v116
	s_delay_alu instid0(VALU_DEP_1) | instskip(NEXT) | instid1(VALU_DEP_4)
	v_pack_b32_f16 v33, v33, v37
	v_cvt_f16_u16_e32 v37, v117
	s_delay_alu instid0(VALU_DEP_2) | instskip(NEXT) | instid1(VALU_DEP_2)
	v_pk_fma_f16 v33, v32, v33, v32 op_sel:[0,0,1] op_sel_hi:[0,1,1]
	v_pack_b32_f16 v36, v37, v36
	s_delay_alu instid0(VALU_DEP_2) | instskip(NEXT) | instid1(VALU_DEP_2)
	v_pk_fma_f16 v46, v33, v34, v46 op_sel_hi:[1,0,1]
	v_pk_fma_f16 v32, v32, v36, v32 op_sel:[0,0,1] op_sel_hi:[0,1,1]
	v_pk_fma_f16 v42, v33, v38, v42 op_sel_hi:[1,0,1]
	s_delay_alu instid0(VALU_DEP_2)
	v_pk_fma_f16 v47, v32, v34, v47 op_sel_hi:[1,0,1]
	v_pk_fma_f16 v43, v32, v38, v43 op_sel_hi:[1,0,1]
	v_add_co_u32 v32, vcc_lo, v155, s4
	v_add_co_ci_u32_e32 v33, vcc_lo, 0, v253, vcc_lo
	v_add_co_u32 v36, vcc_lo, v153, s4
	v_add_co_ci_u32_e32 v37, vcc_lo, 0, v154, vcc_lo
	global_load_b32 v32, v[32:33], off
	global_load_b32 v36, v[36:37], off
	s_waitcnt vmcnt(0)
	v_ashrrev_i32_e32 v36, v202, v36
	s_delay_alu instid0(VALU_DEP_1) | instskip(SKIP_3) | instid1(VALU_DEP_4)
	v_lshrrev_b32_e32 v116, 8, v36
	v_and_b32_e32 v37, 15, v36
	v_lshrrev_b32_e32 v117, 16, v36
	v_bfe_u32 v36, v36, 24, 4
	v_and_b32_e32 v116, 15, v116
	s_delay_alu instid0(VALU_DEP_4) | instskip(NEXT) | instid1(VALU_DEP_4)
	v_cvt_f16_u16_e32 v33, v37
	v_and_b32_e32 v117, 15, v117
	s_delay_alu instid0(VALU_DEP_4) | instskip(NEXT) | instid1(VALU_DEP_4)
	v_cvt_f16_u16_e32 v36, v36
	v_cvt_f16_u16_e32 v37, v116
	s_delay_alu instid0(VALU_DEP_1) | instskip(NEXT) | instid1(VALU_DEP_4)
	v_pack_b32_f16 v33, v33, v37
	v_cvt_f16_u16_e32 v37, v117
	s_delay_alu instid0(VALU_DEP_2) | instskip(NEXT) | instid1(VALU_DEP_2)
	v_pk_fma_f16 v33, v32, v33, v32 op_sel:[0,0,1] op_sel_hi:[0,1,1]
	v_pack_b32_f16 v36, v37, v36
	s_delay_alu instid0(VALU_DEP_2) | instskip(NEXT) | instid1(VALU_DEP_2)
	v_pk_fma_f16 v44, v33, v34, v44 op_sel:[0,1,0]
	v_pk_fma_f16 v32, v32, v36, v32 op_sel:[0,0,1] op_sel_hi:[0,1,1]
	v_pk_fma_f16 v40, v33, v38, v40 op_sel:[0,1,0]
	s_delay_alu instid0(VALU_DEP_2)
	v_pk_fma_f16 v45, v32, v34, v45 op_sel:[0,1,0]
	v_pk_fma_f16 v41, v32, v38, v41 op_sel:[0,1,0]
	v_add_co_u32 v32, vcc_lo, v152, s4
	v_add_co_ci_u32_e32 v33, vcc_lo, 0, v252, vcc_lo
	v_add_co_u32 v36, vcc_lo, v150, s4
	v_add_co_ci_u32_e32 v37, vcc_lo, 0, v151, vcc_lo
	global_load_b32 v32, v[32:33], off
	ds_store_b128 v124, v[44:47]
	ds_store_b128 v124, v[40:43] offset:16
	global_load_b32 v36, v[36:37], off
	s_waitcnt vmcnt(0)
	v_ashrrev_i32_e32 v36, v202, v36
	s_delay_alu instid0(VALU_DEP_1) | instskip(SKIP_3) | instid1(VALU_DEP_4)
	v_lshrrev_b32_e32 v116, 8, v36
	v_and_b32_e32 v37, 15, v36
	v_lshrrev_b32_e32 v117, 16, v36
	v_bfe_u32 v36, v36, 24, 4
	v_and_b32_e32 v116, 15, v116
	s_delay_alu instid0(VALU_DEP_4) | instskip(NEXT) | instid1(VALU_DEP_4)
	v_cvt_f16_u16_e32 v33, v37
	v_and_b32_e32 v117, 15, v117
	s_delay_alu instid0(VALU_DEP_4) | instskip(NEXT) | instid1(VALU_DEP_4)
	v_cvt_f16_u16_e32 v36, v36
	v_cvt_f16_u16_e32 v37, v116
	s_delay_alu instid0(VALU_DEP_1) | instskip(NEXT) | instid1(VALU_DEP_4)
	v_pack_b32_f16 v33, v33, v37
	v_cvt_f16_u16_e32 v37, v117
	s_delay_alu instid0(VALU_DEP_2) | instskip(NEXT) | instid1(VALU_DEP_2)
	v_pk_fma_f16 v33, v32, v33, v32 op_sel:[0,0,1] op_sel_hi:[0,1,1]
	v_pack_b32_f16 v36, v37, v36
	s_delay_alu instid0(VALU_DEP_2) | instskip(NEXT) | instid1(VALU_DEP_2)
	v_pk_fma_f16 v46, v33, v34, v46 op_sel:[0,1,0]
	v_pk_fma_f16 v32, v32, v36, v32 op_sel:[0,0,1] op_sel_hi:[0,1,1]
	v_pk_fma_f16 v42, v33, v38, v42 op_sel:[0,1,0]
	s_delay_alu instid0(VALU_DEP_2)
	v_pk_fma_f16 v47, v32, v34, v47 op_sel:[0,1,0]
	v_pk_fma_f16 v43, v32, v38, v43 op_sel:[0,1,0]
	v_add_co_u32 v32, vcc_lo, v149, s4
	v_add_co_ci_u32_e32 v33, vcc_lo, 0, v251, vcc_lo
	v_add_co_u32 v36, vcc_lo, v147, s4
	v_add_co_ci_u32_e32 v37, vcc_lo, 0, v148, vcc_lo
	global_load_b32 v32, v[32:33], off
	global_load_b32 v34, v[36:37], off
	s_waitcnt vmcnt(0)
	v_ashrrev_i32_e32 v34, v202, v34
	s_delay_alu instid0(VALU_DEP_1) | instskip(SKIP_3) | instid1(VALU_DEP_4)
	v_lshrrev_b32_e32 v37, 8, v34
	v_and_b32_e32 v36, 15, v34
	v_lshrrev_b32_e32 v38, 16, v34
	v_bfe_u32 v34, v34, 24, 4
	v_and_b32_e32 v37, 15, v37
	s_delay_alu instid0(VALU_DEP_4) | instskip(NEXT) | instid1(VALU_DEP_4)
	v_cvt_f16_u16_e32 v33, v36
	v_and_b32_e32 v38, 15, v38
	s_delay_alu instid0(VALU_DEP_4) | instskip(NEXT) | instid1(VALU_DEP_4)
	v_cvt_f16_u16_e32 v34, v34
	v_cvt_f16_u16_e32 v36, v37
	s_delay_alu instid0(VALU_DEP_1) | instskip(NEXT) | instid1(VALU_DEP_4)
	v_pack_b32_f16 v33, v33, v36
	v_cvt_f16_u16_e32 v36, v38
	s_delay_alu instid0(VALU_DEP_2) | instskip(NEXT) | instid1(VALU_DEP_2)
	v_pk_fma_f16 v33, v32, v33, v32 op_sel:[0,0,1] op_sel_hi:[0,1,1]
	v_pack_b32_f16 v34, v36, v34
	s_delay_alu instid0(VALU_DEP_2) | instskip(NEXT) | instid1(VALU_DEP_2)
	v_pk_fma_f16 v44, v33, v35, v44 op_sel_hi:[1,0,1]
	v_pk_fma_f16 v32, v32, v34, v32 op_sel:[0,0,1] op_sel_hi:[0,1,1]
	v_pk_fma_f16 v40, v33, v39, v40 op_sel_hi:[1,0,1]
	s_delay_alu instid0(VALU_DEP_2)
	v_pk_fma_f16 v45, v32, v35, v45 op_sel_hi:[1,0,1]
	v_pk_fma_f16 v41, v32, v39, v41 op_sel_hi:[1,0,1]
	v_add_co_u32 v32, vcc_lo, v146, s4
	v_add_co_ci_u32_e32 v33, vcc_lo, 0, v250, vcc_lo
	v_add_co_u32 v36, vcc_lo, v144, s4
	v_add_co_ci_u32_e32 v37, vcc_lo, 0, v145, vcc_lo
	global_load_b32 v32, v[32:33], off
	ds_store_b128 v124, v[44:47]
	ds_store_b128 v124, v[40:43] offset:16
	global_load_b32 v34, v[36:37], off
	s_waitcnt vmcnt(0)
	v_ashrrev_i32_e32 v34, v202, v34
	s_delay_alu instid0(VALU_DEP_1) | instskip(SKIP_3) | instid1(VALU_DEP_4)
	v_lshrrev_b32_e32 v37, 8, v34
	v_and_b32_e32 v36, 15, v34
	v_lshrrev_b32_e32 v38, 16, v34
	v_bfe_u32 v34, v34, 24, 4
	v_and_b32_e32 v37, 15, v37
	s_delay_alu instid0(VALU_DEP_4) | instskip(NEXT) | instid1(VALU_DEP_4)
	v_cvt_f16_u16_e32 v33, v36
	v_and_b32_e32 v38, 15, v38
	s_delay_alu instid0(VALU_DEP_4) | instskip(NEXT) | instid1(VALU_DEP_4)
	v_cvt_f16_u16_e32 v34, v34
	v_cvt_f16_u16_e32 v36, v37
	s_delay_alu instid0(VALU_DEP_1) | instskip(NEXT) | instid1(VALU_DEP_4)
	v_pack_b32_f16 v33, v33, v36
	v_cvt_f16_u16_e32 v36, v38
	s_delay_alu instid0(VALU_DEP_2) | instskip(NEXT) | instid1(VALU_DEP_2)
	v_pk_fma_f16 v33, v32, v33, v32 op_sel:[0,0,1] op_sel_hi:[0,1,1]
	v_pack_b32_f16 v34, v36, v34
	s_delay_alu instid0(VALU_DEP_2) | instskip(NEXT) | instid1(VALU_DEP_2)
	v_pk_fma_f16 v46, v33, v35, v46 op_sel_hi:[1,0,1]
	v_pk_fma_f16 v32, v32, v34, v32 op_sel:[0,0,1] op_sel_hi:[0,1,1]
	v_pk_fma_f16 v42, v33, v39, v42 op_sel_hi:[1,0,1]
	s_delay_alu instid0(VALU_DEP_2)
	v_pk_fma_f16 v47, v32, v35, v47 op_sel_hi:[1,0,1]
	v_pk_fma_f16 v43, v32, v39, v43 op_sel_hi:[1,0,1]
	v_add_co_u32 v32, vcc_lo, v143, s4
	v_add_co_ci_u32_e32 v33, vcc_lo, 0, v249, vcc_lo
	v_add_co_u32 v36, vcc_lo, v141, s4
	v_add_co_ci_u32_e32 v37, vcc_lo, 0, v142, vcc_lo
	global_load_b32 v32, v[32:33], off
	global_load_b32 v34, v[36:37], off
	s_waitcnt vmcnt(0)
	v_ashrrev_i32_e32 v34, v202, v34
	s_delay_alu instid0(VALU_DEP_1) | instskip(SKIP_3) | instid1(VALU_DEP_4)
	v_lshrrev_b32_e32 v37, 8, v34
	v_and_b32_e32 v36, 15, v34
	v_lshrrev_b32_e32 v38, 16, v34
	v_bfe_u32 v34, v34, 24, 4
	v_and_b32_e32 v37, 15, v37
	s_delay_alu instid0(VALU_DEP_4) | instskip(NEXT) | instid1(VALU_DEP_4)
	v_cvt_f16_u16_e32 v33, v36
	v_and_b32_e32 v38, 15, v38
	s_delay_alu instid0(VALU_DEP_4) | instskip(NEXT) | instid1(VALU_DEP_4)
	v_cvt_f16_u16_e32 v34, v34
	v_cvt_f16_u16_e32 v36, v37
	s_delay_alu instid0(VALU_DEP_1) | instskip(NEXT) | instid1(VALU_DEP_4)
	v_pack_b32_f16 v33, v33, v36
	v_cvt_f16_u16_e32 v36, v38
	s_delay_alu instid0(VALU_DEP_2) | instskip(NEXT) | instid1(VALU_DEP_2)
	v_pk_fma_f16 v33, v32, v33, v32 op_sel:[0,0,1] op_sel_hi:[0,1,1]
	v_pack_b32_f16 v34, v36, v34
	s_delay_alu instid0(VALU_DEP_2) | instskip(NEXT) | instid1(VALU_DEP_2)
	v_pk_fma_f16 v44, v33, v35, v44 op_sel:[0,1,0]
	v_pk_fma_f16 v32, v32, v34, v32 op_sel:[0,0,1] op_sel_hi:[0,1,1]
	v_pk_fma_f16 v40, v33, v39, v40 op_sel:[0,1,0]
	s_delay_alu instid0(VALU_DEP_2)
	v_pk_fma_f16 v45, v32, v35, v45 op_sel:[0,1,0]
	v_pk_fma_f16 v41, v32, v39, v41 op_sel:[0,1,0]
	v_add_co_u32 v32, vcc_lo, v138, s4
	v_add_co_ci_u32_e32 v33, vcc_lo, 0, v248, vcc_lo
	v_add_co_u32 v36, vcc_lo, v136, s4
	v_add_co_ci_u32_e32 v37, vcc_lo, 0, v137, vcc_lo
	global_load_b32 v32, v[32:33], off
	ds_store_b128 v124, v[44:47]
	ds_store_b128 v124, v[40:43] offset:16
	global_load_b32 v34, v[36:37], off
	s_waitcnt vmcnt(0)
	v_ashrrev_i32_e32 v34, v202, v34
	s_delay_alu instid0(VALU_DEP_1) | instskip(SKIP_3) | instid1(VALU_DEP_4)
	v_lshrrev_b32_e32 v37, 8, v34
	v_and_b32_e32 v36, 15, v34
	v_lshrrev_b32_e32 v38, 16, v34
	v_bfe_u32 v34, v34, 24, 4
	v_and_b32_e32 v37, 15, v37
	s_delay_alu instid0(VALU_DEP_4) | instskip(NEXT) | instid1(VALU_DEP_4)
	v_cvt_f16_u16_e32 v33, v36
	v_and_b32_e32 v38, 15, v38
	s_delay_alu instid0(VALU_DEP_4) | instskip(NEXT) | instid1(VALU_DEP_4)
	v_cvt_f16_u16_e32 v34, v34
	v_cvt_f16_u16_e32 v36, v37
	s_delay_alu instid0(VALU_DEP_1) | instskip(NEXT) | instid1(VALU_DEP_4)
	v_pack_b32_f16 v33, v33, v36
	v_cvt_f16_u16_e32 v36, v38
	s_delay_alu instid0(VALU_DEP_2) | instskip(NEXT) | instid1(VALU_DEP_2)
	v_pk_fma_f16 v33, v32, v33, v32 op_sel:[0,0,1] op_sel_hi:[0,1,1]
	v_pack_b32_f16 v34, v36, v34
	s_delay_alu instid0(VALU_DEP_2) | instskip(NEXT) | instid1(VALU_DEP_2)
	v_pk_fma_f16 v46, v33, v35, v46 op_sel:[0,1,0]
	v_pk_fma_f16 v32, v32, v34, v32 op_sel:[0,0,1] op_sel_hi:[0,1,1]
	v_pk_fma_f16 v42, v33, v39, v42 op_sel:[0,1,0]
	s_delay_alu instid0(VALU_DEP_2)
	v_pk_fma_f16 v47, v32, v35, v47 op_sel:[0,1,0]
	v_pk_fma_f16 v43, v32, v39, v43 op_sel:[0,1,0]
	ds_load_b128 v[32:35], v48 offset:32
	ds_load_b128 v[36:39], v48 offset:288
	s_clause 0x15
	scratch_load_b32 v135, off, off offset:764
	scratch_load_b32 v128, off, off offset:760
	scratch_load_b32 v111, off, off offset:756
	scratch_load_b32 v108, off, off offset:752
	scratch_load_b32 v105, off, off offset:748
	scratch_load_b32 v102, off, off offset:744
	scratch_load_b32 v99, off, off offset:740
	scratch_load_b32 v96, off, off offset:736
	scratch_load_b32 v93, off, off offset:732
	scratch_load_b32 v90, off, off offset:728
	scratch_load_b32 v89, off, off offset:724
	scratch_load_b32 v88, off, off offset:720
	scratch_load_b32 v87, off, off offset:716
	scratch_load_b32 v86, off, off offset:712
	scratch_load_b32 v85, off, off offset:708
	scratch_load_b32 v84, off, off offset:704
	scratch_load_b32 v83, off, off offset:700
	scratch_load_b32 v82, off, off offset:696
	scratch_load_b32 v81, off, off offset:692
	scratch_load_b32 v80, off, off offset:688
	scratch_load_b32 v79, off, off offset:684
	scratch_load_b32 v78, off, off offset:680
	s_waitcnt vmcnt(21)
	v_add_co_u32 v116, vcc_lo, v135, s4
	v_add_co_ci_u32_e32 v117, vcc_lo, 0, v247, vcc_lo
	v_add_co_u32 v203, vcc_lo, v139, s4
	v_add_co_ci_u32_e32 v204, vcc_lo, 0, v140, vcc_lo
	global_load_b32 v116, v[116:117], off
	global_load_b32 v118, v[203:204], off
	s_waitcnt vmcnt(0)
	v_ashrrev_i32_e32 v118, v202, v118
	s_delay_alu instid0(VALU_DEP_1) | instskip(SKIP_3) | instid1(VALU_DEP_4)
	v_lshrrev_b32_e32 v120, 8, v118
	v_and_b32_e32 v119, 15, v118
	v_lshrrev_b32_e32 v121, 16, v118
	v_bfe_u32 v118, v118, 24, 4
	v_and_b32_e32 v120, 15, v120
	s_delay_alu instid0(VALU_DEP_4) | instskip(NEXT) | instid1(VALU_DEP_4)
	v_cvt_f16_u16_e32 v117, v119
	v_and_b32_e32 v121, 15, v121
	s_delay_alu instid0(VALU_DEP_4) | instskip(NEXT) | instid1(VALU_DEP_4)
	v_cvt_f16_u16_e32 v118, v118
	v_cvt_f16_u16_e32 v119, v120
	s_delay_alu instid0(VALU_DEP_1) | instskip(NEXT) | instid1(VALU_DEP_4)
	v_pack_b32_f16 v117, v117, v119
	v_cvt_f16_u16_e32 v119, v121
	s_delay_alu instid0(VALU_DEP_2) | instskip(NEXT) | instid1(VALU_DEP_2)
	v_pk_fma_f16 v117, v116, v117, v116 op_sel:[0,0,1] op_sel_hi:[0,1,1]
	v_pack_b32_f16 v118, v119, v118
	s_waitcnt lgkmcnt(1)
	s_delay_alu instid0(VALU_DEP_2) | instskip(NEXT) | instid1(VALU_DEP_2)
	v_pk_fma_f16 v44, v117, v32, v44 op_sel_hi:[1,0,1]
	v_pk_fma_f16 v116, v116, v118, v116 op_sel:[0,0,1] op_sel_hi:[0,1,1]
	s_waitcnt lgkmcnt(0)
	v_pk_fma_f16 v40, v117, v36, v40 op_sel_hi:[1,0,1]
	s_delay_alu instid0(VALU_DEP_2)
	v_pk_fma_f16 v45, v116, v32, v45 op_sel_hi:[1,0,1]
	v_pk_fma_f16 v41, v116, v36, v41 op_sel_hi:[1,0,1]
	v_add_co_u32 v116, vcc_lo, v128, s4
	v_add_co_ci_u32_e32 v117, vcc_lo, 0, v246, vcc_lo
	v_add_co_u32 v203, vcc_lo, v134, s4
	v_add_co_ci_u32_e32 v204, vcc_lo, 0, v127, vcc_lo
	global_load_b32 v116, v[116:117], off
	ds_store_b128 v124, v[44:47]
	ds_store_b128 v124, v[40:43] offset:16
	global_load_b32 v118, v[203:204], off
	s_waitcnt vmcnt(0)
	v_ashrrev_i32_e32 v118, v202, v118
	s_delay_alu instid0(VALU_DEP_1) | instskip(SKIP_3) | instid1(VALU_DEP_4)
	v_lshrrev_b32_e32 v120, 8, v118
	v_and_b32_e32 v119, 15, v118
	v_lshrrev_b32_e32 v121, 16, v118
	v_bfe_u32 v118, v118, 24, 4
	v_and_b32_e32 v120, 15, v120
	s_delay_alu instid0(VALU_DEP_4) | instskip(NEXT) | instid1(VALU_DEP_4)
	v_cvt_f16_u16_e32 v117, v119
	v_and_b32_e32 v121, 15, v121
	s_delay_alu instid0(VALU_DEP_4) | instskip(NEXT) | instid1(VALU_DEP_4)
	v_cvt_f16_u16_e32 v118, v118
	v_cvt_f16_u16_e32 v119, v120
	s_delay_alu instid0(VALU_DEP_1) | instskip(NEXT) | instid1(VALU_DEP_4)
	v_pack_b32_f16 v117, v117, v119
	v_cvt_f16_u16_e32 v119, v121
	s_delay_alu instid0(VALU_DEP_2) | instskip(NEXT) | instid1(VALU_DEP_2)
	v_pk_fma_f16 v117, v116, v117, v116 op_sel:[0,0,1] op_sel_hi:[0,1,1]
	v_pack_b32_f16 v118, v119, v118
	s_delay_alu instid0(VALU_DEP_2) | instskip(NEXT) | instid1(VALU_DEP_2)
	v_pk_fma_f16 v46, v117, v32, v46 op_sel_hi:[1,0,1]
	v_pk_fma_f16 v116, v116, v118, v116 op_sel:[0,0,1] op_sel_hi:[0,1,1]
	v_pk_fma_f16 v42, v117, v36, v42 op_sel_hi:[1,0,1]
	s_delay_alu instid0(VALU_DEP_2)
	v_pk_fma_f16 v47, v116, v32, v47 op_sel_hi:[1,0,1]
	v_pk_fma_f16 v43, v116, v36, v43 op_sel_hi:[1,0,1]
	v_add_co_u32 v116, vcc_lo, v111, s4
	v_add_co_ci_u32_e32 v117, vcc_lo, 0, v245, vcc_lo
	v_add_co_u32 v203, vcc_lo, v109, s4
	v_add_co_ci_u32_e32 v204, vcc_lo, 0, v110, vcc_lo
	global_load_b32 v116, v[116:117], off
	global_load_b32 v118, v[203:204], off
	s_waitcnt vmcnt(0)
	v_ashrrev_i32_e32 v118, v202, v118
	s_delay_alu instid0(VALU_DEP_1) | instskip(SKIP_3) | instid1(VALU_DEP_4)
	v_lshrrev_b32_e32 v120, 8, v118
	v_and_b32_e32 v119, 15, v118
	v_lshrrev_b32_e32 v121, 16, v118
	v_bfe_u32 v118, v118, 24, 4
	v_and_b32_e32 v120, 15, v120
	s_delay_alu instid0(VALU_DEP_4) | instskip(NEXT) | instid1(VALU_DEP_4)
	v_cvt_f16_u16_e32 v117, v119
	v_and_b32_e32 v121, 15, v121
	s_delay_alu instid0(VALU_DEP_4) | instskip(NEXT) | instid1(VALU_DEP_4)
	v_cvt_f16_u16_e32 v118, v118
	v_cvt_f16_u16_e32 v119, v120
	s_delay_alu instid0(VALU_DEP_1) | instskip(NEXT) | instid1(VALU_DEP_4)
	v_pack_b32_f16 v117, v117, v119
	v_cvt_f16_u16_e32 v119, v121
	s_delay_alu instid0(VALU_DEP_2) | instskip(NEXT) | instid1(VALU_DEP_2)
	v_pk_fma_f16 v117, v116, v117, v116 op_sel:[0,0,1] op_sel_hi:[0,1,1]
	v_pack_b32_f16 v118, v119, v118
	s_delay_alu instid0(VALU_DEP_2) | instskip(NEXT) | instid1(VALU_DEP_2)
	v_pk_fma_f16 v44, v117, v32, v44 op_sel:[0,1,0]
	v_pk_fma_f16 v116, v116, v118, v116 op_sel:[0,0,1] op_sel_hi:[0,1,1]
	v_pk_fma_f16 v40, v117, v36, v40 op_sel:[0,1,0]
	s_delay_alu instid0(VALU_DEP_2)
	v_pk_fma_f16 v45, v116, v32, v45 op_sel:[0,1,0]
	v_pk_fma_f16 v41, v116, v36, v41 op_sel:[0,1,0]
	v_add_co_u32 v116, vcc_lo, v108, s4
	v_add_co_ci_u32_e32 v117, vcc_lo, 0, v244, vcc_lo
	v_add_co_u32 v203, vcc_lo, v106, s4
	v_add_co_ci_u32_e32 v204, vcc_lo, 0, v107, vcc_lo
	global_load_b32 v116, v[116:117], off
	ds_store_b128 v124, v[44:47]
	ds_store_b128 v124, v[40:43] offset:16
	global_load_b32 v118, v[203:204], off
	s_waitcnt vmcnt(0)
	v_ashrrev_i32_e32 v118, v202, v118
	s_delay_alu instid0(VALU_DEP_1) | instskip(SKIP_3) | instid1(VALU_DEP_4)
	v_lshrrev_b32_e32 v120, 8, v118
	v_and_b32_e32 v119, 15, v118
	v_lshrrev_b32_e32 v121, 16, v118
	v_bfe_u32 v118, v118, 24, 4
	v_and_b32_e32 v120, 15, v120
	s_delay_alu instid0(VALU_DEP_4) | instskip(NEXT) | instid1(VALU_DEP_4)
	v_cvt_f16_u16_e32 v117, v119
	v_and_b32_e32 v121, 15, v121
	s_delay_alu instid0(VALU_DEP_4) | instskip(NEXT) | instid1(VALU_DEP_4)
	v_cvt_f16_u16_e32 v118, v118
	v_cvt_f16_u16_e32 v119, v120
	s_delay_alu instid0(VALU_DEP_1) | instskip(NEXT) | instid1(VALU_DEP_4)
	v_pack_b32_f16 v117, v117, v119
	v_cvt_f16_u16_e32 v119, v121
	s_delay_alu instid0(VALU_DEP_2) | instskip(NEXT) | instid1(VALU_DEP_2)
	v_pk_fma_f16 v117, v116, v117, v116 op_sel:[0,0,1] op_sel_hi:[0,1,1]
	v_pack_b32_f16 v118, v119, v118
	s_delay_alu instid0(VALU_DEP_2) | instskip(NEXT) | instid1(VALU_DEP_2)
	v_pk_fma_f16 v46, v117, v32, v46 op_sel:[0,1,0]
	v_pk_fma_f16 v116, v116, v118, v116 op_sel:[0,0,1] op_sel_hi:[0,1,1]
	v_pk_fma_f16 v42, v117, v36, v42 op_sel:[0,1,0]
	s_delay_alu instid0(VALU_DEP_2)
	v_pk_fma_f16 v47, v116, v32, v47 op_sel:[0,1,0]
	v_pk_fma_f16 v43, v116, v36, v43 op_sel:[0,1,0]
	v_add_co_u32 v116, vcc_lo, v105, s4
	v_add_co_ci_u32_e32 v117, vcc_lo, 0, v243, vcc_lo
	v_add_co_u32 v203, vcc_lo, v103, s4
	v_add_co_ci_u32_e32 v204, vcc_lo, 0, v104, vcc_lo
	global_load_b32 v116, v[116:117], off
	global_load_b32 v32, v[203:204], off
	s_waitcnt vmcnt(0)
	v_ashrrev_i32_e32 v32, v202, v32
	s_delay_alu instid0(VALU_DEP_1) | instskip(SKIP_3) | instid1(VALU_DEP_4)
	v_lshrrev_b32_e32 v118, 8, v32
	v_and_b32_e32 v36, 15, v32
	v_lshrrev_b32_e32 v119, 16, v32
	v_bfe_u32 v32, v32, 24, 4
	v_and_b32_e32 v118, 15, v118
	s_delay_alu instid0(VALU_DEP_4) | instskip(NEXT) | instid1(VALU_DEP_4)
	v_cvt_f16_u16_e32 v36, v36
	v_and_b32_e32 v119, 15, v119
	s_delay_alu instid0(VALU_DEP_4) | instskip(NEXT) | instid1(VALU_DEP_4)
	v_cvt_f16_u16_e32 v32, v32
	v_cvt_f16_u16_e32 v117, v118
	s_delay_alu instid0(VALU_DEP_1) | instskip(NEXT) | instid1(VALU_DEP_4)
	v_pack_b32_f16 v36, v36, v117
	v_cvt_f16_u16_e32 v117, v119
	s_delay_alu instid0(VALU_DEP_2) | instskip(NEXT) | instid1(VALU_DEP_2)
	v_pk_fma_f16 v36, v116, v36, v116 op_sel:[0,0,1] op_sel_hi:[0,1,1]
	v_pack_b32_f16 v32, v117, v32
	s_delay_alu instid0(VALU_DEP_2) | instskip(NEXT) | instid1(VALU_DEP_2)
	v_pk_fma_f16 v44, v36, v33, v44 op_sel_hi:[1,0,1]
	v_pk_fma_f16 v32, v116, v32, v116 op_sel:[0,0,1] op_sel_hi:[0,1,1]
	v_add_co_u32 v116, vcc_lo, v102, s4
	v_add_co_ci_u32_e32 v117, vcc_lo, 0, v242, vcc_lo
	v_add_co_u32 v203, vcc_lo, v100, s4
	v_add_co_ci_u32_e32 v204, vcc_lo, 0, v101, vcc_lo
	v_pk_fma_f16 v45, v32, v33, v45 op_sel_hi:[1,0,1]
	v_pk_fma_f16 v41, v32, v37, v41 op_sel_hi:[1,0,1]
	global_load_b32 v116, v[116:117], off
	global_load_b32 v32, v[203:204], off
	v_pk_fma_f16 v40, v36, v37, v40 op_sel_hi:[1,0,1]
	ds_store_b128 v124, v[44:47]
	ds_store_b128 v124, v[40:43] offset:16
	s_waitcnt vmcnt(0)
	v_ashrrev_i32_e32 v32, v202, v32
	s_delay_alu instid0(VALU_DEP_1) | instskip(SKIP_3) | instid1(VALU_DEP_4)
	v_lshrrev_b32_e32 v118, 8, v32
	v_and_b32_e32 v36, 15, v32
	v_lshrrev_b32_e32 v119, 16, v32
	v_bfe_u32 v32, v32, 24, 4
	v_and_b32_e32 v118, 15, v118
	s_delay_alu instid0(VALU_DEP_4) | instskip(NEXT) | instid1(VALU_DEP_4)
	v_cvt_f16_u16_e32 v36, v36
	v_and_b32_e32 v119, 15, v119
	s_delay_alu instid0(VALU_DEP_4) | instskip(NEXT) | instid1(VALU_DEP_4)
	v_cvt_f16_u16_e32 v32, v32
	v_cvt_f16_u16_e32 v117, v118
	s_delay_alu instid0(VALU_DEP_1) | instskip(NEXT) | instid1(VALU_DEP_4)
	v_pack_b32_f16 v36, v36, v117
	v_cvt_f16_u16_e32 v117, v119
	s_delay_alu instid0(VALU_DEP_2) | instskip(NEXT) | instid1(VALU_DEP_2)
	v_pk_fma_f16 v36, v116, v36, v116 op_sel:[0,0,1] op_sel_hi:[0,1,1]
	v_pack_b32_f16 v32, v117, v32
	s_delay_alu instid0(VALU_DEP_2) | instskip(NEXT) | instid1(VALU_DEP_2)
	v_pk_fma_f16 v46, v36, v33, v46 op_sel_hi:[1,0,1]
	v_pk_fma_f16 v32, v116, v32, v116 op_sel:[0,0,1] op_sel_hi:[0,1,1]
	v_add_co_u32 v116, vcc_lo, v99, s4
	v_add_co_ci_u32_e32 v117, vcc_lo, 0, v241, vcc_lo
	v_add_co_u32 v203, vcc_lo, v239, s4
	v_add_co_ci_u32_e32 v204, vcc_lo, 0, v98, vcc_lo
	v_pk_fma_f16 v47, v32, v33, v47 op_sel_hi:[1,0,1]
	v_pk_fma_f16 v43, v32, v37, v43 op_sel_hi:[1,0,1]
	global_load_b32 v116, v[116:117], off
	global_load_b32 v32, v[203:204], off
	v_pk_fma_f16 v42, v36, v37, v42 op_sel_hi:[1,0,1]
	s_waitcnt vmcnt(0)
	v_ashrrev_i32_e32 v32, v202, v32
	s_delay_alu instid0(VALU_DEP_1) | instskip(SKIP_3) | instid1(VALU_DEP_4)
	v_lshrrev_b32_e32 v118, 8, v32
	v_and_b32_e32 v36, 15, v32
	v_lshrrev_b32_e32 v119, 16, v32
	v_bfe_u32 v32, v32, 24, 4
	v_and_b32_e32 v118, 15, v118
	s_delay_alu instid0(VALU_DEP_4) | instskip(NEXT) | instid1(VALU_DEP_4)
	v_cvt_f16_u16_e32 v36, v36
	v_and_b32_e32 v119, 15, v119
	s_delay_alu instid0(VALU_DEP_4) | instskip(NEXT) | instid1(VALU_DEP_4)
	v_cvt_f16_u16_e32 v32, v32
	v_cvt_f16_u16_e32 v117, v118
	s_delay_alu instid0(VALU_DEP_1) | instskip(NEXT) | instid1(VALU_DEP_4)
	v_pack_b32_f16 v36, v36, v117
	v_cvt_f16_u16_e32 v117, v119
	s_delay_alu instid0(VALU_DEP_2) | instskip(NEXT) | instid1(VALU_DEP_2)
	v_pk_fma_f16 v36, v116, v36, v116 op_sel:[0,0,1] op_sel_hi:[0,1,1]
	v_pack_b32_f16 v32, v117, v32
	s_delay_alu instid0(VALU_DEP_2) | instskip(NEXT) | instid1(VALU_DEP_2)
	v_pk_fma_f16 v44, v36, v33, v44 op_sel:[0,1,0]
	v_pk_fma_f16 v32, v116, v32, v116 op_sel:[0,0,1] op_sel_hi:[0,1,1]
	v_add_co_u32 v116, vcc_lo, v96, s4
	v_add_co_ci_u32_e32 v117, vcc_lo, 0, v240, vcc_lo
	v_add_co_u32 v203, vcc_lo, v51, s4
	v_add_co_ci_u32_e32 v204, vcc_lo, 0, v95, vcc_lo
	v_pk_fma_f16 v45, v32, v33, v45 op_sel:[0,1,0]
	v_pk_fma_f16 v41, v32, v37, v41 op_sel:[0,1,0]
	global_load_b32 v116, v[116:117], off
	global_load_b32 v32, v[203:204], off
	v_pk_fma_f16 v40, v36, v37, v40 op_sel:[0,1,0]
	ds_store_b128 v124, v[44:47]
	ds_store_b128 v124, v[40:43] offset:16
	s_waitcnt vmcnt(0)
	v_ashrrev_i32_e32 v32, v202, v32
	s_delay_alu instid0(VALU_DEP_1) | instskip(SKIP_3) | instid1(VALU_DEP_4)
	v_lshrrev_b32_e32 v118, 8, v32
	v_and_b32_e32 v36, 15, v32
	v_lshrrev_b32_e32 v119, 16, v32
	v_bfe_u32 v32, v32, 24, 4
	v_and_b32_e32 v118, 15, v118
	s_delay_alu instid0(VALU_DEP_4) | instskip(NEXT) | instid1(VALU_DEP_4)
	v_cvt_f16_u16_e32 v36, v36
	v_and_b32_e32 v119, 15, v119
	s_delay_alu instid0(VALU_DEP_4) | instskip(NEXT) | instid1(VALU_DEP_4)
	v_cvt_f16_u16_e32 v32, v32
	v_cvt_f16_u16_e32 v117, v118
	s_delay_alu instid0(VALU_DEP_1) | instskip(NEXT) | instid1(VALU_DEP_4)
	v_pack_b32_f16 v36, v36, v117
	v_cvt_f16_u16_e32 v117, v119
	s_delay_alu instid0(VALU_DEP_2) | instskip(NEXT) | instid1(VALU_DEP_2)
	v_pk_fma_f16 v36, v116, v36, v116 op_sel:[0,0,1] op_sel_hi:[0,1,1]
	v_pack_b32_f16 v32, v117, v32
	s_delay_alu instid0(VALU_DEP_2) | instskip(NEXT) | instid1(VALU_DEP_2)
	v_pk_fma_f16 v46, v36, v33, v46 op_sel:[0,1,0]
	v_pk_fma_f16 v32, v116, v32, v116 op_sel:[0,0,1] op_sel_hi:[0,1,1]
	v_pk_fma_f16 v42, v36, v37, v42 op_sel:[0,1,0]
	s_delay_alu instid0(VALU_DEP_2)
	v_pk_fma_f16 v47, v32, v33, v47 op_sel:[0,1,0]
	v_pk_fma_f16 v43, v32, v37, v43 op_sel:[0,1,0]
	v_add_co_u32 v32, vcc_lo, v93, s4
	v_add_co_ci_u32_e32 v33, vcc_lo, 0, v237, vcc_lo
	v_add_co_u32 v36, vcc_lo, v59, s4
	v_add_co_ci_u32_e32 v37, vcc_lo, 0, v92, vcc_lo
	global_load_b32 v32, v[32:33], off
	global_load_b32 v36, v[36:37], off
	s_waitcnt vmcnt(0)
	v_ashrrev_i32_e32 v36, v202, v36
	s_delay_alu instid0(VALU_DEP_1) | instskip(SKIP_3) | instid1(VALU_DEP_4)
	v_lshrrev_b32_e32 v116, 8, v36
	v_and_b32_e32 v37, 15, v36
	v_lshrrev_b32_e32 v117, 16, v36
	v_bfe_u32 v36, v36, 24, 4
	v_and_b32_e32 v116, 15, v116
	s_delay_alu instid0(VALU_DEP_4) | instskip(NEXT) | instid1(VALU_DEP_4)
	v_cvt_f16_u16_e32 v33, v37
	v_and_b32_e32 v117, 15, v117
	s_delay_alu instid0(VALU_DEP_4) | instskip(NEXT) | instid1(VALU_DEP_4)
	v_cvt_f16_u16_e32 v36, v36
	v_cvt_f16_u16_e32 v37, v116
	s_delay_alu instid0(VALU_DEP_1) | instskip(NEXT) | instid1(VALU_DEP_4)
	v_pack_b32_f16 v33, v33, v37
	v_cvt_f16_u16_e32 v37, v117
	s_delay_alu instid0(VALU_DEP_2) | instskip(NEXT) | instid1(VALU_DEP_2)
	v_pk_fma_f16 v33, v32, v33, v32 op_sel:[0,0,1] op_sel_hi:[0,1,1]
	v_pack_b32_f16 v36, v37, v36
	s_delay_alu instid0(VALU_DEP_2) | instskip(NEXT) | instid1(VALU_DEP_2)
	v_pk_fma_f16 v44, v33, v34, v44 op_sel_hi:[1,0,1]
	v_pk_fma_f16 v32, v32, v36, v32 op_sel:[0,0,1] op_sel_hi:[0,1,1]
	v_pk_fma_f16 v40, v33, v38, v40 op_sel_hi:[1,0,1]
	s_delay_alu instid0(VALU_DEP_2)
	v_pk_fma_f16 v45, v32, v34, v45 op_sel_hi:[1,0,1]
	v_pk_fma_f16 v41, v32, v38, v41 op_sel_hi:[1,0,1]
	v_add_co_u32 v32, vcc_lo, v90, s4
	v_add_co_ci_u32_e32 v33, vcc_lo, 0, v236, vcc_lo
	v_add_co_u32 v36, vcc_lo, v89, s4
	v_add_co_ci_u32_e32 v37, vcc_lo, 0, v235, vcc_lo
	global_load_b32 v32, v[32:33], off
	ds_store_b128 v124, v[44:47]
	ds_store_b128 v124, v[40:43] offset:16
	global_load_b32 v36, v[36:37], off
	s_waitcnt vmcnt(0)
	v_ashrrev_i32_e32 v36, v202, v36
	s_delay_alu instid0(VALU_DEP_1) | instskip(SKIP_3) | instid1(VALU_DEP_4)
	v_lshrrev_b32_e32 v116, 8, v36
	v_and_b32_e32 v37, 15, v36
	v_lshrrev_b32_e32 v117, 16, v36
	v_bfe_u32 v36, v36, 24, 4
	v_and_b32_e32 v116, 15, v116
	s_delay_alu instid0(VALU_DEP_4) | instskip(NEXT) | instid1(VALU_DEP_4)
	v_cvt_f16_u16_e32 v33, v37
	v_and_b32_e32 v117, 15, v117
	s_delay_alu instid0(VALU_DEP_4) | instskip(NEXT) | instid1(VALU_DEP_4)
	v_cvt_f16_u16_e32 v36, v36
	v_cvt_f16_u16_e32 v37, v116
	s_delay_alu instid0(VALU_DEP_1) | instskip(NEXT) | instid1(VALU_DEP_4)
	v_pack_b32_f16 v33, v33, v37
	v_cvt_f16_u16_e32 v37, v117
	s_delay_alu instid0(VALU_DEP_2) | instskip(NEXT) | instid1(VALU_DEP_2)
	v_pk_fma_f16 v33, v32, v33, v32 op_sel:[0,0,1] op_sel_hi:[0,1,1]
	v_pack_b32_f16 v36, v37, v36
	s_delay_alu instid0(VALU_DEP_2) | instskip(NEXT) | instid1(VALU_DEP_2)
	v_pk_fma_f16 v46, v33, v34, v46 op_sel_hi:[1,0,1]
	v_pk_fma_f16 v32, v32, v36, v32 op_sel:[0,0,1] op_sel_hi:[0,1,1]
	v_pk_fma_f16 v42, v33, v38, v42 op_sel_hi:[1,0,1]
	s_delay_alu instid0(VALU_DEP_2)
	v_pk_fma_f16 v47, v32, v34, v47 op_sel_hi:[1,0,1]
	v_pk_fma_f16 v43, v32, v38, v43 op_sel_hi:[1,0,1]
	v_add_co_u32 v32, vcc_lo, v88, s4
	v_add_co_ci_u32_e32 v33, vcc_lo, 0, v234, vcc_lo
	v_add_co_u32 v36, vcc_lo, v87, s4
	v_add_co_ci_u32_e32 v37, vcc_lo, 0, v233, vcc_lo
	global_load_b32 v32, v[32:33], off
	global_load_b32 v36, v[36:37], off
	s_waitcnt vmcnt(0)
	v_ashrrev_i32_e32 v36, v202, v36
	s_delay_alu instid0(VALU_DEP_1) | instskip(SKIP_3) | instid1(VALU_DEP_4)
	v_lshrrev_b32_e32 v116, 8, v36
	v_and_b32_e32 v37, 15, v36
	v_lshrrev_b32_e32 v117, 16, v36
	v_bfe_u32 v36, v36, 24, 4
	v_and_b32_e32 v116, 15, v116
	s_delay_alu instid0(VALU_DEP_4) | instskip(NEXT) | instid1(VALU_DEP_4)
	v_cvt_f16_u16_e32 v33, v37
	v_and_b32_e32 v117, 15, v117
	s_delay_alu instid0(VALU_DEP_4) | instskip(NEXT) | instid1(VALU_DEP_4)
	v_cvt_f16_u16_e32 v36, v36
	v_cvt_f16_u16_e32 v37, v116
	s_delay_alu instid0(VALU_DEP_1) | instskip(NEXT) | instid1(VALU_DEP_4)
	v_pack_b32_f16 v33, v33, v37
	v_cvt_f16_u16_e32 v37, v117
	s_delay_alu instid0(VALU_DEP_2) | instskip(NEXT) | instid1(VALU_DEP_2)
	v_pk_fma_f16 v33, v32, v33, v32 op_sel:[0,0,1] op_sel_hi:[0,1,1]
	v_pack_b32_f16 v36, v37, v36
	s_delay_alu instid0(VALU_DEP_2) | instskip(NEXT) | instid1(VALU_DEP_2)
	v_pk_fma_f16 v44, v33, v34, v44 op_sel:[0,1,0]
	v_pk_fma_f16 v32, v32, v36, v32 op_sel:[0,0,1] op_sel_hi:[0,1,1]
	v_pk_fma_f16 v40, v33, v38, v40 op_sel:[0,1,0]
	s_delay_alu instid0(VALU_DEP_2)
	v_pk_fma_f16 v45, v32, v34, v45 op_sel:[0,1,0]
	v_pk_fma_f16 v41, v32, v38, v41 op_sel:[0,1,0]
	v_add_co_u32 v32, vcc_lo, v86, s4
	v_add_co_ci_u32_e32 v33, vcc_lo, 0, v232, vcc_lo
	v_add_co_u32 v36, vcc_lo, v85, s4
	v_add_co_ci_u32_e32 v37, vcc_lo, 0, v231, vcc_lo
	global_load_b32 v32, v[32:33], off
	ds_store_b128 v124, v[44:47]
	ds_store_b128 v124, v[40:43] offset:16
	global_load_b32 v36, v[36:37], off
	s_waitcnt vmcnt(0)
	v_ashrrev_i32_e32 v36, v202, v36
	s_delay_alu instid0(VALU_DEP_1) | instskip(SKIP_3) | instid1(VALU_DEP_4)
	v_lshrrev_b32_e32 v116, 8, v36
	v_and_b32_e32 v37, 15, v36
	v_lshrrev_b32_e32 v117, 16, v36
	v_bfe_u32 v36, v36, 24, 4
	v_and_b32_e32 v116, 15, v116
	s_delay_alu instid0(VALU_DEP_4) | instskip(NEXT) | instid1(VALU_DEP_4)
	v_cvt_f16_u16_e32 v33, v37
	v_and_b32_e32 v117, 15, v117
	s_delay_alu instid0(VALU_DEP_4) | instskip(NEXT) | instid1(VALU_DEP_4)
	v_cvt_f16_u16_e32 v36, v36
	v_cvt_f16_u16_e32 v37, v116
	s_delay_alu instid0(VALU_DEP_1) | instskip(NEXT) | instid1(VALU_DEP_4)
	v_pack_b32_f16 v33, v33, v37
	v_cvt_f16_u16_e32 v37, v117
	s_delay_alu instid0(VALU_DEP_2) | instskip(NEXT) | instid1(VALU_DEP_2)
	v_pk_fma_f16 v33, v32, v33, v32 op_sel:[0,0,1] op_sel_hi:[0,1,1]
	v_pack_b32_f16 v36, v37, v36
	s_delay_alu instid0(VALU_DEP_2) | instskip(NEXT) | instid1(VALU_DEP_2)
	v_pk_fma_f16 v46, v33, v34, v46 op_sel:[0,1,0]
	v_pk_fma_f16 v32, v32, v36, v32 op_sel:[0,0,1] op_sel_hi:[0,1,1]
	v_pk_fma_f16 v42, v33, v38, v42 op_sel:[0,1,0]
	s_delay_alu instid0(VALU_DEP_2)
	v_pk_fma_f16 v47, v32, v34, v47 op_sel:[0,1,0]
	v_pk_fma_f16 v43, v32, v38, v43 op_sel:[0,1,0]
	v_add_co_u32 v32, vcc_lo, v84, s4
	v_add_co_ci_u32_e32 v33, vcc_lo, 0, v230, vcc_lo
	v_add_co_u32 v36, vcc_lo, v83, s4
	v_add_co_ci_u32_e32 v37, vcc_lo, 0, v229, vcc_lo
	global_load_b32 v32, v[32:33], off
	global_load_b32 v34, v[36:37], off
	s_waitcnt vmcnt(0)
	v_ashrrev_i32_e32 v34, v202, v34
	s_delay_alu instid0(VALU_DEP_1) | instskip(SKIP_3) | instid1(VALU_DEP_4)
	v_lshrrev_b32_e32 v37, 8, v34
	v_and_b32_e32 v36, 15, v34
	v_lshrrev_b32_e32 v38, 16, v34
	v_bfe_u32 v34, v34, 24, 4
	v_and_b32_e32 v37, 15, v37
	s_delay_alu instid0(VALU_DEP_4) | instskip(NEXT) | instid1(VALU_DEP_4)
	v_cvt_f16_u16_e32 v33, v36
	v_and_b32_e32 v38, 15, v38
	s_delay_alu instid0(VALU_DEP_4) | instskip(NEXT) | instid1(VALU_DEP_4)
	v_cvt_f16_u16_e32 v34, v34
	v_cvt_f16_u16_e32 v36, v37
	s_delay_alu instid0(VALU_DEP_1) | instskip(NEXT) | instid1(VALU_DEP_4)
	v_pack_b32_f16 v33, v33, v36
	v_cvt_f16_u16_e32 v36, v38
	s_delay_alu instid0(VALU_DEP_2) | instskip(NEXT) | instid1(VALU_DEP_2)
	v_pk_fma_f16 v33, v32, v33, v32 op_sel:[0,0,1] op_sel_hi:[0,1,1]
	v_pack_b32_f16 v34, v36, v34
	s_delay_alu instid0(VALU_DEP_2) | instskip(NEXT) | instid1(VALU_DEP_2)
	v_pk_fma_f16 v44, v33, v35, v44 op_sel_hi:[1,0,1]
	v_pk_fma_f16 v32, v32, v34, v32 op_sel:[0,0,1] op_sel_hi:[0,1,1]
	v_pk_fma_f16 v40, v33, v39, v40 op_sel_hi:[1,0,1]
	s_delay_alu instid0(VALU_DEP_2)
	v_pk_fma_f16 v45, v32, v35, v45 op_sel_hi:[1,0,1]
	v_pk_fma_f16 v41, v32, v39, v41 op_sel_hi:[1,0,1]
	v_add_co_u32 v32, vcc_lo, v82, s4
	v_add_co_ci_u32_e32 v33, vcc_lo, 0, v228, vcc_lo
	v_add_co_u32 v36, vcc_lo, v81, s4
	v_add_co_ci_u32_e32 v37, vcc_lo, 0, v227, vcc_lo
	global_load_b32 v32, v[32:33], off
	ds_store_b128 v124, v[44:47]
	ds_store_b128 v124, v[40:43] offset:16
	global_load_b32 v34, v[36:37], off
	s_waitcnt vmcnt(0)
	v_ashrrev_i32_e32 v34, v202, v34
	s_delay_alu instid0(VALU_DEP_1) | instskip(SKIP_3) | instid1(VALU_DEP_4)
	v_lshrrev_b32_e32 v37, 8, v34
	v_and_b32_e32 v36, 15, v34
	v_lshrrev_b32_e32 v38, 16, v34
	v_bfe_u32 v34, v34, 24, 4
	v_and_b32_e32 v37, 15, v37
	s_delay_alu instid0(VALU_DEP_4) | instskip(NEXT) | instid1(VALU_DEP_4)
	v_cvt_f16_u16_e32 v33, v36
	v_and_b32_e32 v38, 15, v38
	s_delay_alu instid0(VALU_DEP_4) | instskip(NEXT) | instid1(VALU_DEP_4)
	v_cvt_f16_u16_e32 v34, v34
	v_cvt_f16_u16_e32 v36, v37
	s_delay_alu instid0(VALU_DEP_1) | instskip(NEXT) | instid1(VALU_DEP_4)
	v_pack_b32_f16 v33, v33, v36
	v_cvt_f16_u16_e32 v36, v38
	s_delay_alu instid0(VALU_DEP_2) | instskip(NEXT) | instid1(VALU_DEP_2)
	v_pk_fma_f16 v33, v32, v33, v32 op_sel:[0,0,1] op_sel_hi:[0,1,1]
	v_pack_b32_f16 v34, v36, v34
	s_delay_alu instid0(VALU_DEP_2) | instskip(NEXT) | instid1(VALU_DEP_2)
	v_pk_fma_f16 v46, v33, v35, v46 op_sel_hi:[1,0,1]
	v_pk_fma_f16 v32, v32, v34, v32 op_sel:[0,0,1] op_sel_hi:[0,1,1]
	v_pk_fma_f16 v42, v33, v39, v42 op_sel_hi:[1,0,1]
	s_delay_alu instid0(VALU_DEP_2)
	v_pk_fma_f16 v47, v32, v35, v47 op_sel_hi:[1,0,1]
	v_pk_fma_f16 v43, v32, v39, v43 op_sel_hi:[1,0,1]
	v_add_co_u32 v32, vcc_lo, v80, s4
	v_add_co_ci_u32_e32 v33, vcc_lo, 0, v226, vcc_lo
	v_add_co_u32 v36, vcc_lo, v79, s4
	v_add_co_ci_u32_e32 v37, vcc_lo, 0, v225, vcc_lo
	global_load_b32 v32, v[32:33], off
	global_load_b32 v34, v[36:37], off
	s_waitcnt vmcnt(0)
	v_ashrrev_i32_e32 v34, v202, v34
	s_delay_alu instid0(VALU_DEP_1) | instskip(SKIP_3) | instid1(VALU_DEP_4)
	v_lshrrev_b32_e32 v37, 8, v34
	v_and_b32_e32 v36, 15, v34
	v_lshrrev_b32_e32 v38, 16, v34
	v_bfe_u32 v34, v34, 24, 4
	v_and_b32_e32 v37, 15, v37
	s_delay_alu instid0(VALU_DEP_4) | instskip(NEXT) | instid1(VALU_DEP_4)
	v_cvt_f16_u16_e32 v33, v36
	v_and_b32_e32 v38, 15, v38
	s_delay_alu instid0(VALU_DEP_4) | instskip(NEXT) | instid1(VALU_DEP_4)
	v_cvt_f16_u16_e32 v34, v34
	v_cvt_f16_u16_e32 v36, v37
	s_delay_alu instid0(VALU_DEP_1) | instskip(NEXT) | instid1(VALU_DEP_4)
	v_pack_b32_f16 v33, v33, v36
	v_cvt_f16_u16_e32 v36, v38
	s_delay_alu instid0(VALU_DEP_2) | instskip(NEXT) | instid1(VALU_DEP_2)
	v_pk_fma_f16 v33, v32, v33, v32 op_sel:[0,0,1] op_sel_hi:[0,1,1]
	v_pack_b32_f16 v34, v36, v34
	s_delay_alu instid0(VALU_DEP_2) | instskip(NEXT) | instid1(VALU_DEP_2)
	v_pk_fma_f16 v44, v33, v35, v44 op_sel:[0,1,0]
	v_pk_fma_f16 v32, v32, v34, v32 op_sel:[0,0,1] op_sel_hi:[0,1,1]
	v_pk_fma_f16 v40, v33, v39, v40 op_sel:[0,1,0]
	s_delay_alu instid0(VALU_DEP_2)
	v_pk_fma_f16 v45, v32, v35, v45 op_sel:[0,1,0]
	v_pk_fma_f16 v41, v32, v39, v41 op_sel:[0,1,0]
	v_add_co_u32 v32, vcc_lo, v78, s4
	v_add_co_ci_u32_e32 v33, vcc_lo, 0, v224, vcc_lo
	v_add_co_u32 v36, vcc_lo, v222, s4
	v_add_co_ci_u32_e32 v37, vcc_lo, 0, v223, vcc_lo
	global_load_b32 v32, v[32:33], off
	ds_store_b128 v124, v[44:47]
	ds_store_b128 v124, v[40:43] offset:16
	global_load_b32 v34, v[36:37], off
	v_add_co_u32 v116, vcc_lo, v220, s4
	v_add_co_ci_u32_e32 v117, vcc_lo, 0, v221, vcc_lo
	s_waitcnt vmcnt(0)
	v_ashrrev_i32_e32 v34, v202, v34
	s_delay_alu instid0(VALU_DEP_1) | instskip(SKIP_3) | instid1(VALU_DEP_4)
	v_lshrrev_b32_e32 v37, 8, v34
	v_and_b32_e32 v36, 15, v34
	v_lshrrev_b32_e32 v38, 16, v34
	v_bfe_u32 v34, v34, 24, 4
	v_and_b32_e32 v37, 15, v37
	s_delay_alu instid0(VALU_DEP_4) | instskip(NEXT) | instid1(VALU_DEP_4)
	v_cvt_f16_u16_e32 v33, v36
	v_and_b32_e32 v38, 15, v38
	s_delay_alu instid0(VALU_DEP_4) | instskip(NEXT) | instid1(VALU_DEP_4)
	v_cvt_f16_u16_e32 v34, v34
	v_cvt_f16_u16_e32 v36, v37
	s_delay_alu instid0(VALU_DEP_1) | instskip(NEXT) | instid1(VALU_DEP_4)
	v_pack_b32_f16 v33, v33, v36
	v_cvt_f16_u16_e32 v36, v38
	s_delay_alu instid0(VALU_DEP_2) | instskip(NEXT) | instid1(VALU_DEP_2)
	v_pk_fma_f16 v33, v32, v33, v32 op_sel:[0,0,1] op_sel_hi:[0,1,1]
	v_pack_b32_f16 v34, v36, v34
	s_delay_alu instid0(VALU_DEP_2) | instskip(NEXT) | instid1(VALU_DEP_2)
	v_pk_fma_f16 v46, v33, v35, v46 op_sel:[0,1,0]
	v_pk_fma_f16 v32, v32, v34, v32 op_sel:[0,0,1] op_sel_hi:[0,1,1]
	v_pk_fma_f16 v42, v33, v39, v42 op_sel:[0,1,0]
	s_delay_alu instid0(VALU_DEP_2)
	v_pk_fma_f16 v47, v32, v35, v47 op_sel:[0,1,0]
	v_pk_fma_f16 v43, v32, v39, v43 op_sel:[0,1,0]
	ds_load_b128 v[36:39], v48 offset:48
	ds_load_b128 v[32:35], v48 offset:304
	s_clause 0x3
	scratch_load_b32 v31, off, off offset:676
	scratch_load_b32 v30, off, off offset:672
	;; [unrolled: 1-line block ×4, first 2 shown]
	global_load_b32 v116, v[116:117], off
	s_clause 0x1a
	scratch_load_b32 v77, off, off offset:660
	scratch_load_b32 v27, off, off offset:656
	;; [unrolled: 1-line block ×27, first 2 shown]
	s_waitcnt vmcnt(31)
	v_add_co_u32 v203, vcc_lo, v31, s4
	s_waitcnt vmcnt(29)
	v_add_co_ci_u32_e32 v204, vcc_lo, 0, v28, vcc_lo
	global_load_b32 v118, v[203:204], off
	s_waitcnt vmcnt(0)
	v_ashrrev_i32_e32 v118, v202, v118
	s_delay_alu instid0(VALU_DEP_1) | instskip(SKIP_3) | instid1(VALU_DEP_4)
	v_lshrrev_b32_e32 v120, 8, v118
	v_and_b32_e32 v119, 15, v118
	v_lshrrev_b32_e32 v121, 16, v118
	v_bfe_u32 v118, v118, 24, 4
	v_and_b32_e32 v120, 15, v120
	s_delay_alu instid0(VALU_DEP_4) | instskip(NEXT) | instid1(VALU_DEP_4)
	v_cvt_f16_u16_e32 v117, v119
	v_and_b32_e32 v121, 15, v121
	s_delay_alu instid0(VALU_DEP_4) | instskip(NEXT) | instid1(VALU_DEP_4)
	v_cvt_f16_u16_e32 v118, v118
	v_cvt_f16_u16_e32 v119, v120
	s_delay_alu instid0(VALU_DEP_1) | instskip(NEXT) | instid1(VALU_DEP_4)
	v_pack_b32_f16 v117, v117, v119
	v_cvt_f16_u16_e32 v119, v121
	s_delay_alu instid0(VALU_DEP_2) | instskip(NEXT) | instid1(VALU_DEP_2)
	v_pk_fma_f16 v117, v116, v117, v116 op_sel:[0,0,1] op_sel_hi:[0,1,1]
	v_pack_b32_f16 v118, v119, v118
	s_waitcnt lgkmcnt(1)
	s_delay_alu instid0(VALU_DEP_2) | instskip(NEXT) | instid1(VALU_DEP_2)
	v_pk_fma_f16 v44, v117, v36, v44 op_sel_hi:[1,0,1]
	v_pk_fma_f16 v116, v116, v118, v116 op_sel:[0,0,1] op_sel_hi:[0,1,1]
	s_waitcnt lgkmcnt(0)
	v_pk_fma_f16 v40, v117, v32, v40 op_sel_hi:[1,0,1]
	s_delay_alu instid0(VALU_DEP_2)
	v_pk_fma_f16 v45, v116, v36, v45 op_sel_hi:[1,0,1]
	v_pk_fma_f16 v41, v116, v32, v41 op_sel_hi:[1,0,1]
	v_add_co_u32 v116, vcc_lo, v29, s4
	v_add_co_ci_u32_e32 v117, vcc_lo, 0, v30, vcc_lo
	v_add_co_u32 v203, vcc_lo, v77, s4
	v_add_co_ci_u32_e32 v204, vcc_lo, 0, v219, vcc_lo
	global_load_b32 v116, v[116:117], off
	ds_store_b128 v124, v[44:47]
	ds_store_b128 v124, v[40:43] offset:16
	global_load_b32 v118, v[203:204], off
	s_waitcnt vmcnt(0)
	v_ashrrev_i32_e32 v118, v202, v118
	s_delay_alu instid0(VALU_DEP_1) | instskip(SKIP_3) | instid1(VALU_DEP_4)
	v_lshrrev_b32_e32 v120, 8, v118
	v_and_b32_e32 v119, 15, v118
	v_lshrrev_b32_e32 v121, 16, v118
	v_bfe_u32 v118, v118, 24, 4
	v_and_b32_e32 v120, 15, v120
	s_delay_alu instid0(VALU_DEP_4) | instskip(NEXT) | instid1(VALU_DEP_4)
	v_cvt_f16_u16_e32 v117, v119
	v_and_b32_e32 v121, 15, v121
	s_delay_alu instid0(VALU_DEP_4) | instskip(NEXT) | instid1(VALU_DEP_4)
	v_cvt_f16_u16_e32 v118, v118
	v_cvt_f16_u16_e32 v119, v120
	s_delay_alu instid0(VALU_DEP_1) | instskip(NEXT) | instid1(VALU_DEP_4)
	v_pack_b32_f16 v117, v117, v119
	v_cvt_f16_u16_e32 v119, v121
	s_delay_alu instid0(VALU_DEP_2) | instskip(NEXT) | instid1(VALU_DEP_2)
	v_pk_fma_f16 v117, v116, v117, v116 op_sel:[0,0,1] op_sel_hi:[0,1,1]
	v_pack_b32_f16 v118, v119, v118
	s_delay_alu instid0(VALU_DEP_2) | instskip(NEXT) | instid1(VALU_DEP_2)
	v_pk_fma_f16 v46, v117, v36, v46 op_sel_hi:[1,0,1]
	v_pk_fma_f16 v116, v116, v118, v116 op_sel:[0,0,1] op_sel_hi:[0,1,1]
	v_pk_fma_f16 v42, v117, v32, v42 op_sel_hi:[1,0,1]
	s_delay_alu instid0(VALU_DEP_2)
	v_pk_fma_f16 v47, v116, v36, v47 op_sel_hi:[1,0,1]
	v_pk_fma_f16 v43, v116, v32, v43 op_sel_hi:[1,0,1]
	v_add_co_u32 v116, vcc_lo, v217, s4
	v_add_co_ci_u32_e32 v117, vcc_lo, 0, v218, vcc_lo
	v_add_co_u32 v203, vcc_lo, v215, s4
	v_add_co_ci_u32_e32 v204, vcc_lo, 0, v216, vcc_lo
	global_load_b32 v116, v[116:117], off
	global_load_b32 v118, v[203:204], off
	s_waitcnt vmcnt(0)
	v_ashrrev_i32_e32 v118, v202, v118
	s_delay_alu instid0(VALU_DEP_1) | instskip(SKIP_3) | instid1(VALU_DEP_4)
	v_lshrrev_b32_e32 v120, 8, v118
	v_and_b32_e32 v119, 15, v118
	v_lshrrev_b32_e32 v121, 16, v118
	v_bfe_u32 v118, v118, 24, 4
	v_and_b32_e32 v120, 15, v120
	s_delay_alu instid0(VALU_DEP_4) | instskip(NEXT) | instid1(VALU_DEP_4)
	v_cvt_f16_u16_e32 v117, v119
	v_and_b32_e32 v121, 15, v121
	s_delay_alu instid0(VALU_DEP_4) | instskip(NEXT) | instid1(VALU_DEP_4)
	v_cvt_f16_u16_e32 v118, v118
	v_cvt_f16_u16_e32 v119, v120
	s_delay_alu instid0(VALU_DEP_1) | instskip(NEXT) | instid1(VALU_DEP_4)
	v_pack_b32_f16 v117, v117, v119
	v_cvt_f16_u16_e32 v119, v121
	s_delay_alu instid0(VALU_DEP_2) | instskip(NEXT) | instid1(VALU_DEP_2)
	v_pk_fma_f16 v117, v116, v117, v116 op_sel:[0,0,1] op_sel_hi:[0,1,1]
	v_pack_b32_f16 v118, v119, v118
	s_delay_alu instid0(VALU_DEP_2) | instskip(NEXT) | instid1(VALU_DEP_2)
	v_pk_fma_f16 v44, v117, v36, v44 op_sel:[0,1,0]
	v_pk_fma_f16 v116, v116, v118, v116 op_sel:[0,0,1] op_sel_hi:[0,1,1]
	v_pk_fma_f16 v40, v117, v32, v40 op_sel:[0,1,0]
	s_delay_alu instid0(VALU_DEP_2)
	v_pk_fma_f16 v45, v116, v36, v45 op_sel:[0,1,0]
	v_pk_fma_f16 v41, v116, v32, v41 op_sel:[0,1,0]
	v_add_co_u32 v116, vcc_lo, v27, s4
	v_add_co_ci_u32_e32 v117, vcc_lo, 0, v24, vcc_lo
	v_add_co_u32 v203, vcc_lo, v25, s4
	v_add_co_ci_u32_e32 v204, vcc_lo, 0, v26, vcc_lo
	global_load_b32 v116, v[116:117], off
	ds_store_b128 v124, v[44:47]
	ds_store_b128 v124, v[40:43] offset:16
	global_load_b32 v118, v[203:204], off
	s_waitcnt vmcnt(0)
	v_ashrrev_i32_e32 v118, v202, v118
	s_delay_alu instid0(VALU_DEP_1) | instskip(SKIP_3) | instid1(VALU_DEP_4)
	v_lshrrev_b32_e32 v120, 8, v118
	v_and_b32_e32 v119, 15, v118
	v_lshrrev_b32_e32 v121, 16, v118
	v_bfe_u32 v118, v118, 24, 4
	v_and_b32_e32 v120, 15, v120
	s_delay_alu instid0(VALU_DEP_4) | instskip(NEXT) | instid1(VALU_DEP_4)
	v_cvt_f16_u16_e32 v117, v119
	v_and_b32_e32 v121, 15, v121
	s_delay_alu instid0(VALU_DEP_4) | instskip(NEXT) | instid1(VALU_DEP_4)
	v_cvt_f16_u16_e32 v118, v118
	v_cvt_f16_u16_e32 v119, v120
	scratch_load_b32 v120, off, off offset:580 ; 4-byte Folded Reload
	v_pack_b32_f16 v117, v117, v119
	v_cvt_f16_u16_e32 v119, v121
	scratch_load_b32 v121, off, off offset:584 ; 4-byte Folded Reload
	v_pk_fma_f16 v117, v116, v117, v116 op_sel:[0,0,1] op_sel_hi:[0,1,1]
	v_pack_b32_f16 v118, v119, v118
	s_delay_alu instid0(VALU_DEP_2) | instskip(NEXT) | instid1(VALU_DEP_2)
	v_pk_fma_f16 v46, v117, v36, v46 op_sel:[0,1,0]
	v_pk_fma_f16 v116, v116, v118, v116 op_sel:[0,0,1] op_sel_hi:[0,1,1]
	v_pk_fma_f16 v42, v117, v32, v42 op_sel:[0,1,0]
	s_delay_alu instid0(VALU_DEP_2)
	v_pk_fma_f16 v47, v116, v36, v47 op_sel:[0,1,0]
	v_pk_fma_f16 v43, v116, v32, v43 op_sel:[0,1,0]
	v_add_co_u32 v116, vcc_lo, v76, s4
	v_add_co_ci_u32_e32 v117, vcc_lo, 0, v214, vcc_lo
	v_add_co_u32 v203, vcc_lo, v75, s4
	v_add_co_ci_u32_e32 v204, vcc_lo, 0, v213, vcc_lo
	global_load_b32 v116, v[116:117], off
	global_load_b32 v32, v[203:204], off
	s_waitcnt vmcnt(0)
	v_ashrrev_i32_e32 v32, v202, v32
	s_delay_alu instid0(VALU_DEP_1) | instskip(SKIP_3) | instid1(VALU_DEP_4)
	v_lshrrev_b32_e32 v118, 8, v32
	v_and_b32_e32 v36, 15, v32
	v_lshrrev_b32_e32 v119, 16, v32
	v_bfe_u32 v32, v32, 24, 4
	v_and_b32_e32 v118, 15, v118
	s_delay_alu instid0(VALU_DEP_4) | instskip(NEXT) | instid1(VALU_DEP_4)
	v_cvt_f16_u16_e32 v36, v36
	v_and_b32_e32 v119, 15, v119
	s_delay_alu instid0(VALU_DEP_4) | instskip(NEXT) | instid1(VALU_DEP_4)
	v_cvt_f16_u16_e32 v32, v32
	v_cvt_f16_u16_e32 v117, v118
	s_delay_alu instid0(VALU_DEP_1) | instskip(NEXT) | instid1(VALU_DEP_4)
	v_pack_b32_f16 v36, v36, v117
	v_cvt_f16_u16_e32 v117, v119
	s_delay_alu instid0(VALU_DEP_2) | instskip(NEXT) | instid1(VALU_DEP_2)
	v_pk_fma_f16 v36, v116, v36, v116 op_sel:[0,0,1] op_sel_hi:[0,1,1]
	v_pack_b32_f16 v32, v117, v32
	s_delay_alu instid0(VALU_DEP_2) | instskip(NEXT) | instid1(VALU_DEP_2)
	v_pk_fma_f16 v44, v36, v37, v44 op_sel_hi:[1,0,1]
	v_pk_fma_f16 v32, v116, v32, v116 op_sel:[0,0,1] op_sel_hi:[0,1,1]
	v_add_co_u32 v116, vcc_lo, v74, s4
	v_add_co_ci_u32_e32 v117, vcc_lo, 0, v212, vcc_lo
	v_add_co_u32 v203, vcc_lo, v73, s4
	v_add_co_ci_u32_e32 v204, vcc_lo, 0, v211, vcc_lo
	v_pk_fma_f16 v45, v32, v37, v45 op_sel_hi:[1,0,1]
	v_pk_fma_f16 v41, v32, v33, v41 op_sel_hi:[1,0,1]
	global_load_b32 v116, v[116:117], off
	global_load_b32 v32, v[203:204], off
	v_pk_fma_f16 v40, v36, v33, v40 op_sel_hi:[1,0,1]
	ds_store_b128 v124, v[44:47]
	ds_store_b128 v124, v[40:43] offset:16
	s_waitcnt vmcnt(0)
	v_ashrrev_i32_e32 v32, v202, v32
	s_delay_alu instid0(VALU_DEP_1) | instskip(SKIP_3) | instid1(VALU_DEP_4)
	v_lshrrev_b32_e32 v118, 8, v32
	v_and_b32_e32 v36, 15, v32
	v_lshrrev_b32_e32 v119, 16, v32
	v_bfe_u32 v32, v32, 24, 4
	v_and_b32_e32 v118, 15, v118
	s_delay_alu instid0(VALU_DEP_4) | instskip(NEXT) | instid1(VALU_DEP_4)
	v_cvt_f16_u16_e32 v36, v36
	v_and_b32_e32 v119, 15, v119
	s_delay_alu instid0(VALU_DEP_4) | instskip(NEXT) | instid1(VALU_DEP_4)
	v_cvt_f16_u16_e32 v32, v32
	v_cvt_f16_u16_e32 v117, v118
	s_delay_alu instid0(VALU_DEP_1) | instskip(NEXT) | instid1(VALU_DEP_4)
	v_pack_b32_f16 v36, v36, v117
	v_cvt_f16_u16_e32 v117, v119
	s_delay_alu instid0(VALU_DEP_2) | instskip(NEXT) | instid1(VALU_DEP_2)
	v_pk_fma_f16 v36, v116, v36, v116 op_sel:[0,0,1] op_sel_hi:[0,1,1]
	v_pack_b32_f16 v32, v117, v32
	s_delay_alu instid0(VALU_DEP_2) | instskip(NEXT) | instid1(VALU_DEP_2)
	v_pk_fma_f16 v46, v36, v37, v46 op_sel_hi:[1,0,1]
	v_pk_fma_f16 v32, v116, v32, v116 op_sel:[0,0,1] op_sel_hi:[0,1,1]
	v_add_co_u32 v116, vcc_lo, v72, s4
	v_add_co_ci_u32_e32 v117, vcc_lo, 0, v210, vcc_lo
	v_add_co_u32 v203, vcc_lo, v71, s4
	v_add_co_ci_u32_e32 v204, vcc_lo, 0, v209, vcc_lo
	v_pk_fma_f16 v47, v32, v37, v47 op_sel_hi:[1,0,1]
	v_pk_fma_f16 v43, v32, v33, v43 op_sel_hi:[1,0,1]
	global_load_b32 v116, v[116:117], off
	global_load_b32 v32, v[203:204], off
	v_pk_fma_f16 v42, v36, v33, v42 op_sel_hi:[1,0,1]
	s_waitcnt vmcnt(0)
	v_ashrrev_i32_e32 v32, v202, v32
	s_delay_alu instid0(VALU_DEP_1) | instskip(SKIP_3) | instid1(VALU_DEP_4)
	v_lshrrev_b32_e32 v118, 8, v32
	v_and_b32_e32 v36, 15, v32
	v_lshrrev_b32_e32 v119, 16, v32
	v_bfe_u32 v32, v32, 24, 4
	v_and_b32_e32 v118, 15, v118
	s_delay_alu instid0(VALU_DEP_4) | instskip(NEXT) | instid1(VALU_DEP_4)
	v_cvt_f16_u16_e32 v36, v36
	v_and_b32_e32 v119, 15, v119
	s_delay_alu instid0(VALU_DEP_4) | instskip(NEXT) | instid1(VALU_DEP_4)
	v_cvt_f16_u16_e32 v32, v32
	v_cvt_f16_u16_e32 v117, v118
	s_delay_alu instid0(VALU_DEP_1) | instskip(NEXT) | instid1(VALU_DEP_4)
	v_pack_b32_f16 v36, v36, v117
	v_cvt_f16_u16_e32 v117, v119
	s_delay_alu instid0(VALU_DEP_2) | instskip(NEXT) | instid1(VALU_DEP_2)
	v_pk_fma_f16 v36, v116, v36, v116 op_sel:[0,0,1] op_sel_hi:[0,1,1]
	v_pack_b32_f16 v32, v117, v32
	s_delay_alu instid0(VALU_DEP_2) | instskip(NEXT) | instid1(VALU_DEP_2)
	v_pk_fma_f16 v44, v36, v37, v44 op_sel:[0,1,0]
	v_pk_fma_f16 v32, v116, v32, v116 op_sel:[0,0,1] op_sel_hi:[0,1,1]
	v_add_co_u32 v116, vcc_lo, v70, s4
	v_add_co_ci_u32_e32 v117, vcc_lo, 0, v208, vcc_lo
	v_add_co_u32 v203, vcc_lo, v69, s4
	v_add_co_ci_u32_e32 v204, vcc_lo, 0, v207, vcc_lo
	v_pk_fma_f16 v45, v32, v37, v45 op_sel:[0,1,0]
	v_pk_fma_f16 v41, v32, v33, v41 op_sel:[0,1,0]
	global_load_b32 v116, v[116:117], off
	global_load_b32 v32, v[203:204], off
	v_pk_fma_f16 v40, v36, v33, v40 op_sel:[0,1,0]
	ds_store_b128 v124, v[44:47]
	ds_store_b128 v124, v[40:43] offset:16
	s_waitcnt vmcnt(0)
	v_ashrrev_i32_e32 v32, v202, v32
	s_delay_alu instid0(VALU_DEP_1) | instskip(SKIP_3) | instid1(VALU_DEP_4)
	v_lshrrev_b32_e32 v118, 8, v32
	v_and_b32_e32 v36, 15, v32
	v_lshrrev_b32_e32 v119, 16, v32
	v_bfe_u32 v32, v32, 24, 4
	v_and_b32_e32 v118, 15, v118
	s_delay_alu instid0(VALU_DEP_4) | instskip(NEXT) | instid1(VALU_DEP_4)
	v_cvt_f16_u16_e32 v36, v36
	v_and_b32_e32 v119, 15, v119
	s_delay_alu instid0(VALU_DEP_4) | instskip(NEXT) | instid1(VALU_DEP_4)
	v_cvt_f16_u16_e32 v32, v32
	v_cvt_f16_u16_e32 v117, v118
	scratch_load_b32 v118, off, off offset:572 ; 4-byte Folded Reload
	v_pack_b32_f16 v36, v36, v117
	v_cvt_f16_u16_e32 v117, v119
	s_clause 0x1
	scratch_load_b32 v119, off, off offset:576
	scratch_load_b32 v19, off, off offset:568
	v_pk_fma_f16 v36, v116, v36, v116 op_sel:[0,0,1] op_sel_hi:[0,1,1]
	v_pack_b32_f16 v32, v117, v32
	s_delay_alu instid0(VALU_DEP_2) | instskip(NEXT) | instid1(VALU_DEP_2)
	v_pk_fma_f16 v42, v36, v33, v42 op_sel:[0,1,0]
	v_pk_fma_f16 v32, v116, v32, v116 op_sel:[0,0,1] op_sel_hi:[0,1,1]
	v_pk_fma_f16 v46, v36, v37, v46 op_sel:[0,1,0]
	s_delay_alu instid0(VALU_DEP_2)
	v_pk_fma_f16 v47, v32, v37, v47 op_sel:[0,1,0]
	v_pk_fma_f16 v43, v32, v33, v43 op_sel:[0,1,0]
	v_add_co_u32 v32, vcc_lo, v132, s4
	v_add_co_ci_u32_e32 v33, vcc_lo, 0, v133, vcc_lo
	v_add_co_u32 v36, vcc_lo, v130, s4
	v_add_co_ci_u32_e32 v37, vcc_lo, 0, v131, vcc_lo
	global_load_b32 v32, v[32:33], off
	global_load_b32 v36, v[36:37], off
	s_waitcnt vmcnt(0)
	v_ashrrev_i32_e32 v36, v202, v36
	s_delay_alu instid0(VALU_DEP_1) | instskip(SKIP_3) | instid1(VALU_DEP_4)
	v_lshrrev_b32_e32 v116, 8, v36
	v_and_b32_e32 v37, 15, v36
	v_lshrrev_b32_e32 v117, 16, v36
	v_bfe_u32 v36, v36, 24, 4
	v_and_b32_e32 v116, 15, v116
	s_delay_alu instid0(VALU_DEP_4) | instskip(NEXT) | instid1(VALU_DEP_4)
	v_cvt_f16_u16_e32 v33, v37
	v_and_b32_e32 v117, 15, v117
	s_delay_alu instid0(VALU_DEP_4) | instskip(NEXT) | instid1(VALU_DEP_4)
	v_cvt_f16_u16_e32 v36, v36
	v_cvt_f16_u16_e32 v37, v116
	s_delay_alu instid0(VALU_DEP_1) | instskip(NEXT) | instid1(VALU_DEP_4)
	v_pack_b32_f16 v33, v33, v37
	v_cvt_f16_u16_e32 v37, v117
	s_delay_alu instid0(VALU_DEP_2) | instskip(NEXT) | instid1(VALU_DEP_2)
	v_pk_fma_f16 v33, v32, v33, v32 op_sel:[0,0,1] op_sel_hi:[0,1,1]
	v_pack_b32_f16 v36, v37, v36
	s_delay_alu instid0(VALU_DEP_2) | instskip(NEXT) | instid1(VALU_DEP_2)
	v_pk_fma_f16 v44, v33, v38, v44 op_sel_hi:[1,0,1]
	v_pk_fma_f16 v32, v32, v36, v32 op_sel:[0,0,1] op_sel_hi:[0,1,1]
	v_pk_fma_f16 v40, v33, v34, v40 op_sel_hi:[1,0,1]
	s_delay_alu instid0(VALU_DEP_2)
	v_pk_fma_f16 v45, v32, v38, v45 op_sel_hi:[1,0,1]
	v_pk_fma_f16 v41, v32, v34, v41 op_sel_hi:[1,0,1]
	v_add_co_u32 v32, vcc_lo, v23, s4
	v_add_co_ci_u32_e32 v33, vcc_lo, 0, v20, vcc_lo
	v_add_co_u32 v36, vcc_lo, v21, s4
	v_add_co_ci_u32_e32 v37, vcc_lo, 0, v22, vcc_lo
	global_load_b32 v32, v[32:33], off
	ds_store_b128 v124, v[44:47]
	ds_store_b128 v124, v[40:43] offset:16
	global_load_b32 v36, v[36:37], off
	s_waitcnt vmcnt(0)
	v_ashrrev_i32_e32 v36, v202, v36
	s_delay_alu instid0(VALU_DEP_1) | instskip(SKIP_3) | instid1(VALU_DEP_4)
	v_lshrrev_b32_e32 v116, 8, v36
	v_and_b32_e32 v37, 15, v36
	v_lshrrev_b32_e32 v117, 16, v36
	v_bfe_u32 v36, v36, 24, 4
	v_and_b32_e32 v116, 15, v116
	s_delay_alu instid0(VALU_DEP_4) | instskip(NEXT) | instid1(VALU_DEP_4)
	v_cvt_f16_u16_e32 v33, v37
	v_and_b32_e32 v117, 15, v117
	s_delay_alu instid0(VALU_DEP_4) | instskip(NEXT) | instid1(VALU_DEP_4)
	v_cvt_f16_u16_e32 v36, v36
	v_cvt_f16_u16_e32 v37, v116
	s_delay_alu instid0(VALU_DEP_1) | instskip(NEXT) | instid1(VALU_DEP_4)
	v_pack_b32_f16 v33, v33, v37
	v_cvt_f16_u16_e32 v37, v117
	s_delay_alu instid0(VALU_DEP_2) | instskip(NEXT) | instid1(VALU_DEP_2)
	v_pk_fma_f16 v33, v32, v33, v32 op_sel:[0,0,1] op_sel_hi:[0,1,1]
	v_pack_b32_f16 v36, v37, v36
	s_delay_alu instid0(VALU_DEP_2) | instskip(NEXT) | instid1(VALU_DEP_2)
	v_pk_fma_f16 v46, v33, v38, v46 op_sel_hi:[1,0,1]
	v_pk_fma_f16 v32, v32, v36, v32 op_sel:[0,0,1] op_sel_hi:[0,1,1]
	v_pk_fma_f16 v42, v33, v34, v42 op_sel_hi:[1,0,1]
	s_delay_alu instid0(VALU_DEP_2)
	v_pk_fma_f16 v47, v32, v38, v47 op_sel_hi:[1,0,1]
	v_pk_fma_f16 v43, v32, v34, v43 op_sel_hi:[1,0,1]
	v_add_co_u32 v32, vcc_lo, v68, s4
	v_add_co_ci_u32_e32 v33, vcc_lo, 0, v126, vcc_lo
	v_add_co_u32 v36, vcc_lo, v122, s4
	v_add_co_ci_u32_e32 v37, vcc_lo, 0, v125, vcc_lo
	global_load_b32 v32, v[32:33], off
	global_load_b32 v36, v[36:37], off
	s_waitcnt vmcnt(0)
	v_ashrrev_i32_e32 v36, v202, v36
	s_delay_alu instid0(VALU_DEP_1) | instskip(SKIP_3) | instid1(VALU_DEP_4)
	v_lshrrev_b32_e32 v116, 8, v36
	v_and_b32_e32 v37, 15, v36
	v_lshrrev_b32_e32 v117, 16, v36
	v_bfe_u32 v36, v36, 24, 4
	v_and_b32_e32 v116, 15, v116
	s_delay_alu instid0(VALU_DEP_4) | instskip(NEXT) | instid1(VALU_DEP_4)
	v_cvt_f16_u16_e32 v33, v37
	v_and_b32_e32 v117, 15, v117
	s_delay_alu instid0(VALU_DEP_4) | instskip(NEXT) | instid1(VALU_DEP_4)
	v_cvt_f16_u16_e32 v36, v36
	v_cvt_f16_u16_e32 v37, v116
	s_delay_alu instid0(VALU_DEP_1) | instskip(NEXT) | instid1(VALU_DEP_4)
	v_pack_b32_f16 v33, v33, v37
	v_cvt_f16_u16_e32 v37, v117
	s_delay_alu instid0(VALU_DEP_2) | instskip(NEXT) | instid1(VALU_DEP_2)
	v_pk_fma_f16 v33, v32, v33, v32 op_sel:[0,0,1] op_sel_hi:[0,1,1]
	v_pack_b32_f16 v36, v37, v36
	s_delay_alu instid0(VALU_DEP_2) | instskip(NEXT) | instid1(VALU_DEP_2)
	v_pk_fma_f16 v44, v33, v38, v44 op_sel:[0,1,0]
	v_pk_fma_f16 v32, v32, v36, v32 op_sel:[0,0,1] op_sel_hi:[0,1,1]
	v_pk_fma_f16 v40, v33, v34, v40 op_sel:[0,1,0]
	s_delay_alu instid0(VALU_DEP_2)
	v_pk_fma_f16 v45, v32, v38, v45 op_sel:[0,1,0]
	v_pk_fma_f16 v41, v32, v34, v41 op_sel:[0,1,0]
	v_add_co_u32 v32, vcc_lo, v120, s4
	v_add_co_ci_u32_e32 v33, vcc_lo, 0, v121, vcc_lo
	v_add_co_u32 v36, vcc_lo, v118, s4
	v_add_co_ci_u32_e32 v37, vcc_lo, 0, v119, vcc_lo
	global_load_b32 v32, v[32:33], off
	ds_store_b128 v124, v[44:47]
	ds_store_b128 v124, v[40:43] offset:16
	global_load_b32 v36, v[36:37], off
	s_waitcnt vmcnt(0)
	v_ashrrev_i32_e32 v36, v202, v36
	s_delay_alu instid0(VALU_DEP_1) | instskip(SKIP_3) | instid1(VALU_DEP_4)
	v_lshrrev_b32_e32 v116, 8, v36
	v_and_b32_e32 v37, 15, v36
	v_lshrrev_b32_e32 v117, 16, v36
	v_bfe_u32 v36, v36, 24, 4
	v_and_b32_e32 v116, 15, v116
	s_delay_alu instid0(VALU_DEP_4) | instskip(NEXT) | instid1(VALU_DEP_4)
	v_cvt_f16_u16_e32 v33, v37
	v_and_b32_e32 v117, 15, v117
	s_delay_alu instid0(VALU_DEP_4) | instskip(NEXT) | instid1(VALU_DEP_4)
	v_cvt_f16_u16_e32 v36, v36
	v_cvt_f16_u16_e32 v37, v116
	s_delay_alu instid0(VALU_DEP_1) | instskip(NEXT) | instid1(VALU_DEP_4)
	v_pack_b32_f16 v33, v33, v37
	v_cvt_f16_u16_e32 v37, v117
	s_delay_alu instid0(VALU_DEP_2) | instskip(NEXT) | instid1(VALU_DEP_2)
	v_pk_fma_f16 v33, v32, v33, v32 op_sel:[0,0,1] op_sel_hi:[0,1,1]
	v_pack_b32_f16 v36, v37, v36
	s_delay_alu instid0(VALU_DEP_2) | instskip(NEXT) | instid1(VALU_DEP_2)
	v_pk_fma_f16 v46, v33, v38, v46 op_sel:[0,1,0]
	v_pk_fma_f16 v32, v32, v36, v32 op_sel:[0,0,1] op_sel_hi:[0,1,1]
	v_pk_fma_f16 v205, v33, v34, v42 op_sel:[0,1,0]
	s_delay_alu instid0(VALU_DEP_2)
	v_pk_fma_f16 v47, v32, v38, v47 op_sel:[0,1,0]
	v_pk_fma_f16 v206, v32, v34, v43 op_sel:[0,1,0]
	v_add_co_u32 v32, vcc_lo, v129, s4
	v_add_co_ci_u32_e32 v33, vcc_lo, 0, v67, vcc_lo
	v_add_co_u32 v36, vcc_lo, v19, s4
	v_add_co_ci_u32_e32 v37, vcc_lo, 0, v123, vcc_lo
	global_load_b32 v32, v[32:33], off
	global_load_b32 v34, v[36:37], off
	s_waitcnt vmcnt(0)
	v_ashrrev_i32_e32 v34, v202, v34
	s_delay_alu instid0(VALU_DEP_1) | instskip(SKIP_3) | instid1(VALU_DEP_4)
	v_lshrrev_b32_e32 v37, 8, v34
	v_and_b32_e32 v36, 15, v34
	v_lshrrev_b32_e32 v38, 16, v34
	v_bfe_u32 v34, v34, 24, 4
	v_and_b32_e32 v37, 15, v37
	s_delay_alu instid0(VALU_DEP_4) | instskip(NEXT) | instid1(VALU_DEP_4)
	v_cvt_f16_u16_e32 v33, v36
	v_and_b32_e32 v38, 15, v38
	s_delay_alu instid0(VALU_DEP_4) | instskip(NEXT) | instid1(VALU_DEP_4)
	v_cvt_f16_u16_e32 v34, v34
	v_cvt_f16_u16_e32 v36, v37
	s_delay_alu instid0(VALU_DEP_1) | instskip(NEXT) | instid1(VALU_DEP_4)
	v_pack_b32_f16 v33, v33, v36
	v_cvt_f16_u16_e32 v36, v38
	s_delay_alu instid0(VALU_DEP_2) | instskip(NEXT) | instid1(VALU_DEP_2)
	v_pk_fma_f16 v33, v32, v33, v32 op_sel:[0,0,1] op_sel_hi:[0,1,1]
	v_pack_b32_f16 v34, v36, v34
	s_delay_alu instid0(VALU_DEP_2) | instskip(NEXT) | instid1(VALU_DEP_2)
	v_pk_fma_f16 v44, v33, v39, v44 op_sel_hi:[1,0,1]
	v_pk_fma_f16 v32, v32, v34, v32 op_sel:[0,0,1] op_sel_hi:[0,1,1]
	v_pk_fma_f16 v203, v33, v35, v40 op_sel_hi:[1,0,1]
	s_delay_alu instid0(VALU_DEP_2)
	v_pk_fma_f16 v45, v32, v39, v45 op_sel_hi:[1,0,1]
	v_pk_fma_f16 v204, v32, v35, v41 op_sel_hi:[1,0,1]
	v_add_co_u32 v32, vcc_lo, v17, s4
	v_add_co_ci_u32_e32 v33, vcc_lo, 0, v18, vcc_lo
	v_add_co_u32 v36, vcc_lo, v64, s4
	v_add_co_ci_u32_e32 v37, vcc_lo, 0, v57, vcc_lo
	global_load_b32 v32, v[32:33], off
	ds_store_b128 v124, v[44:47]
	ds_store_b128 v124, v[203:206] offset:16
	global_load_b32 v34, v[36:37], off
	s_waitcnt vmcnt(0)
	v_ashrrev_i32_e32 v34, v202, v34
	s_delay_alu instid0(VALU_DEP_1) | instskip(SKIP_3) | instid1(VALU_DEP_4)
	v_lshrrev_b32_e32 v37, 8, v34
	v_and_b32_e32 v36, 15, v34
	v_lshrrev_b32_e32 v38, 16, v34
	v_bfe_u32 v34, v34, 24, 4
	v_and_b32_e32 v37, 15, v37
	s_delay_alu instid0(VALU_DEP_4) | instskip(NEXT) | instid1(VALU_DEP_4)
	v_cvt_f16_u16_e32 v33, v36
	v_and_b32_e32 v38, 15, v38
	s_delay_alu instid0(VALU_DEP_4) | instskip(NEXT) | instid1(VALU_DEP_4)
	v_cvt_f16_u16_e32 v34, v34
	v_cvt_f16_u16_e32 v36, v37
	s_delay_alu instid0(VALU_DEP_1) | instskip(NEXT) | instid1(VALU_DEP_4)
	v_pack_b32_f16 v33, v33, v36
	v_cvt_f16_u16_e32 v36, v38
	s_delay_alu instid0(VALU_DEP_2) | instskip(NEXT) | instid1(VALU_DEP_2)
	v_pk_fma_f16 v33, v32, v33, v32 op_sel:[0,0,1] op_sel_hi:[0,1,1]
	v_pack_b32_f16 v34, v36, v34
	s_delay_alu instid0(VALU_DEP_2) | instskip(NEXT) | instid1(VALU_DEP_2)
	v_pk_fma_f16 v42, v33, v39, v46 op_sel_hi:[1,0,1]
	v_pk_fma_f16 v32, v32, v34, v32 op_sel:[0,0,1] op_sel_hi:[0,1,1]
	v_pk_fma_f16 v40, v33, v35, v205 op_sel_hi:[1,0,1]
	s_delay_alu instid0(VALU_DEP_2)
	v_pk_fma_f16 v43, v32, v39, v47 op_sel_hi:[1,0,1]
	v_pk_fma_f16 v41, v32, v35, v206 op_sel_hi:[1,0,1]
	v_add_co_u32 v32, vcc_lo, v62, s4
	v_add_co_ci_u32_e32 v33, vcc_lo, 0, v63, vcc_lo
	v_add_co_u32 v36, vcc_lo, v60, s4
	v_add_co_ci_u32_e32 v37, vcc_lo, 0, v61, vcc_lo
	global_load_b32 v32, v[32:33], off
	ds_store_2addr_b64 v124, v[42:43], v[40:41] offset0:1 offset1:3
	global_load_b32 v34, v[36:37], off
	s_waitcnt vmcnt(0)
	v_ashrrev_i32_e32 v34, v202, v34
	s_delay_alu instid0(VALU_DEP_1) | instskip(SKIP_3) | instid1(VALU_DEP_4)
	v_lshrrev_b32_e32 v37, 8, v34
	v_and_b32_e32 v36, 15, v34
	v_lshrrev_b32_e32 v38, 16, v34
	v_bfe_u32 v34, v34, 24, 4
	v_and_b32_e32 v37, 15, v37
	s_delay_alu instid0(VALU_DEP_4) | instskip(NEXT) | instid1(VALU_DEP_4)
	v_cvt_f16_u16_e32 v33, v36
	v_and_b32_e32 v38, 15, v38
	s_delay_alu instid0(VALU_DEP_4) | instskip(NEXT) | instid1(VALU_DEP_4)
	v_cvt_f16_u16_e32 v34, v34
	v_cvt_f16_u16_e32 v36, v37
	s_delay_alu instid0(VALU_DEP_1) | instskip(NEXT) | instid1(VALU_DEP_4)
	v_pack_b32_f16 v33, v33, v36
	v_cvt_f16_u16_e32 v36, v38
	s_delay_alu instid0(VALU_DEP_2) | instskip(NEXT) | instid1(VALU_DEP_2)
	v_pk_fma_f16 v33, v32, v33, v32 op_sel:[0,0,1] op_sel_hi:[0,1,1]
	v_pack_b32_f16 v34, v36, v34
	s_delay_alu instid0(VALU_DEP_2) | instskip(NEXT) | instid1(VALU_DEP_2)
	v_pk_fma_f16 v36, v33, v39, v44 op_sel:[0,1,0]
	v_pk_fma_f16 v34, v32, v34, v32 op_sel:[0,0,1] op_sel_hi:[0,1,1]
	v_add_co_u32 v44, vcc_lo, v56, s4
	v_pk_fma_f16 v32, v33, v35, v203 op_sel:[0,1,0]
	s_delay_alu instid0(VALU_DEP_3)
	v_pk_fma_f16 v37, v34, v39, v45 op_sel:[0,1,0]
	v_add_co_ci_u32_e32 v45, vcc_lo, 0, v58, vcc_lo
	v_add_co_u32 v46, vcc_lo, v48, s4
	v_add_co_ci_u32_e32 v47, vcc_lo, 0, v55, vcc_lo
	v_pk_fma_f16 v33, v34, v35, v204 op_sel:[0,1,0]
	global_load_b32 v44, v[44:45], off
	global_load_b32 v34, v[46:47], off
	s_waitcnt vmcnt(0)
	v_ashrrev_i32_e32 v34, v202, v34
	s_delay_alu instid0(VALU_DEP_1) | instskip(SKIP_3) | instid1(VALU_DEP_4)
	v_lshrrev_b32_e32 v46, 8, v34
	v_and_b32_e32 v38, 15, v34
	v_lshrrev_b32_e32 v47, 16, v34
	v_bfe_u32 v34, v34, 24, 4
	v_and_b32_e32 v46, 15, v46
	s_delay_alu instid0(VALU_DEP_4) | instskip(NEXT) | instid1(VALU_DEP_4)
	v_cvt_f16_u16_e32 v38, v38
	v_and_b32_e32 v47, 15, v47
	s_delay_alu instid0(VALU_DEP_4) | instskip(NEXT) | instid1(VALU_DEP_4)
	v_cvt_f16_u16_e32 v34, v34
	v_cvt_f16_u16_e32 v45, v46
	s_delay_alu instid0(VALU_DEP_1) | instskip(NEXT) | instid1(VALU_DEP_1)
	v_pack_b32_f16 v38, v38, v45
	v_pk_fma_f16 v45, v44, v38, v44 op_sel:[0,0,1] op_sel_hi:[0,1,1]
	v_cvt_f16_u16_e32 v38, v47
	s_delay_alu instid0(VALU_DEP_1) | instskip(NEXT) | instid1(VALU_DEP_3)
	v_pack_b32_f16 v34, v38, v34
	v_pk_fma_f16 v38, v45, v39, v42 op_sel:[0,1,0]
	s_delay_alu instid0(VALU_DEP_2) | instskip(SKIP_1) | instid1(VALU_DEP_2)
	v_pk_fma_f16 v44, v44, v34, v44 op_sel:[0,0,1] op_sel_hi:[0,1,1]
	v_pk_fma_f16 v34, v45, v35, v40 op_sel:[0,1,0]
	v_pk_fma_f16 v39, v44, v39, v43 op_sel:[0,1,0]
	;; [unrolled: 1-line block ×3, first 2 shown]
	ds_store_b128 v124, v[36:39]
	ds_store_b128 v124, v[32:35] offset:16
	s_clause 0x1
	scratch_load_b32 v32, off, off offset:8
	scratch_load_b32 v33, off, off offset:864
	s_waitcnt vmcnt(1)
	v_add_co_u32 v32, vcc_lo, v32, s6
	scratch_store_b32 off, v32, off offset:8 ; 4-byte Folded Spill
	scratch_load_b32 v32, off, off offset:12 ; 4-byte Folded Reload
	s_waitcnt vmcnt(0)
	v_add_co_ci_u32_e32 v32, vcc_lo, 0, v32, vcc_lo
	v_add_co_u32 v33, vcc_lo, v33, s80
	scratch_store_b32 off, v32, off offset:12 ; 4-byte Folded Spill
	scratch_load_b32 v32, off, off offset:32 ; 4-byte Folded Reload
	s_waitcnt vmcnt(0)
	v_add_co_ci_u32_e32 v32, vcc_lo, s81, v32, vcc_lo
	scratch_store_b32 off, v32, off offset:32 ; 4-byte Folded Spill
	scratch_load_b32 v32, off, off offset:16 ; 4-byte Folded Reload
	s_waitcnt vmcnt(0)
	v_add_co_u32 v32, vcc_lo, v32, s80
	scratch_store_b32 off, v32, off offset:16 ; 4-byte Folded Spill
	scratch_load_b32 v32, off, off offset:20 ; 4-byte Folded Reload
	s_waitcnt vmcnt(0)
	v_add_co_ci_u32_e32 v32, vcc_lo, s81, v32, vcc_lo
	scratch_store_b32 off, v32, off offset:20 ; 4-byte Folded Spill
	s_clause 0x5
	scratch_load_b32 v32, off, off offset:984
	scratch_load_b32 v34, off, off offset:852
	;; [unrolled: 1-line block ×6, first 2 shown]
	s_waitcnt vmcnt(4)
	v_add_co_u32 v34, vcc_lo, v34, s80
	s_waitcnt vmcnt(3)
	v_add_co_ci_u32_e32 v35, vcc_lo, s81, v35, vcc_lo
	v_add_co_u32 v49, vcc_lo, v49, s7
	v_add_co_ci_u32_e32 v50, vcc_lo, 0, v50, vcc_lo
	v_add_co_u32 v2, vcc_lo, v2, s7
	;; [unrolled: 2-line block ×3, first 2 shown]
	v_add_co_ci_u32_e32 v1, vcc_lo, 0, v1, vcc_lo
	s_waitcnt vmcnt(2)
	v_add_co_u32 v4, vcc_lo, v4, s6
	scratch_store_b32 off, v4, off offset:24 ; 4-byte Folded Spill
	scratch_load_b32 v4, off, off offset:28 ; 4-byte Folded Reload
	s_waitcnt vmcnt(0)
	v_add_co_ci_u32_e32 v4, vcc_lo, 0, v4, vcc_lo
	v_add_co_u32 v40, vcc_lo, v40, s6
	scratch_store_b32 off, v4, off offset:28 ; 4-byte Folded Spill
	scratch_load_b32 v4, off, off           ; 4-byte Folded Reload
	v_add_co_ci_u32_e32 v38, vcc_lo, 0, v38, vcc_lo
	v_add_co_u32 v5, vcc_lo, v5, s7
	v_add_co_ci_u32_e32 v6, vcc_lo, 0, v6, vcc_lo
	v_add_co_u32 v7, vcc_lo, v7, s7
	v_add_co_ci_u32_e32 v9, vcc_lo, 0, v9, vcc_lo
	v_add_co_u32 v10, vcc_lo, v10, s7
	v_add_co_ci_u32_e32 v11, vcc_lo, 0, v11, vcc_lo
	v_add_co_u32 v238, vcc_lo, v238, s7
	v_add_co_ci_u32_e32 v12, vcc_lo, 0, v12, vcc_lo
	v_add_co_u32 v14, vcc_lo, v14, s7
	v_add_co_ci_u32_e32 v15, vcc_lo, 0, v15, vcc_lo
	v_add_co_u32 v13, vcc_lo, v13, s7
	v_add_co_ci_u32_e32 v32, vcc_lo, 0, v32, vcc_lo
	v_add_co_u32 v53, vcc_lo, v53, s7
	v_add_co_ci_u32_e32 v54, vcc_lo, 0, v54, vcc_lo
	s_waitcnt vmcnt(0)
	v_add_co_u32 v4, vcc_lo, v4, s6
	scratch_store_b32 off, v4, off          ; 4-byte Folded Spill
	scratch_load_b32 v4, off, off offset:4  ; 4-byte Folded Reload
	s_waitcnt vmcnt(0)
	v_add_co_ci_u32_e32 v4, vcc_lo, 0, v4, vcc_lo
	v_add_co_u32 v48, vcc_lo, v48, s7
	v_add_co_ci_u32_e32 v55, vcc_lo, 0, v55, vcc_lo
	v_add_co_u32 v56, vcc_lo, v56, s7
	;; [unrolled: 2-line block ×98, first 2 shown]
	scratch_load_b32 v196, off, off offset:980 ; 4-byte Folded Reload
	s_clause 0x7
	scratch_store_b32 off, v4, off offset:4
	scratch_store_b32 off, v165, off offset:428
	;; [unrolled: 1-line block ×8, first 2 shown]
	scratch_load_b32 v4, off, off offset:976 ; 4-byte Folded Reload
	s_clause 0x7
	scratch_store_b32 off, v180, off offset:488
	scratch_store_b32 off, v183, off offset:492
	;; [unrolled: 1-line block ×8, first 2 shown]
	s_clause 0x7
	scratch_load_b32 v52, off, off offset:972
	scratch_load_b32 v165, off, off offset:968
	;; [unrolled: 1-line block ×8, first 2 shown]
	s_clause 0x7
	scratch_store_b32 off, v173, off offset:456
	scratch_store_b32 off, v174, off offset:460
	;; [unrolled: 1-line block ×8, first 2 shown]
	s_clause 0xe
	scratch_load_b32 v173, off, off offset:940
	scratch_load_b32 v174, off, off offset:936
	;; [unrolled: 1-line block ×15, first 2 shown]
	s_clause 0x3
	scratch_store_b32 off, v65, off offset:520
	scratch_store_b32 off, v187, off offset:524
	;; [unrolled: 1-line block ×4, first 2 shown]
	s_clause 0x3
	scratch_load_b32 v187, off, off offset:880
	scratch_load_b32 v65, off, off offset:876
	;; [unrolled: 1-line block ×4, first 2 shown]
	v_add_co_ci_u32_e32 v198, vcc_lo, 0, v198, vcc_lo
	s_waitcnt vmcnt(28)
	v_add_co_u32 v196, vcc_lo, v196, s7
	v_add_co_ci_u32_e32 v199, vcc_lo, 0, v199, vcc_lo
	v_add_co_u32 v200, vcc_lo, v200, s7
	v_add_co_ci_u32_e32 v201, vcc_lo, 0, v201, vcc_lo
	s_waitcnt vmcnt(27)
	v_add_co_u32 v4, vcc_lo, v4, s7
	s_waitcnt vmcnt(26)
	v_add_co_ci_u32_e32 v52, vcc_lo, 0, v52, vcc_lo
	s_waitcnt vmcnt(25)
	v_add_co_u32 v165, vcc_lo, v165, s7
	s_waitcnt vmcnt(24)
	;; [unrolled: 4-line block ×14, first 2 shown]
	v_add_co_ci_u32_e32 v189, vcc_lo, 0, v189, vcc_lo
	v_add_co_u32 v190, vcc_lo, v190, s7
	v_add_co_ci_u32_e32 v191, vcc_lo, 0, v191, vcc_lo
	v_add_co_u32 v91, vcc_lo, v91, s7
	;; [unrolled: 2-line block ×4, first 2 shown]
	v_add_co_ci_u32_e32 v66, vcc_lo, 0, v66, vcc_lo
	s_cbranch_scc1 .LBB28_32
; %bb.31:                               ;   in Loop: Header=BB28_21 Depth=1
	s_clause 0x1f
	scratch_store_b32 off, v164, off offset:800
	scratch_store_b32 off, v161, off offset:796
	;; [unrolled: 1-line block ×32, first 2 shown]
	s_clause 0x1f
	scratch_store_b32 off, v79, off offset:684
	scratch_store_b32 off, v78, off offset:680
	;; [unrolled: 1-line block ×32, first 2 shown]
	s_clause 0xc
	scratch_store_b32 off, v17, off offset:560
	scratch_store_b32 off, v123, off offset:832
	;; [unrolled: 1-line block ×13, first 2 shown]
	v_dual_mov_b32 v92, v59 :: v_dual_mov_b32 v89, v234
	v_dual_mov_b32 v17, v57 :: v_dual_mov_b32 v18, v63
	s_clause 0x1
	scratch_load_b32 v57, off, off
	scratch_load_b32 v59, off, off offset:4
	v_dual_mov_b32 v164, v163 :: v_dual_mov_b32 v163, v162
	v_dual_mov_b32 v162, v255 :: v_dual_mov_b32 v161, v160
	;; [unrolled: 1-line block ×47, first 2 shown]
	v_mov_b32_e32 v11, v1
	v_mov_b32_e32 v13, v3
	v_dual_mov_b32 v3, v2 :: v_dual_mov_b32 v36, v115
	v_dual_mov_b32 v2, v50 :: v_dual_mov_b32 v1, v0
	v_mov_b32_e32 v62, v34
	v_dual_mov_b32 v0, v49 :: v_dual_mov_b32 v53, v35
	v_dual_mov_b32 v60, v33 :: v_dual_mov_b32 v37, v114
	s_branch .LBB28_21
.LBB28_32:
	s_clause 0x4
	scratch_load_b32 v36, off, off offset:1012
	scratch_load_b32 v37, off, off offset:1016
	;; [unrolled: 1-line block ×5, first 2 shown]
.LBB28_33:
	s_cmp_eq_u64 s[64:65], 0
	s_cselect_b32 s1, -1, 0
	s_cmp_lg_u32 s14, 0
	s_cselect_b32 s4, -1, 0
	s_delay_alu instid0(SALU_CYCLE_1) | instskip(NEXT) | instid1(SALU_CYCLE_1)
	s_or_b32 s1, s4, s1
	s_or_b32 s0, s0, s1
	s_delay_alu instid0(SALU_CYCLE_1) | instskip(NEXT) | instid1(SALU_CYCLE_1)
	s_xor_b32 s0, s0, -1
	s_and_saveexec_b32 s1, s0
	s_cbranch_execz .LBB28_35
; %bb.34:
	s_ashr_i32 s79, s78, 31
	s_waitcnt vmcnt(3)
	v_cmp_eq_u32_e32 vcc_lo, 1, v37
	s_lshl_b64 s[4:5], s[78:79], 2
	v_lshl_add_u32 v9, v37, 4, v124
	s_add_u32 s4, s64, s4
	s_addc_u32 s5, s65, s5
	s_load_b32 s0, s[4:5], 0x0
	v_cndmask_b32_e32 v0, v114, v115, vcc_lo
	s_delay_alu instid0(VALU_DEP_1) | instskip(SKIP_2) | instid1(VALU_DEP_1)
	v_max_f32_e32 v1, v0, v0
	s_waitcnt lgkmcnt(0)
	v_max_f32_e64 v2, s0, s0
	v_max_f32_e32 v4, v2, v1
	s_delay_alu instid0(VALU_DEP_1) | instskip(SKIP_1) | instid1(VALU_DEP_1)
	v_sub_f32_e32 v5, s0, v4
	v_sub_f32_e32 v6, v0, v4
	v_dual_mul_f32 v0, 0x3fb8aa3b, v5 :: v_dual_mul_f32 v1, 0x3fb8aa3b, v6
	v_cmp_ngt_f32_e64 s0, 0xc2ce8ed0, v5
	v_cndmask_b32_e32 v115, v115, v4, vcc_lo
	s_delay_alu instid0(VALU_DEP_3) | instskip(SKIP_3) | instid1(VALU_DEP_4)
	v_fma_f32 v2, 0x3fb8aa3b, v5, -v0
	v_rndne_f32_e32 v3, v0
	v_fma_f32 v7, 0x3fb8aa3b, v6, -v1
	v_rndne_f32_e32 v8, v1
	v_fmac_f32_e32 v2, 0x32a5705f, v5
	s_delay_alu instid0(VALU_DEP_3) | instskip(NEXT) | instid1(VALU_DEP_3)
	v_dual_sub_f32 v0, v0, v3 :: v_dual_fmac_f32 v7, 0x32a5705f, v6
	v_sub_f32_e32 v1, v1, v8
	v_cvt_i32_f32_e32 v8, v8
	s_delay_alu instid0(VALU_DEP_2) | instskip(NEXT) | instid1(VALU_DEP_1)
	v_dual_add_f32 v0, v0, v2 :: v_dual_add_f32 v1, v1, v7
	v_exp_f32_e32 v0, v0
	s_delay_alu instid0(VALU_DEP_1)
	v_exp_f32_e32 v7, v1
	v_cvt_i32_f32_e32 v1, v3
	s_waitcnt_depctr 0xfff
	v_ldexp_f32 v10, v0, v1
	ds_load_b128 v[0:3], v9
	v_ldexp_f32 v7, v7, v8
	v_cndmask_b32_e64 v8, 0, v10, s0
	v_cmp_ngt_f32_e64 s0, 0xc2ce8ed0, v6
	s_delay_alu instid0(VALU_DEP_1) | instskip(SKIP_1) | instid1(VALU_DEP_1)
	v_cndmask_b32_e64 v7, 0, v7, s0
	v_cmp_nlt_f32_e64 s0, 0x42b17218, v5
	v_cndmask_b32_e64 v5, 0x7f800000, v8, s0
	v_cmp_nlt_f32_e64 s0, 0x42b17218, v6
	s_delay_alu instid0(VALU_DEP_1) | instskip(SKIP_2) | instid1(VALU_DEP_3)
	v_cndmask_b32_e64 v6, 0x7f800000, v7, s0
	v_cmp_eq_u32_e64 s0, 0, v36
	v_cndmask_b32_e32 v7, v112, v113, vcc_lo
	v_cvt_f16_f32_e32 v8, v6
	s_delay_alu instid0(VALU_DEP_3) | instskip(SKIP_2) | instid1(VALU_DEP_3)
	v_cndmask_b32_e64 v5, 0, v5, s0
	v_cmp_eq_u32_e64 s0, 0, v37
	s_waitcnt lgkmcnt(0)
	v_pk_mul_f16 v0, v8, v0 op_sel_hi:[0,1]
	s_delay_alu instid0(VALU_DEP_3) | instskip(NEXT) | instid1(VALU_DEP_3)
	v_fmac_f32_e32 v5, v7, v6
	v_cndmask_b32_e64 v114, v114, v4, s0
	v_pk_mul_f16 v1, v8, v1 op_sel_hi:[0,1]
	v_pk_mul_f16 v2, v8, v2 op_sel_hi:[0,1]
	;; [unrolled: 1-line block ×3, first 2 shown]
	v_cndmask_b32_e32 v113, v113, v5, vcc_lo
	v_cndmask_b32_e64 v112, v112, v5, s0
	ds_store_b128 v9, v[0:3]
.LBB28_35:
	s_or_b32 exec_lo, exec_lo, s1
	s_delay_alu instid0(SALU_CYCLE_1)
	s_mov_b32 s0, exec_lo
	s_waitcnt vmcnt(3)
	v_cmpx_eq_u32_e32 0, v37
	s_cbranch_execz .LBB28_37
; %bb.36:
	v_mov_b32_e32 v0, 0xfeffffff
	s_waitcnt vmcnt(0)
	v_dual_mov_b32 v2, 0 :: v_dual_add_nc_u32 v1, 0x800, v39
	ds_store_2addr_b32 v1, v0, v0 offset1:32
	ds_store_2addr_b32 v1, v2, v2 offset0:64 offset1:96
.LBB28_37:
	s_or_b32 exec_lo, exec_lo, s0
	v_cmp_eq_u32_e64 s0, 0, v36
	s_waitcnt vmcnt(0) lgkmcnt(0)
	s_waitcnt_vscnt null, 0x0
	s_barrier
	buffer_gl0_inv
	s_and_saveexec_b32 s1, s0
	s_cbranch_execz .LBB28_39
; %bb.38:
	v_lshlrev_b32_e32 v0, 2, v37
	s_delay_alu instid0(VALU_DEP_1)
	v_add_nc_u32_e32 v0, 0x800, v0
	ds_store_2addr_b32 v0, v114, v115 offset1:32
.LBB28_39:
	s_or_b32 exec_lo, exec_lo, s1
	s_cmp_lt_i32 s85, s76
	s_waitcnt lgkmcnt(0)
	s_barrier
	buffer_gl0_inv
	s_cbranch_scc1 .LBB28_41
; %bb.40:
	s_load_b32 s4, s[2:3], 0xd4
	s_cbranch_execz .LBB28_42
	s_branch .LBB28_49
.LBB28_41:
                                        ; implicit-def: $sgpr4
.LBB28_42:
	v_mbcnt_lo_u32_b32 v7, -1, 0
	ds_load_b32 v0, v39 offset:2048
	s_waitcnt lgkmcnt(0)
	s_load_b32 s4, s[2:3], 0xd4
	v_lshlrev_b32_e32 v13, 3, v36
	v_xor_b32_e32 v1, 16, v7
	v_xor_b32_e32 v3, 8, v7
	;; [unrolled: 1-line block ×4, first 2 shown]
	s_delay_alu instid0(VALU_DEP_4) | instskip(SKIP_2) | instid1(VALU_DEP_2)
	v_cmp_gt_i32_e32 vcc_lo, 32, v1
	v_cndmask_b32_e32 v1, v7, v1, vcc_lo
	v_cmp_gt_i32_e32 vcc_lo, 32, v3
	v_dual_cndmask_b32 v3, v7, v3 :: v_dual_lshlrev_b32 v2, 2, v1
	v_cmp_gt_i32_e32 vcc_lo, 32, v4
	ds_bpermute_b32 v1, v2, v0
	v_max_f32_e32 v0, v0, v0
	v_cndmask_b32_e32 v4, v7, v4, vcc_lo
	v_cmp_gt_i32_e32 vcc_lo, 32, v5
	s_delay_alu instid0(VALU_DEP_2) | instskip(NEXT) | instid1(VALU_DEP_1)
	v_dual_cndmask_b32 v5, v7, v5 :: v_dual_lshlrev_b32 v4, 2, v4
	v_lshlrev_b32_e32 v6, 2, v5
	v_xor_b32_e32 v5, 1, v7
	s_delay_alu instid0(VALU_DEP_1) | instskip(SKIP_4) | instid1(VALU_DEP_3)
	v_cmp_gt_i32_e32 vcc_lo, 32, v5
	s_waitcnt lgkmcnt(0)
	v_max_f32_e32 v1, v1, v1
	v_lshlrev_b32_e32 v3, 2, v3
	v_cndmask_b32_e32 v5, v7, v5, vcc_lo
	v_max_f32_e32 v0, v0, v1
	s_delay_alu instid0(VALU_DEP_2) | instskip(SKIP_3) | instid1(VALU_DEP_1)
	v_lshlrev_b32_e32 v5, 2, v5
	ds_bpermute_b32 v1, v3, v0
	s_waitcnt lgkmcnt(0)
	v_max_f32_e32 v1, v1, v1
	v_max_f32_e32 v0, v0, v1
	ds_bpermute_b32 v1, v4, v0
	s_waitcnt lgkmcnt(0)
	v_max_f32_e32 v1, v1, v1
	s_delay_alu instid0(VALU_DEP_1) | instskip(SKIP_3) | instid1(VALU_DEP_1)
	v_max_f32_e32 v0, v0, v1
	ds_bpermute_b32 v1, v6, v0
	s_waitcnt lgkmcnt(0)
	v_max_f32_e32 v1, v1, v1
	v_max_f32_e32 v0, v0, v1
	ds_bpermute_b32 v1, v5, v0
	s_waitcnt lgkmcnt(0)
	v_max_f32_e32 v1, v1, v1
	s_delay_alu instid0(VALU_DEP_1) | instskip(NEXT) | instid1(VALU_DEP_1)
	v_max_f32_e32 v0, v0, v1
	v_sub_f32_e32 v1, v114, v0
	s_delay_alu instid0(VALU_DEP_1) | instskip(SKIP_1) | instid1(VALU_DEP_2)
	v_mul_f32_e32 v7, 0x3fb8aa3b, v1
	v_cmp_ngt_f32_e32 vcc_lo, 0xc2ce8ed0, v1
	v_fma_f32 v8, 0x3fb8aa3b, v1, -v7
	v_rndne_f32_e32 v9, v7
	s_delay_alu instid0(VALU_DEP_1) | instskip(NEXT) | instid1(VALU_DEP_1)
	v_dual_fmamk_f32 v8, v1, 0x32a5705f, v8 :: v_dual_sub_f32 v7, v7, v9
	v_add_f32_e32 v7, v7, v8
	v_cvt_i32_f32_e32 v8, v9
	ds_load_b128 v[9:12], v124
	v_exp_f32_e32 v7, v7
	s_waitcnt_depctr 0xfff
	v_ldexp_f32 v7, v7, v8
	s_delay_alu instid0(VALU_DEP_1) | instskip(SKIP_1) | instid1(VALU_DEP_2)
	v_cndmask_b32_e32 v7, 0, v7, vcc_lo
	v_cmp_nlt_f32_e32 vcc_lo, 0x42b17218, v1
	v_cndmask_b32_e32 v7, 0x7f800000, v7, vcc_lo
	s_delay_alu instid0(VALU_DEP_1)
	v_mul_f32_e32 v1, v112, v7
	ds_bpermute_b32 v1, v2, v1
	s_waitcnt lgkmcnt(0)
	v_fmac_f32_e32 v1, v112, v7
	v_cvt_f16_f32_e32 v7, v7
	ds_bpermute_b32 v8, v3, v1
	v_pk_mul_f16 v9, v7, v9 op_sel_hi:[0,1]
	v_pk_mul_f16 v10, v7, v10 op_sel_hi:[0,1]
	;; [unrolled: 1-line block ×4, first 2 shown]
	v_add_nc_u32_e32 v7, v38, v13
	ds_store_b128 v124, v[9:12]
	ds_store_2addr_b64 v7, v[9:10], v[11:12] offset1:32
	s_waitcnt lgkmcnt(2)
	v_add_f32_e32 v1, v1, v8
	ds_bpermute_b32 v8, v4, v1
	s_waitcnt lgkmcnt(0)
	v_add_f32_e32 v1, v1, v8
	ds_bpermute_b32 v8, v6, v1
	s_waitcnt lgkmcnt(0)
	v_add_f32_e32 v1, v1, v8
	ds_bpermute_b32 v8, v5, v1
	s_and_saveexec_b32 s1, s0
	s_cbranch_execz .LBB28_44
; %bb.43:
	s_waitcnt lgkmcnt(0)
	v_dual_add_f32 v1, v1, v8 :: v_dual_lshlrev_b32 v8, 2, v37
	ds_store_b32 v8, v1 offset:2304
.LBB28_44:
	s_or_b32 exec_lo, exec_lo, s1
	s_waitcnt lgkmcnt(0)
	s_barrier
	buffer_gl0_inv
	scratch_load_b32 v16, off, off offset:988 ; 4-byte Folded Reload
	ds_load_b32 v1, v39 offset:2304
	s_cmp_eq_u32 s4, 1
	s_mul_i32 s3, s84, s76
	s_cselect_b32 s1, -1, 0
	s_add_i32 s3, s3, s85
	s_waitcnt vmcnt(0)
	ds_load_u16 v8, v16
	ds_load_u16 v9, v16 offset:1280
	ds_load_u16 v10, v16 offset:768
	;; [unrolled: 1-line block ×3, first 2 shown]
	s_waitcnt lgkmcnt(4)
	ds_bpermute_b32 v12, v2, v1
	ds_load_u16 v13, v16 offset:512
	ds_load_u16 v14, v16 offset:1024
	ds_load_u16 v15, v16 offset:1536
	s_mul_i32 s3, s3, s77
	s_delay_alu instid0(SALU_CYCLE_1) | instskip(NEXT) | instid1(SALU_CYCLE_1)
	s_add_i32 s3, s3, s78
	s_mul_i32 s5, s4, s3
	s_delay_alu instid0(SALU_CYCLE_1)
	s_add_i32 s5, s5, s14
	s_waitcnt lgkmcnt(7)
	v_cvt_f32_f16_e32 v8, v8
	s_waitcnt lgkmcnt(6)
	v_cvt_f32_f16_e32 v9, v9
	;; [unrolled: 2-line block ×4, first 2 shown]
	v_add_f32_e32 v8, 0, v8
	v_add_f32_e32 v1, v1, v12
	s_waitcnt lgkmcnt(0)
	v_cvt_f32_f16_e32 v15, v15
	v_cvt_f32_f16_e32 v11, v11
	v_add_f32_e32 v8, v8, v13
	ds_bpermute_b32 v12, v3, v1
	ds_load_u16 v13, v16 offset:1792
	v_add_f32_e32 v8, v8, v14
	s_delay_alu instid0(VALU_DEP_1)
	v_add_f32_e32 v14, v8, v15
	s_waitcnt lgkmcnt(1)
	v_dual_add_f32 v8, 0, v11 :: v_dual_add_f32 v1, v1, v12
	s_waitcnt lgkmcnt(0)
	v_cvt_f32_f16_e32 v11, v13
	ds_bpermute_b32 v12, v4, v1
	s_waitcnt lgkmcnt(0)
	v_add_f32_e32 v1, v1, v12
	ds_bpermute_b32 v12, v6, v1
	s_waitcnt lgkmcnt(0)
	v_add_f32_e32 v1, v1, v12
	;; [unrolled: 3-line block ×3, first 2 shown]
	v_cvt_f32_f16_e32 v1, v10
	s_delay_alu instid0(VALU_DEP_1) | instskip(NEXT) | instid1(VALU_DEP_3)
	v_add_f32_e32 v1, v8, v1
	v_div_scale_f32 v10, null, v112, v112, v14
	v_div_scale_f32 v12, vcc_lo, v14, v112, v14
	s_delay_alu instid0(VALU_DEP_3) | instskip(NEXT) | instid1(VALU_DEP_3)
	v_add_f32_e32 v1, v1, v9
	v_rcp_f32_e32 v8, v10
	s_delay_alu instid0(VALU_DEP_1) | instskip(NEXT) | instid1(VALU_DEP_1)
	v_add_f32_e32 v1, v1, v11
	v_div_scale_f32 v11, null, v112, v112, v1
	s_waitcnt_depctr 0xfff
	v_fma_f32 v9, -v10, v8, 1.0
	v_rcp_f32_e32 v13, v11
	s_waitcnt_depctr 0xfff
	v_fma_f32 v16, -v11, v13, 1.0
	s_delay_alu instid0(VALU_DEP_1) | instskip(NEXT) | instid1(VALU_DEP_1)
	v_dual_fmac_f32 v8, v9, v8 :: v_dual_fmac_f32 v13, v16, v13
	v_mul_f32_e32 v9, v12, v8
	s_delay_alu instid0(VALU_DEP_1) | instskip(NEXT) | instid1(VALU_DEP_1)
	v_fma_f32 v15, -v10, v9, v12
	v_fmac_f32_e32 v9, v15, v8
	v_div_scale_f32 v15, s2, v1, v112, v1
	s_delay_alu instid0(VALU_DEP_2) | instskip(NEXT) | instid1(VALU_DEP_2)
	v_fma_f32 v10, -v10, v9, v12
	v_mul_f32_e32 v12, v15, v13
	s_delay_alu instid0(VALU_DEP_2) | instskip(NEXT) | instid1(VALU_DEP_2)
	v_div_fmas_f32 v8, v10, v8, v9
	v_fma_f32 v9, -v11, v12, v15
	s_mov_b32 vcc_lo, s2
	s_or_b32 s2, s85, 1
	s_delay_alu instid0(VALU_DEP_2) | instskip(NEXT) | instid1(VALU_DEP_2)
	v_div_fixup_f32 v10, v8, v112, v14
	v_dual_fmac_f32 v12, v9, v13 :: v_dual_mov_b32 v9, 0
	v_lshl_or_b32 v8, s5, 8, v33
	s_cmp_ge_i32 s2, s76
	s_delay_alu instid0(VALU_DEP_3) | instskip(NEXT) | instid1(VALU_DEP_3)
	v_cndmask_b32_e64 v10, v14, v10, s1
	v_fma_f32 v11, -v11, v12, v15
	s_delay_alu instid0(VALU_DEP_3) | instskip(NEXT) | instid1(VALU_DEP_2)
	v_lshlrev_b64 v[8:9], 2, v[8:9]
	v_div_fmas_f32 v11, v11, v13, v12
	s_delay_alu instid0(VALU_DEP_2) | instskip(NEXT) | instid1(VALU_DEP_2)
	v_add_co_u32 v8, vcc_lo, s68, v8
	v_div_fixup_f32 v11, v11, v112, v1
	s_delay_alu instid0(VALU_DEP_4) | instskip(NEXT) | instid1(VALU_DEP_2)
	v_add_co_ci_u32_e32 v9, vcc_lo, s69, v9, vcc_lo
	v_cndmask_b32_e64 v11, v1, v11, s1
	v_mov_b32_e32 v1, v115
	s_clause 0x1
	global_store_b32 v[8:9], v10, off
	global_store_b32 v[8:9], v11, off offset:512
	s_waitcnt_vscnt null, 0x0
	s_barrier
	buffer_gl0_inv
	s_cbranch_scc1 .LBB28_48
; %bb.45:
	v_or_b32_e32 v1, 0x800, v39
	ds_load_b32 v1, v1 offset:128
	s_waitcnt lgkmcnt(0)
	ds_bpermute_b32 v8, v2, v1
	s_waitcnt lgkmcnt(0)
	v_dual_max_f32 v1, v1, v1 :: v_dual_max_f32 v8, v8, v8
	s_delay_alu instid0(VALU_DEP_1) | instskip(SKIP_3) | instid1(VALU_DEP_1)
	v_max_f32_e32 v1, v1, v8
	ds_bpermute_b32 v8, v3, v1
	s_waitcnt lgkmcnt(0)
	v_max_f32_e32 v8, v8, v8
	v_max_f32_e32 v1, v1, v8
	ds_bpermute_b32 v8, v4, v1
	s_waitcnt lgkmcnt(0)
	v_max_f32_e32 v8, v8, v8
	s_delay_alu instid0(VALU_DEP_1) | instskip(SKIP_3) | instid1(VALU_DEP_1)
	v_max_f32_e32 v1, v1, v8
	ds_bpermute_b32 v8, v6, v1
	s_waitcnt lgkmcnt(0)
	v_max_f32_e32 v8, v8, v8
	v_max_f32_e32 v1, v1, v8
	ds_bpermute_b32 v8, v5, v1
	s_waitcnt lgkmcnt(0)
	v_max_f32_e32 v8, v8, v8
	s_delay_alu instid0(VALU_DEP_1) | instskip(NEXT) | instid1(VALU_DEP_1)
	v_max_f32_e32 v1, v1, v8
	v_sub_f32_e32 v8, v115, v1
	s_delay_alu instid0(VALU_DEP_1) | instskip(SKIP_1) | instid1(VALU_DEP_2)
	v_mul_f32_e32 v9, 0x3fb8aa3b, v8
	v_cmp_ngt_f32_e32 vcc_lo, 0xc2ce8ed0, v8
	v_fma_f32 v10, 0x3fb8aa3b, v8, -v9
	v_rndne_f32_e32 v11, v9
	s_delay_alu instid0(VALU_DEP_1) | instskip(NEXT) | instid1(VALU_DEP_1)
	v_dual_fmamk_f32 v10, v8, 0x32a5705f, v10 :: v_dual_sub_f32 v9, v9, v11
	v_add_f32_e32 v9, v9, v10
	v_cvt_i32_f32_e32 v10, v11
	ds_load_b128 v[11:14], v124 offset:16
	v_exp_f32_e32 v9, v9
	s_waitcnt_depctr 0xfff
	v_ldexp_f32 v9, v9, v10
	s_delay_alu instid0(VALU_DEP_1) | instskip(SKIP_1) | instid1(VALU_DEP_2)
	v_cndmask_b32_e32 v9, 0, v9, vcc_lo
	v_cmp_nlt_f32_e32 vcc_lo, 0x42b17218, v8
	v_cndmask_b32_e32 v8, 0x7f800000, v9, vcc_lo
	s_delay_alu instid0(VALU_DEP_1)
	v_mul_f32_e32 v9, v113, v8
	ds_bpermute_b32 v9, v2, v9
	s_waitcnt lgkmcnt(0)
	v_fmac_f32_e32 v9, v113, v8
	v_cvt_f16_f32_e32 v8, v8
	ds_bpermute_b32 v10, v3, v9
	v_pk_mul_f16 v11, v8, v11 op_sel_hi:[0,1]
	v_pk_mul_f16 v12, v8, v12 op_sel_hi:[0,1]
	;; [unrolled: 1-line block ×4, first 2 shown]
	v_add_nc_u32_e32 v8, 0x900, v39
	ds_store_b128 v124, v[11:14] offset:16
	ds_store_2addr_b64 v7, v[11:12], v[13:14] offset1:32
	s_waitcnt lgkmcnt(2)
	v_add_f32_e32 v9, v9, v10
	ds_bpermute_b32 v10, v4, v9
	s_waitcnt lgkmcnt(0)
	v_add_f32_e32 v9, v9, v10
	ds_bpermute_b32 v10, v6, v9
	;; [unrolled: 3-line block ×3, first 2 shown]
	s_and_saveexec_b32 s2, s0
	s_cbranch_execz .LBB28_47
; %bb.46:
	v_lshlrev_b32_e32 v7, 2, v37
	s_waitcnt lgkmcnt(0)
	v_add_f32_e32 v9, v9, v10
	ds_store_b32 v7, v9 offset:2432
.LBB28_47:
	s_or_b32 exec_lo, exec_lo, s2
	s_waitcnt lgkmcnt(0)
	s_barrier
	buffer_gl0_inv
	scratch_load_b32 v12, off, off offset:988 ; 4-byte Folded Reload
	ds_load_b32 v7, v8 offset:128
	s_add_i32 s3, s3, s77
	s_waitcnt vmcnt(0)
	ds_load_u16 v8, v12
	ds_load_u16 v9, v12 offset:1280
	ds_load_u16 v10, v12 offset:768
	;; [unrolled: 1-line block ×3, first 2 shown]
	s_waitcnt lgkmcnt(4)
	ds_bpermute_b32 v2, v2, v7
	s_mul_i32 s2, s4, s3
	s_delay_alu instid0(SALU_CYCLE_1)
	s_add_i32 s2, s2, s14
	s_waitcnt lgkmcnt(4)
	v_cvt_f32_f16_e32 v8, v8
	s_waitcnt lgkmcnt(2)
	v_cvt_f32_f16_e32 v10, v10
	s_waitcnt lgkmcnt(1)
	v_cvt_f32_f16_e32 v11, v11
	s_waitcnt lgkmcnt(0)
	s_delay_alu instid0(VALU_DEP_1)
	v_dual_add_f32 v2, v7, v2 :: v_dual_add_f32 v11, 0, v11
	ds_bpermute_b32 v3, v3, v2
	s_waitcnt lgkmcnt(0)
	v_add_f32_e32 v2, v2, v3
	ds_bpermute_b32 v3, v4, v2
	s_waitcnt lgkmcnt(0)
	v_add_f32_e32 v2, v2, v3
	ds_bpermute_b32 v3, v6, v2
	ds_load_u16 v4, v12 offset:512
	ds_load_u16 v6, v12 offset:1024
	;; [unrolled: 1-line block ×3, first 2 shown]
	s_waitcnt lgkmcnt(2)
	v_cvt_f32_f16_e32 v4, v4
	v_add_f32_e32 v2, v2, v3
	ds_load_u16 v3, v12 offset:1792
	s_waitcnt lgkmcnt(2)
	v_cvt_f32_f16_e32 v6, v6
	s_waitcnt lgkmcnt(1)
	v_cvt_f32_f16_e32 v7, v7
	ds_bpermute_b32 v5, v5, v2
	v_add_f32_e32 v8, 0, v8
	s_waitcnt lgkmcnt(1)
	v_cvt_f32_f16_e32 v3, v3
	s_waitcnt lgkmcnt(0)
	s_delay_alu instid0(VALU_DEP_2) | instskip(SKIP_2) | instid1(VALU_DEP_3)
	v_dual_add_f32 v113, v2, v5 :: v_dual_add_f32 v4, v8, v4
	v_cvt_f32_f16_e32 v8, v9
	v_add_f32_e32 v9, v11, v10
	v_add_f32_e32 v4, v4, v6
	s_delay_alu instid0(VALU_DEP_1) | instskip(NEXT) | instid1(VALU_DEP_1)
	v_add_f32_e32 v4, v4, v7
	v_div_scale_f32 v10, vcc_lo, v4, v113, v4
	s_delay_alu instid0(VALU_DEP_4) | instskip(SKIP_1) | instid1(VALU_DEP_2)
	v_add_f32_e32 v6, v9, v8
	v_div_scale_f32 v2, null, v113, v113, v4
	v_add_f32_e32 v5, v6, v3
	s_delay_alu instid0(VALU_DEP_2) | instskip(NEXT) | instid1(VALU_DEP_1)
	v_rcp_f32_e32 v7, v2
	v_div_scale_f32 v6, null, v113, v113, v5
	v_div_scale_f32 v11, s0, v5, v113, v5
	s_delay_alu instid0(VALU_DEP_2) | instskip(SKIP_2) | instid1(VALU_DEP_1)
	v_rcp_f32_e32 v8, v6
	s_waitcnt_depctr 0xfff
	v_fma_f32 v3, -v2, v7, 1.0
	v_fmac_f32_e32 v7, v3, v7
	v_fma_f32 v9, -v6, v8, 1.0
	s_delay_alu instid0(VALU_DEP_1) | instskip(NEXT) | instid1(VALU_DEP_1)
	v_dual_fmac_f32 v8, v9, v8 :: v_dual_mul_f32 v9, v10, v7
	v_fma_f32 v3, -v2, v9, v10
	s_delay_alu instid0(VALU_DEP_1) | instskip(NEXT) | instid1(VALU_DEP_3)
	v_fmac_f32_e32 v9, v3, v7
	v_dual_mul_f32 v12, v11, v8 :: v_dual_mov_b32 v3, 0
	s_delay_alu instid0(VALU_DEP_2) | instskip(NEXT) | instid1(VALU_DEP_2)
	v_fma_f32 v10, -v2, v9, v10
	v_fma_f32 v13, -v6, v12, v11
	v_lshl_or_b32 v2, s2, 8, v33
	s_delay_alu instid0(VALU_DEP_3) | instskip(NEXT) | instid1(VALU_DEP_3)
	v_div_fmas_f32 v7, v10, v7, v9
	v_fmac_f32_e32 v12, v13, v8
	s_mov_b32 vcc_lo, s0
	s_delay_alu instid0(VALU_DEP_3) | instskip(NEXT) | instid1(VALU_DEP_3)
	v_lshlrev_b64 v[2:3], 2, v[2:3]
	v_div_fixup_f32 v7, v7, v113, v4
	s_delay_alu instid0(VALU_DEP_3) | instskip(NEXT) | instid1(VALU_DEP_2)
	v_fma_f32 v6, -v6, v12, v11
	v_cndmask_b32_e64 v4, v4, v7, s1
	s_delay_alu instid0(VALU_DEP_2) | instskip(SKIP_2) | instid1(VALU_DEP_3)
	v_div_fmas_f32 v6, v6, v8, v12
	v_add_co_u32 v2, vcc_lo, s68, v2
	v_add_co_ci_u32_e32 v3, vcc_lo, s69, v3, vcc_lo
	v_div_fixup_f32 v6, v6, v113, v5
	s_delay_alu instid0(VALU_DEP_1)
	v_cndmask_b32_e64 v5, v5, v6, s1
	s_clause 0x1
	global_store_b32 v[2:3], v4, off
	global_store_b32 v[2:3], v5, off offset:512
.LBB28_48:
	v_dual_mov_b32 v115, v1 :: v_dual_mov_b32 v114, v0
.LBB28_49:
	v_or_b32_e32 v0, s85, v36
	v_cmp_gt_u32_e32 vcc_lo, 2, v33
	s_waitcnt lgkmcnt(0)
	s_cmp_lg_u32 s4, 1
	s_cselect_b32 s1, -1, 0
	v_cmp_gt_i32_e64 s0, s76, v0
	s_and_b32 s1, vcc_lo, s1
	s_delay_alu instid0(VALU_DEP_1) | instid1(SALU_CYCLE_1)
	s_and_b32 s0, s1, s0
	s_delay_alu instid0(SALU_CYCLE_1)
	s_and_saveexec_b32 s1, s0
	s_cbranch_execz .LBB28_51
; %bb.50:
	v_mad_u64_u32 v[1:2], null, s84, s76, v[0:1]
	v_cmp_eq_u32_e32 vcc_lo, 1, v33
	s_delay_alu instid0(VALU_DEP_2) | instskip(SKIP_1) | instid1(VALU_DEP_2)
	v_mad_u64_u32 v[2:3], null, v1, s77, s[78:79]
	v_cndmask_b32_e32 v3, v112, v113, vcc_lo
	v_mad_u64_u32 v[0:1], null, s4, v2, s[14:15]
	v_dual_mov_b32 v1, 0 :: v_dual_cndmask_b32 v2, v114, v115
	s_delay_alu instid0(VALU_DEP_1) | instskip(NEXT) | instid1(VALU_DEP_1)
	v_lshlrev_b64 v[0:1], 3, v[0:1]
	v_add_co_u32 v0, vcc_lo, s70, v0
	s_delay_alu instid0(VALU_DEP_2)
	v_add_co_ci_u32_e32 v1, vcc_lo, s71, v1, vcc_lo
	global_store_b64 v[0:1], v[2:3], off
.LBB28_51:
	s_nop 0
	s_sendmsg sendmsg(MSG_DEALLOC_VGPRS)
	s_endpgm
	.section	.rodata,"a",@progbits
	.p2align	6, 0x0
	.amdhsa_kernel _ZL18flash_attn_ext_vecILi256ELi2EL9ggml_type3ELS0_3ELb0EEvPKcS2_S2_S2_S2_PKiPfP15HIP_vector_typeIfLj2EEffffjfiS6_IjLj3EEiiiiiiiiiiiliiliiiiil
		.amdhsa_group_segment_fixed_size 6656
		.amdhsa_private_segment_fixed_size 1036
		.amdhsa_kernarg_size 464
		.amdhsa_user_sgpr_count 13
		.amdhsa_user_sgpr_dispatch_ptr 1
		.amdhsa_user_sgpr_queue_ptr 0
		.amdhsa_user_sgpr_kernarg_segment_ptr 1
		.amdhsa_user_sgpr_dispatch_id 0
		.amdhsa_user_sgpr_private_segment_size 0
		.amdhsa_wavefront_size32 1
		.amdhsa_uses_dynamic_stack 0
		.amdhsa_enable_private_segment 1
		.amdhsa_system_sgpr_workgroup_id_x 1
		.amdhsa_system_sgpr_workgroup_id_y 1
		.amdhsa_system_sgpr_workgroup_id_z 1
		.amdhsa_system_sgpr_workgroup_info 0
		.amdhsa_system_vgpr_workitem_id 2
		.amdhsa_next_free_vgpr 256
		.amdhsa_next_free_sgpr 94
		.amdhsa_reserve_vcc 1
		.amdhsa_float_round_mode_32 0
		.amdhsa_float_round_mode_16_64 0
		.amdhsa_float_denorm_mode_32 3
		.amdhsa_float_denorm_mode_16_64 3
		.amdhsa_dx10_clamp 1
		.amdhsa_ieee_mode 1
		.amdhsa_fp16_overflow 0
		.amdhsa_workgroup_processor_mode 1
		.amdhsa_memory_ordered 1
		.amdhsa_forward_progress 0
		.amdhsa_shared_vgpr_count 0
		.amdhsa_exception_fp_ieee_invalid_op 0
		.amdhsa_exception_fp_denorm_src 0
		.amdhsa_exception_fp_ieee_div_zero 0
		.amdhsa_exception_fp_ieee_overflow 0
		.amdhsa_exception_fp_ieee_underflow 0
		.amdhsa_exception_fp_ieee_inexact 0
		.amdhsa_exception_int_div_zero 0
	.end_amdhsa_kernel
	.section	.text._ZL18flash_attn_ext_vecILi256ELi2EL9ggml_type3ELS0_3ELb0EEvPKcS2_S2_S2_S2_PKiPfP15HIP_vector_typeIfLj2EEffffjfiS6_IjLj3EEiiiiiiiiiiiliiliiiiil,"axG",@progbits,_ZL18flash_attn_ext_vecILi256ELi2EL9ggml_type3ELS0_3ELb0EEvPKcS2_S2_S2_S2_PKiPfP15HIP_vector_typeIfLj2EEffffjfiS6_IjLj3EEiiiiiiiiiiiliiliiiiil,comdat
.Lfunc_end28:
	.size	_ZL18flash_attn_ext_vecILi256ELi2EL9ggml_type3ELS0_3ELb0EEvPKcS2_S2_S2_S2_PKiPfP15HIP_vector_typeIfLj2EEffffjfiS6_IjLj3EEiiiiiiiiiiiliiliiiiil, .Lfunc_end28-_ZL18flash_attn_ext_vecILi256ELi2EL9ggml_type3ELS0_3ELb0EEvPKcS2_S2_S2_S2_PKiPfP15HIP_vector_typeIfLj2EEffffjfiS6_IjLj3EEiiiiiiiiiiiliiliiiiil
                                        ; -- End function
	.section	.AMDGPU.csdata,"",@progbits
; Kernel info:
; codeLenInByte = 40748
; NumSgprs: 96
; NumVgprs: 256
; ScratchSize: 1036
; MemoryBound: 0
; FloatMode: 240
; IeeeMode: 1
; LDSByteSize: 6656 bytes/workgroup (compile time only)
; SGPRBlocks: 11
; VGPRBlocks: 31
; NumSGPRsForWavesPerEU: 96
; NumVGPRsForWavesPerEU: 256
; Occupancy: 5
; WaveLimiterHint : 0
; COMPUTE_PGM_RSRC2:SCRATCH_EN: 1
; COMPUTE_PGM_RSRC2:USER_SGPR: 13
; COMPUTE_PGM_RSRC2:TRAP_HANDLER: 0
; COMPUTE_PGM_RSRC2:TGID_X_EN: 1
; COMPUTE_PGM_RSRC2:TGID_Y_EN: 1
; COMPUTE_PGM_RSRC2:TGID_Z_EN: 1
; COMPUTE_PGM_RSRC2:TIDIG_COMP_CNT: 2
	.section	.text._ZL33flash_attn_stream_k_fixup_uniformILi256ELi2ELi1EEvPfPK15HIP_vector_typeIfLj2EEiiiiiiS1_IjLj3EES5_S5_,"axG",@progbits,_ZL33flash_attn_stream_k_fixup_uniformILi256ELi2ELi1EEvPfPK15HIP_vector_typeIfLj2EEiiiiiiS1_IjLj3EES5_S5_,comdat
	.globl	_ZL33flash_attn_stream_k_fixup_uniformILi256ELi2ELi1EEvPfPK15HIP_vector_typeIfLj2EEiiiiiiS1_IjLj3EES5_S5_ ; -- Begin function _ZL33flash_attn_stream_k_fixup_uniformILi256ELi2ELi1EEvPfPK15HIP_vector_typeIfLj2EEiiiiiiS1_IjLj3EES5_S5_
	.p2align	8
	.type	_ZL33flash_attn_stream_k_fixup_uniformILi256ELi2ELi1EEvPfPK15HIP_vector_typeIfLj2EEiiiiiiS1_IjLj3EES5_S5_,@function
_ZL33flash_attn_stream_k_fixup_uniformILi256ELi2ELi1EEvPfPK15HIP_vector_typeIfLj2EEiiiiiiS1_IjLj3EES5_S5_: ; @_ZL33flash_attn_stream_k_fixup_uniformILi256ELi2ELi1EEvPfPK15HIP_vector_typeIfLj2EEiiiiiiS1_IjLj3EES5_S5_
; %bb.0:
	s_clause 0x1
	s_load_b256 s[4:11], s[0:1], 0x1c
	s_load_b128 s[16:19], s[0:1], 0x3c
	s_waitcnt lgkmcnt(0)
	s_mul_hi_u32 s2, s7, s13
	s_delay_alu instid0(SALU_CYCLE_1) | instskip(NEXT) | instid1(SALU_CYCLE_1)
	s_add_i32 s2, s13, s2
	s_lshr_b32 s2, s2, s8
	s_delay_alu instid0(SALU_CYCLE_1) | instskip(SKIP_2) | instid1(SALU_CYCLE_1)
	s_mul_i32 s3, s2, s9
	s_load_b64 s[8:9], s[0:1], 0x10
	s_sub_i32 s7, s13, s3
	s_mul_hi_u32 s3, s7, s10
	s_delay_alu instid0(SALU_CYCLE_1) | instskip(NEXT) | instid1(SALU_CYCLE_1)
	s_add_i32 s3, s7, s3
	s_lshr_b32 s3, s3, s11
	s_delay_alu instid0(SALU_CYCLE_1) | instskip(NEXT) | instid1(SALU_CYCLE_1)
	s_mul_i32 s10, s3, s16
	s_sub_i32 s10, s7, s10
	s_delay_alu instid0(SALU_CYCLE_1) | instskip(NEXT) | instid1(SALU_CYCLE_1)
	s_mul_hi_u32 s7, s10, s17
	s_add_i32 s7, s10, s7
	s_delay_alu instid0(SALU_CYCLE_1) | instskip(NEXT) | instid1(SALU_CYCLE_1)
	s_lshr_b32 s7, s7, s18
	s_mul_i32 s11, s7, s19
	s_delay_alu instid0(SALU_CYCLE_1) | instskip(NEXT) | instid1(SALU_CYCLE_1)
	s_sub_i32 s10, s10, s11
	s_lshl_b32 s11, s10, 1
	s_delay_alu instid0(SALU_CYCLE_1) | instskip(SKIP_4) | instid1(SALU_CYCLE_1)
	s_add_i32 s11, s11, s14
	s_waitcnt lgkmcnt(0)
	s_cmp_lt_i32 s11, s8
	s_cselect_b32 s11, -1, 0
	s_add_i32 s12, s7, s15
	s_cmp_lt_i32 s12, s5
	s_cselect_b32 s12, -1, 0
	s_delay_alu instid0(SALU_CYCLE_1) | instskip(NEXT) | instid1(SALU_CYCLE_1)
	s_and_b32 s11, s11, s12
	s_and_not1_b32 vcc_lo, exec_lo, s11
	s_cbranch_vccnz .LBB29_6
; %bb.1:
	s_mul_i32 s2, s2, s8
	s_mul_i32 s5, s3, s5
	s_add_i32 s2, s2, s14
	s_delay_alu instid0(SALU_CYCLE_1) | instskip(NEXT) | instid1(SALU_CYCLE_1)
	s_mul_i32 s2, s2, s9
	s_add_i32 s8, s2, s15
	s_load_b128 s[0:3], s[0:1], 0x0
	s_add_i32 s5, s8, s5
	s_mul_i32 s8, s9, s10
	s_add_i32 s5, s5, s7
	s_lshl_b32 s7, s8, 9
	s_lshl_b32 s5, s5, 8
	s_add_i32 s10, s14, s15
	s_add_i32 s7, s7, s5
	s_mul_i32 s5, s13, s6
	v_or_b32_e32 v1, s7, v0
	s_add_i32 s9, s5, s6
	s_delay_alu instid0(VALU_DEP_1) | instskip(NEXT) | instid1(VALU_DEP_1)
	v_ashrrev_i32_e32 v2, 31, v1
	v_lshlrev_b64 v[1:2], 2, v[1:2]
	s_waitcnt lgkmcnt(0)
	s_delay_alu instid0(VALU_DEP_1) | instskip(NEXT) | instid1(VALU_DEP_2)
	v_add_co_u32 v1, vcc_lo, s0, v1
	v_add_co_ci_u32_e32 v2, vcc_lo, s1, v2, vcc_lo
	s_lshl_b32 s0, s9, 1
	s_delay_alu instid0(SALU_CYCLE_1) | instskip(SKIP_2) | instid1(SALU_CYCLE_1)
	s_add_i32 s0, s10, s0
	global_load_b32 v5, v[1:2], off
	s_add_i32 s0, s0, -2
	s_ashr_i32 s1, s0, 31
	s_delay_alu instid0(SALU_CYCLE_1) | instskip(NEXT) | instid1(SALU_CYCLE_1)
	s_lshl_b64 s[0:1], s[0:1], 3
	s_add_u32 s0, s2, s0
	s_addc_u32 s1, s3, s1
	s_add_i32 s7, s9, -2
	s_load_b32 s11, s[0:1], 0x4
	s_cmp_lt_i32 s7, s5
	s_cbranch_scc1 .LBB29_4
; %bb.2:
	s_lshl_b32 s14, s4, 3
	s_load_b32 s12, s[0:1], 0x0
	s_ashr_i32 s15, s14, 31
	s_delay_alu instid0(SALU_CYCLE_1) | instskip(NEXT) | instid1(SALU_CYCLE_1)
	s_lshl_b64 s[0:1], s[14:15], 2
	s_add_u32 s7, s2, s0
	s_addc_u32 s8, s3, s1
	s_add_i32 s13, s13, 1
	s_lshl_b32 s1, s10, 8
	s_mul_i32 s0, s6, s13
	s_delay_alu instid0(SALU_CYCLE_1)
	s_lshl_b32 s6, s0, 9
	s_lshl_b32 s0, s0, 1
	s_add_i32 s1, s1, s6
	s_add_i32 s0, s10, s0
	v_or_b32_e32 v0, s1, v0
	s_lshl_b32 s1, s4, 1
	s_waitcnt lgkmcnt(0)
	v_mov_b32_e32 v6, s11
	s_add_i32 s0, s0, s1
	s_add_i32 s4, s9, -1
	v_dual_mov_b32 v0, s12 :: v_dual_add_nc_u32 v3, 0xfffffc00, v0
	s_add_i32 s0, s0, -4
.LBB29_3:                               ; =>This Inner Loop Header: Depth=1
	s_delay_alu instid0(VALU_DEP_1) | instskip(SKIP_1) | instid1(SALU_CYCLE_1)
	v_ashrrev_i32_e32 v4, 31, v3
	s_ashr_i32 s1, s0, 31
	s_lshl_b64 s[10:11], s[0:1], 3
	s_delay_alu instid0(SALU_CYCLE_1) | instskip(NEXT) | instid1(VALU_DEP_1)
	s_add_u32 s10, s2, s10
	v_lshlrev_b64 v[7:8], 2, v[3:4]
	s_addc_u32 s11, s3, s11
	s_add_i32 s4, s4, -1
	s_add_i32 s0, s0, -2
	s_cmp_le_i32 s4, s5
	s_load_b64 s[10:11], s[10:11], 0x0
	v_add_co_u32 v7, vcc_lo, s7, v7
	v_add_co_ci_u32_e32 v8, vcc_lo, s8, v8, vcc_lo
	global_load_b32 v4, v[7:8], off
	v_max_f32_e32 v7, v0, v0
	s_waitcnt lgkmcnt(0)
	v_max_f32_e64 v8, s10, s10
	s_delay_alu instid0(VALU_DEP_1) | instskip(NEXT) | instid1(VALU_DEP_1)
	v_max_f32_e32 v7, v7, v8
	v_sub_f32_e32 v8, s10, v7
	s_delay_alu instid0(VALU_DEP_1) | instskip(NEXT) | instid1(VALU_DEP_1)
	v_dual_sub_f32 v0, v0, v7 :: v_dual_mul_f32 v9, 0x3fb8aa3b, v8
	v_fma_f32 v10, 0x3fb8aa3b, v8, -v9
	v_rndne_f32_e32 v11, v9
	s_delay_alu instid0(VALU_DEP_3) | instskip(NEXT) | instid1(VALU_DEP_2)
	v_mul_f32_e32 v12, 0x3fb8aa3b, v0
	v_dual_fmac_f32 v10, 0x32a5705f, v8 :: v_dual_sub_f32 v9, v9, v11
	v_cvt_i32_f32_e32 v11, v11
	s_delay_alu instid0(VALU_DEP_3) | instskip(SKIP_1) | instid1(VALU_DEP_4)
	v_fma_f32 v13, 0x3fb8aa3b, v0, -v12
	v_rndne_f32_e32 v14, v12
	v_add_f32_e32 v9, v9, v10
	v_cmp_ngt_f32_e32 vcc_lo, 0xc2ce8ed0, v8
	s_delay_alu instid0(VALU_DEP_3) | instskip(NEXT) | instid1(VALU_DEP_3)
	v_sub_f32_e32 v10, v12, v14
	v_exp_f32_e32 v9, v9
	s_waitcnt_depctr 0xfff
	v_ldexp_f32 v9, v9, v11
	v_cvt_i32_f32_e32 v11, v14
	s_delay_alu instid0(VALU_DEP_2) | instskip(SKIP_1) | instid1(VALU_DEP_2)
	v_cndmask_b32_e32 v9, 0, v9, vcc_lo
	v_cmp_nlt_f32_e32 vcc_lo, 0x42b17218, v8
	v_cndmask_b32_e32 v9, 0x7f800000, v9, vcc_lo
	v_cmp_ngt_f32_e32 vcc_lo, 0xc2ce8ed0, v0
	v_fmac_f32_e32 v13, 0x32a5705f, v0
	s_delay_alu instid0(VALU_DEP_1) | instskip(NEXT) | instid1(VALU_DEP_1)
	v_add_f32_e32 v10, v10, v13
	v_exp_f32_e32 v10, v10
	s_waitcnt_depctr 0xfff
	v_ldexp_f32 v10, v10, v11
	s_delay_alu instid0(VALU_DEP_1)
	v_dual_mov_b32 v11, v6 :: v_dual_cndmask_b32 v10, 0, v10
	v_cmp_le_f32_e32 vcc_lo, 0xc1a00000, v8
	s_waitcnt vmcnt(1)
	v_dual_cndmask_b32 v8, 0, v9 :: v_dual_mov_b32 v9, v5
	v_cmp_nlt_f32_e32 vcc_lo, 0x42b17218, v0
	v_cndmask_b32_e32 v5, 0x7f800000, v10, vcc_lo
	s_delay_alu instid0(VALU_DEP_3) | instskip(SKIP_2) | instid1(VALU_DEP_3)
	v_mul_f32_e32 v10, s11, v8
	v_cmp_le_f32_e32 vcc_lo, 0xc1a00000, v0
	v_mov_b32_e32 v0, v7
	v_mov_b32_e32 v6, v10
	s_waitcnt vmcnt(0)
	v_dual_cndmask_b32 v12, 0, v5 :: v_dual_mul_f32 v5, v4, v8
	s_delay_alu instid0(VALU_DEP_1) | instskip(NEXT) | instid1(VALU_DEP_2)
	v_dual_fmac_f32 v6, v11, v12 :: v_dual_add_nc_u32 v3, 0xfffffe00, v3
	v_fmac_f32_e32 v5, v9, v12
	s_cbranch_scc0 .LBB29_3
	s_branch .LBB29_5
.LBB29_4:
	s_waitcnt lgkmcnt(0)
	v_mov_b32_e32 v6, s11
.LBB29_5:
	s_waitcnt vmcnt(0)
	s_delay_alu instid0(VALU_DEP_1) | instskip(NEXT) | instid1(VALU_DEP_1)
	v_div_scale_f32 v0, null, v6, v6, v5
	v_rcp_f32_e32 v3, v0
	s_waitcnt_depctr 0xfff
	v_fma_f32 v4, -v0, v3, 1.0
	s_delay_alu instid0(VALU_DEP_1) | instskip(SKIP_1) | instid1(VALU_DEP_1)
	v_fmac_f32_e32 v3, v4, v3
	v_div_scale_f32 v4, vcc_lo, v5, v6, v5
	v_mul_f32_e32 v7, v4, v3
	s_delay_alu instid0(VALU_DEP_1) | instskip(NEXT) | instid1(VALU_DEP_1)
	v_fma_f32 v8, -v0, v7, v4
	v_fmac_f32_e32 v7, v8, v3
	s_delay_alu instid0(VALU_DEP_1) | instskip(NEXT) | instid1(VALU_DEP_1)
	v_fma_f32 v0, -v0, v7, v4
	v_div_fmas_f32 v0, v0, v3, v7
	s_delay_alu instid0(VALU_DEP_1)
	v_div_fixup_f32 v0, v0, v6, v5
	global_store_b32 v[1:2], v0, off
.LBB29_6:
	s_nop 0
	s_sendmsg sendmsg(MSG_DEALLOC_VGPRS)
	s_endpgm
	.section	.rodata,"a",@progbits
	.p2align	6, 0x0
	.amdhsa_kernel _ZL33flash_attn_stream_k_fixup_uniformILi256ELi2ELi1EEvPfPK15HIP_vector_typeIfLj2EEiiiiiiS1_IjLj3EES5_S5_
		.amdhsa_group_segment_fixed_size 0
		.amdhsa_private_segment_fixed_size 0
		.amdhsa_kernarg_size 76
		.amdhsa_user_sgpr_count 13
		.amdhsa_user_sgpr_dispatch_ptr 0
		.amdhsa_user_sgpr_queue_ptr 0
		.amdhsa_user_sgpr_kernarg_segment_ptr 1
		.amdhsa_user_sgpr_dispatch_id 0
		.amdhsa_user_sgpr_private_segment_size 0
		.amdhsa_wavefront_size32 1
		.amdhsa_uses_dynamic_stack 0
		.amdhsa_enable_private_segment 0
		.amdhsa_system_sgpr_workgroup_id_x 1
		.amdhsa_system_sgpr_workgroup_id_y 1
		.amdhsa_system_sgpr_workgroup_id_z 1
		.amdhsa_system_sgpr_workgroup_info 0
		.amdhsa_system_vgpr_workitem_id 0
		.amdhsa_next_free_vgpr 15
		.amdhsa_next_free_sgpr 20
		.amdhsa_reserve_vcc 1
		.amdhsa_float_round_mode_32 0
		.amdhsa_float_round_mode_16_64 0
		.amdhsa_float_denorm_mode_32 3
		.amdhsa_float_denorm_mode_16_64 3
		.amdhsa_dx10_clamp 1
		.amdhsa_ieee_mode 1
		.amdhsa_fp16_overflow 0
		.amdhsa_workgroup_processor_mode 1
		.amdhsa_memory_ordered 1
		.amdhsa_forward_progress 0
		.amdhsa_shared_vgpr_count 0
		.amdhsa_exception_fp_ieee_invalid_op 0
		.amdhsa_exception_fp_denorm_src 0
		.amdhsa_exception_fp_ieee_div_zero 0
		.amdhsa_exception_fp_ieee_overflow 0
		.amdhsa_exception_fp_ieee_underflow 0
		.amdhsa_exception_fp_ieee_inexact 0
		.amdhsa_exception_int_div_zero 0
	.end_amdhsa_kernel
	.section	.text._ZL33flash_attn_stream_k_fixup_uniformILi256ELi2ELi1EEvPfPK15HIP_vector_typeIfLj2EEiiiiiiS1_IjLj3EES5_S5_,"axG",@progbits,_ZL33flash_attn_stream_k_fixup_uniformILi256ELi2ELi1EEvPfPK15HIP_vector_typeIfLj2EEiiiiiiS1_IjLj3EES5_S5_,comdat
.Lfunc_end29:
	.size	_ZL33flash_attn_stream_k_fixup_uniformILi256ELi2ELi1EEvPfPK15HIP_vector_typeIfLj2EEiiiiiiS1_IjLj3EES5_S5_, .Lfunc_end29-_ZL33flash_attn_stream_k_fixup_uniformILi256ELi2ELi1EEvPfPK15HIP_vector_typeIfLj2EEiiiiiiS1_IjLj3EES5_S5_
                                        ; -- End function
	.section	.AMDGPU.csdata,"",@progbits
; Kernel info:
; codeLenInByte = 976
; NumSgprs: 22
; NumVgprs: 15
; ScratchSize: 0
; MemoryBound: 0
; FloatMode: 240
; IeeeMode: 1
; LDSByteSize: 0 bytes/workgroup (compile time only)
; SGPRBlocks: 2
; VGPRBlocks: 1
; NumSGPRsForWavesPerEU: 22
; NumVGPRsForWavesPerEU: 15
; Occupancy: 16
; WaveLimiterHint : 0
; COMPUTE_PGM_RSRC2:SCRATCH_EN: 0
; COMPUTE_PGM_RSRC2:USER_SGPR: 13
; COMPUTE_PGM_RSRC2:TRAP_HANDLER: 0
; COMPUTE_PGM_RSRC2:TGID_X_EN: 1
; COMPUTE_PGM_RSRC2:TGID_Y_EN: 1
; COMPUTE_PGM_RSRC2:TGID_Z_EN: 1
; COMPUTE_PGM_RSRC2:TIDIG_COMP_CNT: 0
	.section	.text._ZL33flash_attn_stream_k_fixup_generalILi256ELi2ELi1EEvPfPK15HIP_vector_typeIfLj2EEiiiiS1_IjLj3EES5_S5_S5_,"axG",@progbits,_ZL33flash_attn_stream_k_fixup_generalILi256ELi2ELi1EEvPfPK15HIP_vector_typeIfLj2EEiiiiS1_IjLj3EES5_S5_S5_,comdat
	.globl	_ZL33flash_attn_stream_k_fixup_generalILi256ELi2ELi1EEvPfPK15HIP_vector_typeIfLj2EEiiiiS1_IjLj3EES5_S5_S5_ ; -- Begin function _ZL33flash_attn_stream_k_fixup_generalILi256ELi2ELi1EEvPfPK15HIP_vector_typeIfLj2EEiiiiS1_IjLj3EES5_S5_S5_
	.p2align	8
	.type	_ZL33flash_attn_stream_k_fixup_generalILi256ELi2ELi1EEvPfPK15HIP_vector_typeIfLj2EEiiiiS1_IjLj3EES5_S5_S5_,@function
_ZL33flash_attn_stream_k_fixup_generalILi256ELi2ELi1EEvPfPK15HIP_vector_typeIfLj2EEiiiiS1_IjLj3EES5_S5_S5_: ; @_ZL33flash_attn_stream_k_fixup_generalILi256ELi2ELi1EEvPfPK15HIP_vector_typeIfLj2EEiiiiS1_IjLj3EES5_S5_S5_
; %bb.0:
	s_clause 0x1
	s_load_b128 s[4:7], s[0:1], 0x10
	s_load_b32 s20, s[0:1], 0x50
	s_mov_b32 s2, 0
	s_waitcnt lgkmcnt(0)
	s_mul_hi_i32 s3, s7, s13
	s_mul_i32 s12, s7, s13
	s_cmp_lg_u64 s[2:3], 0
	s_cbranch_scc0 .LBB30_21
; %bb.1:
	v_cvt_f32_ubyte0_e32 v1, 0
	v_cvt_f32_u32_e32 v2, s20
	s_sub_u32 s10, 0, s20
	s_subb_u32 s11, 0, 0
	s_delay_alu instid0(VALU_DEP_1) | instskip(NEXT) | instid1(VALU_DEP_1)
	v_fmamk_f32 v1, v1, 0x4f800000, v2
	v_rcp_f32_e32 v1, v1
	s_waitcnt_depctr 0xfff
	v_mul_f32_e32 v1, 0x5f7ffffc, v1
	s_delay_alu instid0(VALU_DEP_1) | instskip(NEXT) | instid1(VALU_DEP_1)
	v_mul_f32_e32 v2, 0x2f800000, v1
	v_trunc_f32_e32 v2, v2
	s_delay_alu instid0(VALU_DEP_1) | instskip(SKIP_1) | instid1(VALU_DEP_2)
	v_fmamk_f32 v1, v2, 0xcf800000, v1
	v_cvt_u32_f32_e32 v2, v2
	v_cvt_u32_f32_e32 v1, v1
	s_delay_alu instid0(VALU_DEP_2) | instskip(NEXT) | instid1(VALU_DEP_2)
	v_readfirstlane_b32 s8, v2
	v_readfirstlane_b32 s9, v1
	s_delay_alu instid0(VALU_DEP_2) | instskip(NEXT) | instid1(VALU_DEP_1)
	s_mul_i32 s16, s10, s8
	s_mul_hi_u32 s18, s10, s9
	s_mul_i32 s17, s11, s9
	s_add_i32 s16, s18, s16
	s_mul_i32 s19, s10, s9
	s_add_i32 s16, s16, s17
	s_mul_hi_u32 s18, s9, s19
	s_mul_hi_u32 s21, s8, s19
	s_mul_i32 s17, s8, s19
	s_mul_hi_u32 s19, s9, s16
	s_mul_i32 s9, s9, s16
	s_mul_hi_u32 s22, s8, s16
	s_add_u32 s9, s18, s9
	s_addc_u32 s18, 0, s19
	s_add_u32 s9, s9, s17
	s_mul_i32 s16, s8, s16
	s_addc_u32 s9, s18, s21
	s_addc_u32 s17, s22, 0
	s_add_u32 s9, s9, s16
	s_addc_u32 s16, 0, s17
	v_add_co_u32 v1, s9, v1, s9
	s_delay_alu instid0(VALU_DEP_1) | instskip(SKIP_1) | instid1(VALU_DEP_1)
	s_cmp_lg_u32 s9, 0
	s_addc_u32 s8, s8, s16
	v_readfirstlane_b32 s9, v1
	s_mul_i32 s16, s10, s8
	s_delay_alu instid0(VALU_DEP_1)
	s_mul_hi_u32 s17, s10, s9
	s_mul_i32 s11, s11, s9
	s_add_i32 s16, s17, s16
	s_mul_i32 s10, s10, s9
	s_add_i32 s16, s16, s11
	s_mul_hi_u32 s17, s8, s10
	s_mul_i32 s18, s8, s10
	s_mul_hi_u32 s10, s9, s10
	s_mul_hi_u32 s19, s9, s16
	s_mul_i32 s9, s9, s16
	s_mul_hi_u32 s11, s8, s16
	s_add_u32 s9, s10, s9
	s_addc_u32 s10, 0, s19
	s_add_u32 s9, s9, s18
	s_mul_i32 s16, s8, s16
	s_addc_u32 s9, s10, s17
	s_addc_u32 s10, s11, 0
	s_add_u32 s9, s9, s16
	s_addc_u32 s10, 0, s10
	v_add_co_u32 v1, s9, v1, s9
	s_delay_alu instid0(VALU_DEP_1) | instskip(SKIP_2) | instid1(SALU_CYCLE_1)
	s_cmp_lg_u32 s9, 0
	s_addc_u32 s16, s8, s10
	s_ashr_i32 s8, s3, 31
	s_add_u32 s10, s12, s8
	s_addc_u32 s11, s3, s8
	v_readfirstlane_b32 s3, v1
	s_mov_b32 s9, s8
	s_delay_alu instid0(SALU_CYCLE_1) | instskip(NEXT) | instid1(SALU_CYCLE_1)
	s_xor_b64 s[10:11], s[10:11], s[8:9]
	s_mul_i32 s18, s10, s16
	s_delay_alu instid0(VALU_DEP_1)
	s_mul_hi_u32 s19, s10, s3
	s_mul_hi_u32 s17, s10, s16
	;; [unrolled: 1-line block ×3, first 2 shown]
	s_mul_i32 s3, s11, s3
	s_add_u32 s18, s19, s18
	s_addc_u32 s17, 0, s17
	s_mul_hi_u32 s21, s11, s16
	s_add_u32 s3, s18, s3
	s_mul_i32 s16, s11, s16
	s_addc_u32 s3, s17, s22
	s_addc_u32 s17, s21, 0
	s_add_u32 s3, s3, s16
	s_addc_u32 s16, 0, s17
	s_mul_i32 s18, s20, s3
	s_add_u32 s17, s3, 1
	v_sub_co_u32 v1, s10, s10, s18
	s_mul_hi_u32 s18, s20, s3
	s_addc_u32 s19, s16, 0
	s_mul_i32 s21, s20, s16
	s_delay_alu instid0(VALU_DEP_1)
	v_sub_co_u32 v2, s22, v1, s20
	s_add_u32 s23, s3, 2
	s_addc_u32 s24, s16, 0
	s_add_i32 s18, s18, s21
	s_cmp_lg_u32 s10, 0
	v_readfirstlane_b32 s10, v2
	s_subb_u32 s11, s11, s18
	s_cmp_lg_u32 s22, 0
	s_subb_u32 s18, s11, 0
	s_delay_alu instid0(VALU_DEP_1) | instskip(SKIP_4) | instid1(SALU_CYCLE_1)
	s_cmp_ge_u32 s10, s20
	s_cselect_b32 s10, -1, 0
	s_cmp_eq_u32 s18, 0
	v_readfirstlane_b32 s18, v1
	s_cselect_b32 s10, s10, -1
	s_cmp_lg_u32 s10, 0
	s_cselect_b32 s10, s23, s17
	s_cselect_b32 s17, s24, s19
	s_cmp_ge_u32 s18, s20
	s_cselect_b32 s18, -1, 0
	s_cmp_eq_u32 s11, 0
	s_cselect_b32 s11, s18, -1
	s_delay_alu instid0(SALU_CYCLE_1) | instskip(SKIP_2) | instid1(SALU_CYCLE_1)
	s_cmp_lg_u32 s11, 0
	s_cselect_b32 s11, s17, s16
	s_cselect_b32 s10, s10, s3
	s_xor_b64 s[10:11], s[10:11], s[8:9]
	s_delay_alu instid0(SALU_CYCLE_1)
	s_sub_u32 s16, s10, s8
	s_load_b128 s[8:11], s[0:1], 0x44
	s_and_not1_b32 vcc_lo, exec_lo, s2
	s_cbranch_vccnz .LBB30_3
.LBB30_2:
	v_cvt_f32_u32_e32 v1, s20
	s_sub_i32 s3, 0, s20
	s_delay_alu instid0(VALU_DEP_1) | instskip(SKIP_2) | instid1(VALU_DEP_1)
	v_rcp_iflag_f32_e32 v1, v1
	s_waitcnt_depctr 0xfff
	v_mul_f32_e32 v1, 0x4f7ffffe, v1
	v_cvt_u32_f32_e32 v1, v1
	s_delay_alu instid0(VALU_DEP_1) | instskip(NEXT) | instid1(VALU_DEP_1)
	v_readfirstlane_b32 s2, v1
	s_mul_i32 s3, s3, s2
	s_delay_alu instid0(SALU_CYCLE_1) | instskip(NEXT) | instid1(SALU_CYCLE_1)
	s_mul_hi_u32 s3, s2, s3
	s_add_i32 s2, s2, s3
	s_delay_alu instid0(SALU_CYCLE_1) | instskip(NEXT) | instid1(SALU_CYCLE_1)
	s_mul_hi_u32 s2, s12, s2
	s_mul_i32 s3, s2, s20
	s_waitcnt lgkmcnt(0)
	s_add_i32 s11, s2, 1
	s_sub_i32 s3, s12, s3
	s_delay_alu instid0(SALU_CYCLE_1)
	s_sub_i32 s12, s3, s20
	s_cmp_ge_u32 s3, s20
	s_cselect_b32 s2, s11, s2
	s_cselect_b32 s3, s12, s3
	s_add_i32 s11, s2, 1
	s_cmp_ge_u32 s3, s20
	s_cselect_b32 s16, s11, s2
.LBB30_3:
	s_waitcnt lgkmcnt(0)
	s_add_i32 s11, s13, 1
	s_mov_b32 s2, 0
	s_mul_hi_i32 s3, s7, s11
	s_mul_i32 s11, s7, s11
	s_cmp_lg_u64 s[2:3], 0
	s_cbranch_scc0 .LBB30_22
; %bb.4:
	v_cvt_f32_ubyte0_e32 v1, 0
	v_cvt_f32_u32_e32 v2, s20
	s_sub_u32 s18, 0, s20
	s_subb_u32 s19, 0, 0
	s_delay_alu instid0(VALU_DEP_1) | instskip(NEXT) | instid1(VALU_DEP_1)
	v_fmamk_f32 v1, v1, 0x4f800000, v2
	v_rcp_f32_e32 v1, v1
	s_waitcnt_depctr 0xfff
	v_mul_f32_e32 v1, 0x5f7ffffc, v1
	s_delay_alu instid0(VALU_DEP_1) | instskip(NEXT) | instid1(VALU_DEP_1)
	v_mul_f32_e32 v2, 0x2f800000, v1
	v_trunc_f32_e32 v2, v2
	s_delay_alu instid0(VALU_DEP_1) | instskip(SKIP_1) | instid1(VALU_DEP_2)
	v_fmamk_f32 v1, v2, 0xcf800000, v1
	v_cvt_u32_f32_e32 v2, v2
	v_cvt_u32_f32_e32 v1, v1
	s_delay_alu instid0(VALU_DEP_2) | instskip(NEXT) | instid1(VALU_DEP_2)
	v_readfirstlane_b32 s12, v2
	v_readfirstlane_b32 s17, v1
	s_delay_alu instid0(VALU_DEP_2) | instskip(NEXT) | instid1(VALU_DEP_1)
	s_mul_i32 s21, s18, s12
	s_mul_hi_u32 s23, s18, s17
	s_mul_i32 s22, s19, s17
	s_add_i32 s21, s23, s21
	s_mul_i32 s24, s18, s17
	s_add_i32 s21, s21, s22
	s_mul_hi_u32 s23, s17, s24
	s_mul_hi_u32 s25, s12, s24
	s_mul_i32 s22, s12, s24
	s_mul_hi_u32 s24, s17, s21
	s_mul_i32 s17, s17, s21
	s_mul_hi_u32 s26, s12, s21
	s_add_u32 s17, s23, s17
	s_addc_u32 s23, 0, s24
	s_add_u32 s17, s17, s22
	s_mul_i32 s21, s12, s21
	s_addc_u32 s17, s23, s25
	s_addc_u32 s22, s26, 0
	s_add_u32 s17, s17, s21
	s_addc_u32 s21, 0, s22
	v_add_co_u32 v1, s17, v1, s17
	s_delay_alu instid0(VALU_DEP_1) | instskip(SKIP_1) | instid1(VALU_DEP_1)
	s_cmp_lg_u32 s17, 0
	s_addc_u32 s12, s12, s21
	v_readfirstlane_b32 s17, v1
	s_mul_i32 s21, s18, s12
	s_delay_alu instid0(VALU_DEP_1)
	s_mul_hi_u32 s22, s18, s17
	s_mul_i32 s19, s19, s17
	s_add_i32 s21, s22, s21
	s_mul_i32 s18, s18, s17
	s_add_i32 s21, s21, s19
	s_mul_hi_u32 s22, s12, s18
	s_mul_i32 s23, s12, s18
	s_mul_hi_u32 s18, s17, s18
	s_mul_hi_u32 s24, s17, s21
	s_mul_i32 s17, s17, s21
	s_mul_hi_u32 s19, s12, s21
	s_add_u32 s17, s18, s17
	s_addc_u32 s18, 0, s24
	s_add_u32 s17, s17, s23
	s_mul_i32 s21, s12, s21
	s_addc_u32 s17, s18, s22
	s_addc_u32 s18, s19, 0
	s_add_u32 s17, s17, s21
	s_addc_u32 s18, 0, s18
	v_add_co_u32 v1, s17, v1, s17
	s_delay_alu instid0(VALU_DEP_1) | instskip(SKIP_2) | instid1(SALU_CYCLE_1)
	s_cmp_lg_u32 s17, 0
	s_addc_u32 s12, s12, s18
	s_ashr_i32 s18, s3, 31
	s_add_u32 s22, s11, s18
	s_addc_u32 s23, s3, s18
	v_readfirstlane_b32 s3, v1
	s_mov_b32 s19, s18
	s_delay_alu instid0(SALU_CYCLE_1) | instskip(NEXT) | instid1(SALU_CYCLE_1)
	s_xor_b64 s[22:23], s[22:23], s[18:19]
	s_mul_i32 s21, s22, s12
	s_delay_alu instid0(VALU_DEP_1)
	s_mul_hi_u32 s24, s22, s3
	s_mul_hi_u32 s17, s22, s12
	;; [unrolled: 1-line block ×3, first 2 shown]
	s_mul_i32 s3, s23, s3
	s_add_u32 s21, s24, s21
	s_addc_u32 s17, 0, s17
	s_mul_hi_u32 s25, s23, s12
	s_add_u32 s3, s21, s3
	s_mul_i32 s12, s23, s12
	s_addc_u32 s3, s17, s26
	s_addc_u32 s17, s25, 0
	s_add_u32 s3, s3, s12
	s_addc_u32 s12, 0, s17
	s_mul_i32 s21, s20, s3
	s_add_u32 s17, s3, 1
	v_sub_co_u32 v1, s21, s22, s21
	s_mul_hi_u32 s22, s20, s3
	s_addc_u32 s24, s12, 0
	s_mul_i32 s25, s20, s12
	s_delay_alu instid0(VALU_DEP_1)
	v_sub_co_u32 v2, s26, v1, s20
	s_add_u32 s27, s3, 2
	s_addc_u32 s28, s12, 0
	s_add_i32 s22, s22, s25
	s_cmp_lg_u32 s21, 0
	v_readfirstlane_b32 s21, v2
	s_subb_u32 s22, s23, s22
	s_cmp_lg_u32 s26, 0
	s_subb_u32 s23, s22, 0
	s_delay_alu instid0(VALU_DEP_1) | instskip(SKIP_4) | instid1(SALU_CYCLE_1)
	s_cmp_ge_u32 s21, s20
	s_cselect_b32 s21, -1, 0
	s_cmp_eq_u32 s23, 0
	v_readfirstlane_b32 s23, v1
	s_cselect_b32 s21, s21, -1
	s_cmp_lg_u32 s21, 0
	s_cselect_b32 s17, s27, s17
	s_cselect_b32 s21, s28, s24
	s_cmp_ge_u32 s23, s20
	s_cselect_b32 s23, -1, 0
	s_cmp_eq_u32 s22, 0
	s_cselect_b32 s22, s23, -1
	s_delay_alu instid0(SALU_CYCLE_1) | instskip(SKIP_2) | instid1(SALU_CYCLE_1)
	s_cmp_lg_u32 s22, 0
	s_cselect_b32 s23, s21, s12
	s_cselect_b32 s22, s17, s3
	s_xor_b64 s[22:23], s[22:23], s[18:19]
	s_delay_alu instid0(SALU_CYCLE_1)
	s_sub_u32 s18, s22, s18
	s_and_not1_b32 vcc_lo, exec_lo, s2
	s_cbranch_vccnz .LBB30_6
.LBB30_5:
	v_cvt_f32_u32_e32 v1, s20
	s_sub_i32 s3, 0, s20
	s_delay_alu instid0(VALU_DEP_1) | instskip(SKIP_2) | instid1(VALU_DEP_1)
	v_rcp_iflag_f32_e32 v1, v1
	s_waitcnt_depctr 0xfff
	v_mul_f32_e32 v1, 0x4f7ffffe, v1
	v_cvt_u32_f32_e32 v1, v1
	s_delay_alu instid0(VALU_DEP_1) | instskip(NEXT) | instid1(VALU_DEP_1)
	v_readfirstlane_b32 s2, v1
	s_mul_i32 s3, s3, s2
	s_delay_alu instid0(SALU_CYCLE_1) | instskip(NEXT) | instid1(SALU_CYCLE_1)
	s_mul_hi_u32 s3, s2, s3
	s_add_i32 s2, s2, s3
	s_delay_alu instid0(SALU_CYCLE_1) | instskip(NEXT) | instid1(SALU_CYCLE_1)
	s_mul_hi_u32 s2, s11, s2
	s_mul_i32 s3, s2, s20
	s_delay_alu instid0(SALU_CYCLE_1)
	s_sub_i32 s3, s11, s3
	s_add_i32 s11, s2, 1
	s_sub_i32 s12, s3, s20
	s_cmp_ge_u32 s3, s20
	s_cselect_b32 s2, s11, s2
	s_cselect_b32 s3, s12, s3
	s_add_i32 s11, s2, 1
	s_cmp_ge_u32 s3, s20
	s_cselect_b32 s18, s11, s2
.LBB30_6:
	s_delay_alu instid0(SALU_CYCLE_1) | instskip(SKIP_3) | instid1(SALU_CYCLE_1)
	s_cmp_eq_u32 s16, s18
	s_mul_hi_u32 s2, s16, s8
	s_cselect_b32 s3, -1, 0
	s_add_i32 s2, s2, s16
	s_lshr_b32 s11, s2, s9
	s_delay_alu instid0(SALU_CYCLE_1) | instskip(NEXT) | instid1(SALU_CYCLE_1)
	s_mul_i32 s2, s11, s10
	s_cmp_eq_u32 s2, s16
	s_mul_hi_u32 s2, s18, s8
	s_cselect_b32 s12, -1, 0
	s_add_i32 s2, s2, s18
	s_delay_alu instid0(SALU_CYCLE_1) | instskip(NEXT) | instid1(SALU_CYCLE_1)
	s_lshr_b32 s2, s2, s9
	s_cmp_eq_u32 s11, s2
	s_mul_i32 s2, s2, s10
	s_cselect_b32 s17, -1, 0
	s_cmp_lg_u32 s2, s18
	s_cselect_b32 s2, -1, 0
	s_or_b32 s3, s3, s12
	s_and_b32 s2, s17, s2
	s_delay_alu instid0(SALU_CYCLE_1) | instskip(NEXT) | instid1(SALU_CYCLE_1)
	s_or_b32 s2, s3, s2
	s_and_b32 vcc_lo, exec_lo, s2
	s_cbranch_vccnz .LBB30_24
; %bb.7:
	s_load_b256 s[24:31], s[0:1], 0x20
	s_waitcnt lgkmcnt(0)
	s_mul_hi_u32 s2, s16, s24
	s_delay_alu instid0(SALU_CYCLE_1) | instskip(NEXT) | instid1(SALU_CYCLE_1)
	s_add_i32 s2, s2, s16
	s_lshr_b32 s18, s2, s25
	s_load_b32 s2, s[0:1], 0x40
	s_mul_i32 s3, s18, s26
	s_delay_alu instid0(SALU_CYCLE_1) | instskip(NEXT) | instid1(SALU_CYCLE_1)
	s_sub_i32 s3, s16, s3
	s_mul_hi_u32 s12, s3, s27
	s_delay_alu instid0(SALU_CYCLE_1) | instskip(NEXT) | instid1(SALU_CYCLE_1)
	s_add_i32 s12, s3, s12
	s_lshr_b32 s21, s12, s28
	s_delay_alu instid0(SALU_CYCLE_1) | instskip(NEXT) | instid1(SALU_CYCLE_1)
	s_mul_i32 s12, s21, s29
	s_sub_i32 s3, s3, s12
	s_delay_alu instid0(SALU_CYCLE_1) | instskip(NEXT) | instid1(SALU_CYCLE_1)
	s_mul_hi_u32 s12, s3, s30
	s_add_i32 s12, s3, s12
	s_delay_alu instid0(SALU_CYCLE_1) | instskip(SKIP_3) | instid1(SALU_CYCLE_1)
	s_lshr_b32 s22, s12, s31
	s_mov_b32 s12, 0
	s_waitcnt lgkmcnt(0)
	s_mul_i32 s2, s22, s2
	s_sub_i32 s2, s3, s2
	s_delay_alu instid0(SALU_CYCLE_1) | instskip(NEXT) | instid1(SALU_CYCLE_1)
	s_mul_hi_u32 s3, s2, s8
	s_add_i32 s2, s2, s3
	s_delay_alu instid0(SALU_CYCLE_1) | instskip(NEXT) | instid1(SALU_CYCLE_1)
	s_lshr_b32 s23, s2, s9
	s_lshl_b32 s2, s23, 1
	s_delay_alu instid0(SALU_CYCLE_1) | instskip(NEXT) | instid1(SALU_CYCLE_1)
	s_add_i32 s2, s2, s14
	s_cmp_lt_i32 s2, s4
	s_cselect_b32 s2, -1, 0
	s_add_i32 s3, s22, s15
	s_delay_alu instid0(SALU_CYCLE_1) | instskip(SKIP_1) | instid1(SALU_CYCLE_1)
	s_cmp_lt_i32 s3, s6
	s_cselect_b32 s3, -1, 0
	s_and_b32 s2, s2, s3
	s_delay_alu instid0(SALU_CYCLE_1)
	s_and_not1_b32 vcc_lo, exec_lo, s2
	s_cbranch_vccnz .LBB30_24
; %bb.8:
	s_load_b128 s[0:3], s[0:1], 0x0
	s_lshl_b32 s24, s20, 3
	s_mov_b32 s25, s12
	s_add_i32 s17, s14, s15
	s_lshl_b64 s[24:25], s[24:25], 2
	s_mul_i32 s4, s18, s4
	s_mul_i32 s21, s21, s6
	v_cvt_f32_ubyte0_e32 v4, 0
	v_cvt_f32_u32_e32 v5, s20
	s_waitcnt lgkmcnt(0)
	s_add_u32 s18, s2, s24
	s_addc_u32 s19, s3, s25
	s_add_i32 s4, s4, s14
	s_delay_alu instid0(SALU_CYCLE_1) | instskip(SKIP_4) | instid1(SALU_CYCLE_1)
	s_mul_i32 s4, s4, s5
	s_mul_i32 s5, s5, s23
	s_add_i32 s4, s4, s15
	s_lshl_b32 s5, s5, 9
	s_add_i32 s4, s4, s21
	s_add_i32 s4, s4, s22
	s_delay_alu instid0(SALU_CYCLE_1) | instskip(NEXT) | instid1(SALU_CYCLE_1)
	s_lshl_b32 s4, s4, 8
	s_add_i32 s5, s5, s4
	s_delay_alu instid0(SALU_CYCLE_1) | instskip(SKIP_1) | instid1(VALU_DEP_2)
	v_or_b32_e32 v1, s5, v0
	v_lshl_or_b32 v0, s17, 8, v0
	v_ashrrev_i32_e32 v2, 31, v1
	s_delay_alu instid0(VALU_DEP_1) | instskip(NEXT) | instid1(VALU_DEP_1)
	v_lshlrev_b64 v[1:2], 2, v[1:2]
	v_add_co_u32 v1, vcc_lo, s0, v1
	s_delay_alu instid0(VALU_DEP_2) | instskip(SKIP_1) | instid1(SALU_CYCLE_1)
	v_add_co_ci_u32_e32 v2, vcc_lo, s1, v2, vcc_lo
	s_lshl_b32 s0, s13, 1
	s_add_i32 s0, s0, s17
	global_load_b32 v3, v[1:2], off
	s_ashr_i32 s1, s0, 31
	s_delay_alu instid0(SALU_CYCLE_1) | instskip(NEXT) | instid1(SALU_CYCLE_1)
	s_lshl_b64 s[0:1], s[0:1], 3
	s_add_u32 s0, s2, s0
	s_addc_u32 s1, s3, s1
	s_add_i32 s14, s13, -1
	s_load_b64 s[0:1], s[0:1], 0x0
	v_fmac_f32_e32 v5, 0x4f800000, v4
	s_sub_i32 s6, 0, s20
	s_waitcnt lgkmcnt(0)
	v_mov_b32_e32 v8, s0
	s_delay_alu instid0(VALU_DEP_2) | instskip(SKIP_2) | instid1(VALU_DEP_2)
	v_rcp_f32_e32 v4, v5
	v_cvt_f32_u32_e32 v5, s20
	v_mov_b32_e32 v7, s1
	v_rcp_iflag_f32_e32 v5, v5
	s_waitcnt_depctr 0xfff
	v_mul_f32_e32 v4, 0x5f7ffffc, v4
	s_delay_alu instid0(VALU_DEP_1) | instskip(SKIP_1) | instid1(VALU_DEP_2)
	v_mul_f32_e32 v6, 0x2f800000, v4
	v_mul_f32_e32 v9, 0x4f7ffffe, v5
	v_trunc_f32_e32 v6, v6
	s_delay_alu instid0(VALU_DEP_1) | instskip(SKIP_1) | instid1(VALU_DEP_4)
	v_fmac_f32_e32 v4, 0xcf800000, v6
	v_cvt_u32_f32_e32 v5, v6
	v_cvt_u32_f32_e32 v6, v9
	s_delay_alu instid0(VALU_DEP_3)
	v_cvt_u32_f32_e32 v4, v4
.LBB30_9:                               ; =>This Inner Loop Header: Depth=1
	s_mul_hi_i32 s13, s14, s7
	s_mul_i32 s4, s14, s7
	s_cmp_lg_u64 s[12:13], 0
	s_mov_b32 s5, -1
                                        ; implicit-def: $sgpr0_sgpr1
	s_cbranch_scc0 .LBB30_11
; %bb.10:                               ;   in Loop: Header=BB30_9 Depth=1
	v_readfirstlane_b32 s0, v4
	v_readfirstlane_b32 s1, v5
	s_sub_u32 s5, 0, s20
	s_subb_u32 s15, 0, 0
	s_delay_alu instid0(VALU_DEP_2) | instskip(NEXT) | instid1(VALU_DEP_1)
	s_mul_hi_u32 s21, s5, s0
	s_mul_i32 s22, s5, s1
	s_mul_i32 s23, s15, s0
	s_add_i32 s21, s21, s22
	s_mul_i32 s22, s5, s0
	s_add_i32 s21, s21, s23
	s_mul_hi_u32 s23, s0, s22
	s_mul_i32 s24, s0, s21
	s_mul_hi_u32 s0, s0, s21
	s_add_u32 s23, s23, s24
	s_mul_i32 s25, s1, s22
	s_addc_u32 s0, 0, s0
	s_mul_hi_u32 s22, s1, s22
	s_mul_hi_u32 s24, s1, s21
	s_add_u32 s23, s23, s25
	s_addc_u32 s0, s0, s22
	s_mul_i32 s21, s1, s21
	s_addc_u32 s22, s24, 0
	s_add_u32 s0, s0, s21
	s_addc_u32 s21, 0, s22
	v_add_co_u32 v9, s0, v4, s0
	s_delay_alu instid0(VALU_DEP_1) | instskip(SKIP_1) | instid1(VALU_DEP_1)
	s_cmp_lg_u32 s0, 0
	s_addc_u32 s1, s1, s21
	v_readfirstlane_b32 s0, v9
	s_mul_i32 s21, s5, s1
	s_delay_alu instid0(VALU_DEP_1)
	s_mul_hi_u32 s22, s5, s0
	s_mul_i32 s15, s15, s0
	s_add_i32 s21, s22, s21
	s_mul_i32 s5, s5, s0
	s_add_i32 s21, s21, s15
	s_mul_hi_u32 s15, s1, s5
	s_mul_i32 s23, s1, s5
	s_mul_i32 s24, s0, s21
	s_mul_hi_u32 s5, s0, s5
	s_mul_hi_u32 s0, s0, s21
	s_add_u32 s5, s5, s24
	s_addc_u32 s0, 0, s0
	s_mul_hi_u32 s22, s1, s21
	s_add_u32 s5, s5, s23
	s_addc_u32 s0, s0, s15
	s_mul_i32 s5, s1, s21
	s_addc_u32 s15, s22, 0
	s_add_u32 s0, s0, s5
	s_addc_u32 s5, 0, s15
	v_add_co_u32 v9, s0, v9, s0
	s_delay_alu instid0(VALU_DEP_1) | instskip(SKIP_2) | instid1(SALU_CYCLE_1)
	s_cmp_lg_u32 s0, 0
	s_addc_u32 s5, s1, s5
	s_ashr_i32 s0, s13, 31
	s_add_u32 s22, s4, s0
	s_addc_u32 s23, s13, s0
	v_readfirstlane_b32 s13, v9
	s_mov_b32 s1, s0
	s_delay_alu instid0(SALU_CYCLE_1) | instskip(NEXT) | instid1(SALU_CYCLE_1)
	s_xor_b64 s[22:23], s[22:23], s[0:1]
	s_mul_i32 s15, s22, s5
	s_delay_alu instid0(VALU_DEP_1)
	s_mul_hi_u32 s21, s22, s13
	s_mul_hi_u32 s24, s22, s5
	s_add_u32 s15, s21, s15
	s_mul_i32 s25, s23, s13
	s_addc_u32 s21, 0, s24
	s_mul_hi_u32 s13, s23, s13
	s_mul_hi_u32 s24, s23, s5
	s_add_u32 s15, s15, s25
	s_addc_u32 s13, s21, s13
	s_mul_i32 s5, s23, s5
	s_addc_u32 s15, s24, 0
	s_add_u32 s5, s13, s5
	s_addc_u32 s13, 0, s15
	s_mul_i32 s21, s20, s5
	s_add_u32 s15, s5, 1
	v_sub_co_u32 v9, s21, s22, s21
	s_addc_u32 s22, s13, 0
	s_mul_i32 s25, s20, s13
	s_mul_hi_u32 s27, s20, s5
	s_delay_alu instid0(VALU_DEP_1)
	v_sub_co_u32 v10, s26, v9, s20
	s_add_u32 s24, s5, 2
	s_addc_u32 s28, s13, 0
	s_add_i32 s27, s27, s25
	s_cmp_lg_u32 s21, 0
	v_readfirstlane_b32 s21, v10
	s_subb_u32 s23, s23, s27
	s_cmp_lg_u32 s26, 0
	s_subb_u32 s25, s23, 0
	s_delay_alu instid0(VALU_DEP_1) | instskip(SKIP_4) | instid1(SALU_CYCLE_1)
	s_cmp_ge_u32 s21, s20
	s_cselect_b32 s21, -1, 0
	s_cmp_eq_u32 s25, 0
	v_readfirstlane_b32 s25, v9
	s_cselect_b32 s21, s21, -1
	s_cmp_lg_u32 s21, 0
	s_cselect_b32 s15, s24, s15
	s_cselect_b32 s21, s28, s22
	s_cmp_ge_u32 s25, s20
	s_cselect_b32 s22, -1, 0
	s_cmp_eq_u32 s23, 0
	s_cselect_b32 s22, s22, -1
	s_delay_alu instid0(SALU_CYCLE_1) | instskip(SKIP_4) | instid1(SALU_CYCLE_1)
	s_cmp_lg_u32 s22, 0
	s_cselect_b32 s23, s21, s13
	s_cselect_b32 s22, s15, s5
	s_mov_b32 s5, 0
	s_xor_b64 s[22:23], s[22:23], s[0:1]
	s_sub_u32 s0, s22, s0
.LBB30_11:                              ;   in Loop: Header=BB30_9 Depth=1
	s_and_not1_b32 vcc_lo, exec_lo, s5
	s_cbranch_vccnz .LBB30_13
; %bb.12:                               ;   in Loop: Header=BB30_9 Depth=1
	v_readfirstlane_b32 s0, v6
	s_delay_alu instid0(VALU_DEP_1) | instskip(NEXT) | instid1(SALU_CYCLE_1)
	s_mul_i32 s1, s6, s0
	s_mul_hi_u32 s1, s0, s1
	s_delay_alu instid0(SALU_CYCLE_1) | instskip(NEXT) | instid1(SALU_CYCLE_1)
	s_add_i32 s0, s0, s1
	s_mul_hi_u32 s0, s4, s0
	s_delay_alu instid0(SALU_CYCLE_1) | instskip(NEXT) | instid1(SALU_CYCLE_1)
	s_mul_i32 s1, s0, s20
	s_sub_i32 s1, s4, s1
	s_add_i32 s4, s0, 1
	s_sub_i32 s5, s1, s20
	s_cmp_ge_u32 s1, s20
	s_cselect_b32 s0, s4, s0
	s_cselect_b32 s1, s5, s1
	s_add_i32 s4, s0, 1
	s_cmp_ge_u32 s1, s20
	s_cselect_b32 s0, s4, s0
.LBB30_13:                              ;   in Loop: Header=BB30_9 Depth=1
	s_delay_alu instid0(SALU_CYCLE_1)
	s_cmp_lg_u32 s16, s0
	s_cbranch_scc0 .LBB30_17
; %bb.14:                               ;   in Loop: Header=BB30_9 Depth=1
	s_add_i32 s1, s14, s20
	s_mov_b32 s5, s12
	s_lshl_b32 s1, s1, 1
	s_mov_b32 s15, s16
	s_add_i32 s4, s1, s17
	s_mul_hi_u32 s1, s0, s8
	s_lshl_b64 s[4:5], s[4:5], 3
	s_delay_alu instid0(SALU_CYCLE_1) | instskip(SKIP_2) | instid1(SALU_CYCLE_1)
	s_add_u32 s4, s2, s4
	s_addc_u32 s5, s3, s5
	s_add_i32 s1, s1, s0
	s_lshr_b32 s1, s1, s9
	s_delay_alu instid0(SALU_CYCLE_1) | instskip(NEXT) | instid1(SALU_CYCLE_1)
	s_mul_i32 s13, s1, s10
	s_cmp_eq_u32 s13, s0
	s_cselect_b32 s13, -1, 0
	s_cmp_lt_u32 s1, s11
	s_cselect_b32 s1, -1, 0
	s_delay_alu instid0(SALU_CYCLE_1)
	s_or_b32 s1, s1, s13
	s_mov_b32 s13, -1
	s_and_b32 vcc_lo, exec_lo, s1
	s_mov_b32 s1, s14
	s_cbranch_vccnz .LBB30_16
; %bb.15:                               ;   in Loop: Header=BB30_9 Depth=1
	s_add_i32 s1, s14, -1
	s_mov_b32 s13, 0
	s_mov_b32 s15, s0
.LBB30_16:                              ;   in Loop: Header=BB30_9 Depth=1
	v_lshl_add_u32 v9, s14, 9, v0
	s_load_b64 s[4:5], s[4:5], 0x0
	s_delay_alu instid0(VALU_DEP_1) | instskip(NEXT) | instid1(VALU_DEP_1)
	v_ashrrev_i32_e32 v10, 31, v9
	v_lshlrev_b64 v[9:10], 2, v[9:10]
	s_delay_alu instid0(VALU_DEP_1) | instskip(NEXT) | instid1(VALU_DEP_2)
	v_add_co_u32 v9, vcc_lo, s18, v9
	v_add_co_ci_u32_e32 v10, vcc_lo, s19, v10, vcc_lo
	s_waitcnt lgkmcnt(0)
	v_max_f32_e64 v11, s4, s4
	global_load_b32 v10, v[9:10], off
	v_max_f32_e32 v9, v8, v8
	s_delay_alu instid0(VALU_DEP_1) | instskip(NEXT) | instid1(VALU_DEP_1)
	v_max_f32_e32 v9, v9, v11
	v_sub_f32_e32 v12, v8, v9
	s_delay_alu instid0(VALU_DEP_1) | instskip(NEXT) | instid1(VALU_DEP_1)
	v_dual_mul_f32 v14, 0x3fb8aa3b, v12 :: v_dual_sub_f32 v11, s4, v9
	v_rndne_f32_e32 v18, v14
	s_delay_alu instid0(VALU_DEP_2) | instskip(SKIP_2) | instid1(VALU_DEP_4)
	v_mul_f32_e32 v13, 0x3fb8aa3b, v11
	v_fma_f32 v17, 0x3fb8aa3b, v12, -v14
	v_cmp_ngt_f32_e32 vcc_lo, 0xc2ce8ed0, v11
	v_sub_f32_e32 v14, v14, v18
	s_delay_alu instid0(VALU_DEP_4) | instskip(SKIP_2) | instid1(VALU_DEP_3)
	v_fma_f32 v15, 0x3fb8aa3b, v11, -v13
	v_rndne_f32_e32 v16, v13
	v_fmac_f32_e32 v17, 0x32a5705f, v12
	v_fmac_f32_e32 v15, 0x32a5705f, v11
	s_delay_alu instid0(VALU_DEP_2) | instskip(NEXT) | instid1(VALU_DEP_1)
	v_dual_sub_f32 v13, v13, v16 :: v_dual_add_f32 v14, v14, v17
	v_add_f32_e32 v13, v13, v15
	s_delay_alu instid0(VALU_DEP_2) | instskip(SKIP_2) | instid1(VALU_DEP_3)
	v_exp_f32_e32 v14, v14
	v_cvt_i32_f32_e32 v15, v16
	v_cvt_i32_f32_e32 v16, v18
	v_exp_f32_e32 v13, v13
	s_waitcnt_depctr 0xfff
	v_ldexp_f32 v14, v14, v16
	v_ldexp_f32 v13, v13, v15
	s_delay_alu instid0(VALU_DEP_1) | instskip(SKIP_1) | instid1(VALU_DEP_4)
	v_cndmask_b32_e32 v13, 0, v13, vcc_lo
	v_cmp_ngt_f32_e32 vcc_lo, 0xc2ce8ed0, v12
	v_cndmask_b32_e32 v14, 0, v14, vcc_lo
	v_cmp_nlt_f32_e32 vcc_lo, 0x42b17218, v11
	s_delay_alu instid0(VALU_DEP_4) | instskip(SKIP_1) | instid1(VALU_DEP_4)
	v_cndmask_b32_e32 v13, 0x7f800000, v13, vcc_lo
	v_cmp_nlt_f32_e32 vcc_lo, 0x42b17218, v12
	v_cndmask_b32_e32 v14, 0x7f800000, v14, vcc_lo
	v_cmp_le_f32_e32 vcc_lo, 0xc1a00000, v11
	s_delay_alu instid0(VALU_DEP_4) | instskip(SKIP_1) | instid1(VALU_DEP_4)
	v_cndmask_b32_e32 v11, 0, v13, vcc_lo
	v_cmp_le_f32_e32 vcc_lo, 0xc1a00000, v12
	v_cndmask_b32_e32 v12, 0, v14, vcc_lo
	s_waitcnt vmcnt(0)
	s_delay_alu instid0(VALU_DEP_3) | instskip(NEXT) | instid1(VALU_DEP_1)
	v_mul_f32_e32 v10, v10, v11
	v_dual_mul_f32 v11, s5, v11 :: v_dual_fmac_f32 v10, v3, v12
	s_delay_alu instid0(VALU_DEP_1)
	v_fmac_f32_e32 v11, v7, v12
	s_cbranch_execz .LBB30_18
	s_branch .LBB30_19
.LBB30_17:                              ;   in Loop: Header=BB30_9 Depth=1
                                        ; implicit-def: $sgpr13
                                        ; implicit-def: $vgpr10
                                        ; implicit-def: $vgpr9
                                        ; implicit-def: $vgpr11
                                        ; implicit-def: $sgpr1
                                        ; implicit-def: $sgpr15
.LBB30_18:                              ;   in Loop: Header=BB30_9 Depth=1
	v_mov_b32_e32 v11, v7
	s_waitcnt vmcnt(0)
	v_dual_mov_b32 v9, v8 :: v_dual_mov_b32 v10, v3
	s_add_i32 s1, s14, -1
	s_mov_b32 s13, 0
	s_mov_b32 s15, s16
.LBB30_19:                              ;   in Loop: Header=BB30_9 Depth=1
	s_and_not1_b32 vcc_lo, exec_lo, s13
	s_cbranch_vccz .LBB30_23
; %bb.20:                               ;   in Loop: Header=BB30_9 Depth=1
	v_dual_mov_b32 v7, v11 :: v_dual_mov_b32 v8, v9
	s_waitcnt vmcnt(0)
	v_mov_b32_e32 v3, v10
	s_mov_b32 s16, s15
	s_mov_b32 s14, s1
	s_branch .LBB30_9
.LBB30_21:
                                        ; implicit-def: $sgpr16_sgpr17
	s_load_b128 s[8:11], s[0:1], 0x44
	s_branch .LBB30_2
.LBB30_22:
                                        ; implicit-def: $sgpr18_sgpr19
	s_branch .LBB30_5
.LBB30_23:
	v_div_scale_f32 v0, null, v11, v11, v10
	s_waitcnt vmcnt(0)
	s_delay_alu instid0(VALU_DEP_1) | instskip(SKIP_2) | instid1(VALU_DEP_1)
	v_rcp_f32_e32 v3, v0
	s_waitcnt_depctr 0xfff
	v_fma_f32 v4, -v0, v3, 1.0
	v_fmac_f32_e32 v3, v4, v3
	v_div_scale_f32 v4, vcc_lo, v10, v11, v10
	s_delay_alu instid0(VALU_DEP_1) | instskip(NEXT) | instid1(VALU_DEP_1)
	v_mul_f32_e32 v5, v4, v3
	v_fma_f32 v6, -v0, v5, v4
	s_delay_alu instid0(VALU_DEP_1) | instskip(NEXT) | instid1(VALU_DEP_1)
	v_fmac_f32_e32 v5, v6, v3
	v_fma_f32 v0, -v0, v5, v4
	s_delay_alu instid0(VALU_DEP_1) | instskip(NEXT) | instid1(VALU_DEP_1)
	v_div_fmas_f32 v0, v0, v3, v5
	v_div_fixup_f32 v0, v0, v11, v10
	global_store_b32 v[1:2], v0, off
.LBB30_24:
	s_nop 0
	s_sendmsg sendmsg(MSG_DEALLOC_VGPRS)
	s_endpgm
	.section	.rodata,"a",@progbits
	.p2align	6, 0x0
	.amdhsa_kernel _ZL33flash_attn_stream_k_fixup_generalILi256ELi2ELi1EEvPfPK15HIP_vector_typeIfLj2EEiiiiS1_IjLj3EES5_S5_S5_
		.amdhsa_group_segment_fixed_size 0
		.amdhsa_private_segment_fixed_size 0
		.amdhsa_kernarg_size 336
		.amdhsa_user_sgpr_count 13
		.amdhsa_user_sgpr_dispatch_ptr 0
		.amdhsa_user_sgpr_queue_ptr 0
		.amdhsa_user_sgpr_kernarg_segment_ptr 1
		.amdhsa_user_sgpr_dispatch_id 0
		.amdhsa_user_sgpr_private_segment_size 0
		.amdhsa_wavefront_size32 1
		.amdhsa_uses_dynamic_stack 0
		.amdhsa_enable_private_segment 0
		.amdhsa_system_sgpr_workgroup_id_x 1
		.amdhsa_system_sgpr_workgroup_id_y 1
		.amdhsa_system_sgpr_workgroup_id_z 1
		.amdhsa_system_sgpr_workgroup_info 0
		.amdhsa_system_vgpr_workitem_id 0
		.amdhsa_next_free_vgpr 19
		.amdhsa_next_free_sgpr 32
		.amdhsa_reserve_vcc 1
		.amdhsa_float_round_mode_32 0
		.amdhsa_float_round_mode_16_64 0
		.amdhsa_float_denorm_mode_32 3
		.amdhsa_float_denorm_mode_16_64 3
		.amdhsa_dx10_clamp 1
		.amdhsa_ieee_mode 1
		.amdhsa_fp16_overflow 0
		.amdhsa_workgroup_processor_mode 1
		.amdhsa_memory_ordered 1
		.amdhsa_forward_progress 0
		.amdhsa_shared_vgpr_count 0
		.amdhsa_exception_fp_ieee_invalid_op 0
		.amdhsa_exception_fp_denorm_src 0
		.amdhsa_exception_fp_ieee_div_zero 0
		.amdhsa_exception_fp_ieee_overflow 0
		.amdhsa_exception_fp_ieee_underflow 0
		.amdhsa_exception_fp_ieee_inexact 0
		.amdhsa_exception_int_div_zero 0
	.end_amdhsa_kernel
	.section	.text._ZL33flash_attn_stream_k_fixup_generalILi256ELi2ELi1EEvPfPK15HIP_vector_typeIfLj2EEiiiiS1_IjLj3EES5_S5_S5_,"axG",@progbits,_ZL33flash_attn_stream_k_fixup_generalILi256ELi2ELi1EEvPfPK15HIP_vector_typeIfLj2EEiiiiS1_IjLj3EES5_S5_S5_,comdat
.Lfunc_end30:
	.size	_ZL33flash_attn_stream_k_fixup_generalILi256ELi2ELi1EEvPfPK15HIP_vector_typeIfLj2EEiiiiS1_IjLj3EES5_S5_S5_, .Lfunc_end30-_ZL33flash_attn_stream_k_fixup_generalILi256ELi2ELi1EEvPfPK15HIP_vector_typeIfLj2EEiiiiS1_IjLj3EES5_S5_S5_
                                        ; -- End function
	.section	.AMDGPU.csdata,"",@progbits
; Kernel info:
; codeLenInByte = 3220
; NumSgprs: 34
; NumVgprs: 19
; ScratchSize: 0
; MemoryBound: 0
; FloatMode: 240
; IeeeMode: 1
; LDSByteSize: 0 bytes/workgroup (compile time only)
; SGPRBlocks: 4
; VGPRBlocks: 2
; NumSGPRsForWavesPerEU: 34
; NumVGPRsForWavesPerEU: 19
; Occupancy: 16
; WaveLimiterHint : 0
; COMPUTE_PGM_RSRC2:SCRATCH_EN: 0
; COMPUTE_PGM_RSRC2:USER_SGPR: 13
; COMPUTE_PGM_RSRC2:TRAP_HANDLER: 0
; COMPUTE_PGM_RSRC2:TGID_X_EN: 1
; COMPUTE_PGM_RSRC2:TGID_Y_EN: 1
; COMPUTE_PGM_RSRC2:TGID_Z_EN: 1
; COMPUTE_PGM_RSRC2:TIDIG_COMP_CNT: 0
	.section	.text._ZL18flash_attn_ext_vecILi256ELi2EL9ggml_type3ELS0_3ELb1EEvPKcS2_S2_S2_S2_PKiPfP15HIP_vector_typeIfLj2EEffffjfiS6_IjLj3EEiiiiiiiiiiiliiliiiiil,"axG",@progbits,_ZL18flash_attn_ext_vecILi256ELi2EL9ggml_type3ELS0_3ELb1EEvPKcS2_S2_S2_S2_PKiPfP15HIP_vector_typeIfLj2EEffffjfiS6_IjLj3EEiiiiiiiiiiiliiliiiiil,comdat
	.globl	_ZL18flash_attn_ext_vecILi256ELi2EL9ggml_type3ELS0_3ELb1EEvPKcS2_S2_S2_S2_PKiPfP15HIP_vector_typeIfLj2EEffffjfiS6_IjLj3EEiiiiiiiiiiiliiliiiiil ; -- Begin function _ZL18flash_attn_ext_vecILi256ELi2EL9ggml_type3ELS0_3ELb1EEvPKcS2_S2_S2_S2_PKiPfP15HIP_vector_typeIfLj2EEffffjfiS6_IjLj3EEiiiiiiiiiiiliiliiiiil
	.p2align	8
	.type	_ZL18flash_attn_ext_vecILi256ELi2EL9ggml_type3ELS0_3ELb1EEvPKcS2_S2_S2_S2_PKiPfP15HIP_vector_typeIfLj2EEffffjfiS6_IjLj3EEiiiiiiiiiiiliiliiiiil,@function
_ZL18flash_attn_ext_vecILi256ELi2EL9ggml_type3ELS0_3ELb1EEvPKcS2_S2_S2_S2_PKiPfP15HIP_vector_typeIfLj2EEffffjfiS6_IjLj3EEiiiiiiiiiiiliiliiiiil: ; @_ZL18flash_attn_ext_vecILi256ELi2EL9ggml_type3ELS0_3ELb1EEvPKcS2_S2_S2_S2_PKiPfP15HIP_vector_typeIfLj2EEffffjfiS6_IjLj3EEiiiiiiiiiiiliiliiiiil
; %bb.0:
	s_clause 0x3
	s_load_b64 s[76:77], s[2:3], 0x64
	s_load_b64 s[16:17], s[2:3], 0x80
	;; [unrolled: 1-line block ×4, first 2 shown]
	s_waitcnt lgkmcnt(0)
	v_cvt_f32_u32_e32 v1, s77
	s_sub_i32 s5, 0, s77
	s_delay_alu instid0(VALU_DEP_1) | instskip(SKIP_2) | instid1(VALU_DEP_1)
	v_rcp_iflag_f32_e32 v1, v1
	s_waitcnt_depctr 0xfff
	v_mul_f32_e32 v1, 0x4f7ffffe, v1
	v_cvt_u32_f32_e32 v1, v1
	s_delay_alu instid0(VALU_DEP_1) | instskip(NEXT) | instid1(VALU_DEP_1)
	v_readfirstlane_b32 s4, v1
	s_mul_i32 s5, s5, s4
	s_delay_alu instid0(SALU_CYCLE_1) | instskip(NEXT) | instid1(SALU_CYCLE_1)
	s_mul_hi_u32 s5, s4, s5
	s_add_i32 s4, s4, s5
	s_delay_alu instid0(SALU_CYCLE_1) | instskip(NEXT) | instid1(SALU_CYCLE_1)
	s_mul_hi_u32 s4, s15, s4
	s_mul_i32 s5, s4, s77
	s_add_i32 s8, s4, 1
	s_sub_i32 s5, s15, s5
	s_delay_alu instid0(SALU_CYCLE_1)
	s_sub_i32 s9, s5, s77
	s_cmp_ge_u32 s5, s77
	s_cselect_b32 s4, s8, s4
	s_cselect_b32 s5, s9, s5
	s_add_i32 s8, s4, 1
	s_cmp_ge_u32 s5, s77
	s_cselect_b32 s86, s8, s4
	s_abs_i32 s4, s17
	s_abs_i32 s10, s77
	v_cvt_f32_u32_e32 v1, s4
	s_sub_i32 s8, 0, s4
	s_xor_b32 s9, s77, s17
	s_delay_alu instid0(SALU_CYCLE_1) | instskip(NEXT) | instid1(VALU_DEP_1)
	s_ashr_i32 s9, s9, 31
	v_rcp_iflag_f32_e32 v1, v1
	s_waitcnt_depctr 0xfff
	v_mul_f32_e32 v1, 0x4f7ffffe, v1
	s_delay_alu instid0(VALU_DEP_1) | instskip(NEXT) | instid1(VALU_DEP_1)
	v_cvt_u32_f32_e32 v1, v1
	v_readfirstlane_b32 s5, v1
	s_delay_alu instid0(VALU_DEP_1) | instskip(NEXT) | instid1(SALU_CYCLE_1)
	s_mul_i32 s8, s8, s5
	s_mul_hi_u32 s8, s5, s8
	s_delay_alu instid0(SALU_CYCLE_1) | instskip(SKIP_4) | instid1(SALU_CYCLE_1)
	s_add_i32 s5, s5, s8
	s_mul_i32 s8, s86, s77
	s_mul_hi_u32 s5, s10, s5
	s_sub_i32 s78, s15, s8
	s_mul_i32 s11, s5, s4
	s_sub_i32 s8, s10, s11
	s_add_i32 s10, s5, 1
	s_sub_i32 s11, s8, s4
	s_cmp_ge_u32 s8, s4
	s_cselect_b32 s5, s10, s5
	s_cselect_b32 s8, s11, s8
	s_add_i32 s10, s5, 1
	s_cmp_ge_u32 s8, s4
	s_cselect_b32 s4, s10, s5
	s_abs_i32 s12, s6
	s_xor_b32 s4, s4, s9
	v_cvt_f32_u32_e32 v1, s12
	s_sub_i32 s17, s4, s9
	s_load_b128 s[8:11], s[2:3], 0x40
	s_abs_i32 s15, s17
	s_delay_alu instid0(SALU_CYCLE_1) | instskip(SKIP_1) | instid1(VALU_DEP_1)
	v_cvt_f32_u32_e32 v2, s15
	v_rcp_iflag_f32_e32 v1, v1
	v_rcp_iflag_f32_e32 v2, v2
	s_waitcnt_depctr 0xfff
	v_dual_mul_f32 v1, 0x4f7ffffe, v1 :: v_dual_mul_f32 v2, 0x4f7ffffe, v2
	s_delay_alu instid0(VALU_DEP_1) | instskip(SKIP_2) | instid1(VALU_DEP_3)
	v_cvt_u32_f32_e32 v1, v1
	s_waitcnt lgkmcnt(0)
	v_cmp_le_f32_e64 s4, s9, 0
	v_cvt_u32_f32_e32 v2, v2
	s_delay_alu instid0(VALU_DEP_3) | instskip(SKIP_1) | instid1(VALU_DEP_4)
	v_readfirstlane_b32 s18, v1
	v_mov_b32_e32 v1, 1.0
	s_and_b32 vcc_lo, exec_lo, s4
	s_delay_alu instid0(VALU_DEP_3)
	v_readfirstlane_b32 s19, v2
	scratch_store_b32 off, v1, off offset:80 ; 4-byte Folded Spill
	s_cbranch_vccnz .LBB31_2
; %bb.1:
	s_sub_i32 s4, s78, s80
	s_add_i32 s5, s78, 1
	s_lshl_b32 s4, s4, 1
	v_mov_b32_e32 v1, s10
	s_or_b32 s4, s4, 1
	s_cmp_lt_u32 s78, s80
	s_cselect_b32 vcc_lo, -1, 0
	s_delay_alu instid0(VALU_DEP_1)
	v_cndmask_b32_e32 v3, s11, v1, vcc_lo
	s_and_b32 s6, vcc_lo, exec_lo
	s_cselect_b32 s4, s5, s4
	s_mov_b32 s5, 0x3e76c4e1
	v_cvt_f32_i32_e32 v1, s4
	v_cmp_neq_f32_e32 vcc_lo, 1.0, v3
	s_delay_alu instid0(VALU_DEP_2) | instskip(NEXT) | instid1(VALU_DEP_1)
	v_cndmask_b32_e32 v4, 1.0, v1, vcc_lo
	v_cmp_eq_f32_e32 vcc_lo, 0, v4
	v_cndmask_b32_e64 v5, |v3|, 1.0, vcc_lo
	s_delay_alu instid0(VALU_DEP_1) | instskip(NEXT) | instid1(VALU_DEP_1)
	v_frexp_mant_f32_e32 v1, v5
	v_cmp_gt_f32_e64 s4, 0x3f2aaaab, v1
	s_delay_alu instid0(VALU_DEP_1) | instskip(NEXT) | instid1(VALU_DEP_1)
	v_cndmask_b32_e64 v2, 1.0, 2.0, s4
	v_mul_f32_e32 v1, v1, v2
	s_delay_alu instid0(VALU_DEP_1) | instskip(SKIP_1) | instid1(VALU_DEP_2)
	v_add_f32_e32 v2, 1.0, v1
	v_add_f32_e32 v7, -1.0, v1
	v_rcp_f32_e32 v6, v2
	s_waitcnt_depctr 0xfff
	v_mul_f32_e32 v8, v7, v6
	s_delay_alu instid0(VALU_DEP_1) | instskip(NEXT) | instid1(VALU_DEP_1)
	v_dual_add_f32 v9, -1.0, v2 :: v_dual_mul_f32 v10, v2, v8
	v_sub_f32_e32 v1, v1, v9
	v_cndmask_b32_e64 v3, v3, 1.0, vcc_lo
	s_delay_alu instid0(VALU_DEP_3) | instskip(NEXT) | instid1(VALU_DEP_2)
	v_fma_f32 v2, v8, v2, -v10
	v_cmp_eq_f32_e64 s6, 0, v3
	s_delay_alu instid0(VALU_DEP_2) | instskip(NEXT) | instid1(VALU_DEP_1)
	v_fmac_f32_e32 v2, v8, v1
	v_add_f32_e32 v1, v10, v2
	s_delay_alu instid0(VALU_DEP_1) | instskip(NEXT) | instid1(VALU_DEP_1)
	v_dual_sub_f32 v10, v1, v10 :: v_dual_sub_f32 v9, v7, v1
	v_dual_sub_f32 v2, v10, v2 :: v_dual_sub_f32 v7, v7, v9
	s_delay_alu instid0(VALU_DEP_1) | instskip(NEXT) | instid1(VALU_DEP_1)
	v_sub_f32_e32 v1, v7, v1
	v_add_f32_e32 v1, v2, v1
	s_delay_alu instid0(VALU_DEP_1) | instskip(NEXT) | instid1(VALU_DEP_1)
	v_add_f32_e32 v1, v9, v1
	v_mul_f32_e32 v1, v6, v1
	s_delay_alu instid0(VALU_DEP_1) | instskip(NEXT) | instid1(VALU_DEP_1)
	v_add_f32_e32 v6, v8, v1
	v_sub_f32_e32 v2, v6, v8
	v_mul_f32_e32 v7, v6, v6
	s_delay_alu instid0(VALU_DEP_2) | instskip(NEXT) | instid1(VALU_DEP_2)
	v_sub_f32_e32 v8, v1, v2
	v_fma_f32 v9, v6, v6, -v7
	s_delay_alu instid0(VALU_DEP_2) | instskip(NEXT) | instid1(VALU_DEP_1)
	v_add_f32_e32 v1, v8, v8
	v_fmac_f32_e32 v9, v6, v1
	v_cvt_f64_f32_e32 v[1:2], v5
	s_delay_alu instid0(VALU_DEP_2) | instskip(NEXT) | instid1(VALU_DEP_1)
	v_add_f32_e32 v10, v7, v9
	v_fmaak_f32 v11, s5, v10, 0x3e91f4c4
	v_sub_f32_e32 v7, v10, v7
	v_mul_f32_e32 v14, v6, v10
	s_delay_alu instid0(VALU_DEP_3) | instskip(NEXT) | instid1(VALU_DEP_3)
	v_fmaak_f32 v11, v10, v11, 0x3ecccdef
	v_sub_f32_e32 v7, v9, v7
	s_delay_alu instid0(VALU_DEP_2) | instskip(NEXT) | instid1(VALU_DEP_1)
	v_mul_f32_e32 v12, v10, v11
	v_fma_f32 v9, v10, v11, -v12
	s_delay_alu instid0(VALU_DEP_1) | instskip(NEXT) | instid1(VALU_DEP_1)
	v_fmac_f32_e32 v9, v7, v11
	v_add_f32_e32 v11, v12, v9
	v_frexp_exp_i32_f64_e32 v1, v[1:2]
	s_delay_alu instid0(VALU_DEP_2) | instskip(NEXT) | instid1(VALU_DEP_1)
	v_sub_f32_e32 v12, v11, v12
	v_sub_f32_e32 v2, v9, v12
	v_fma_f32 v12, v10, v6, -v14
	s_delay_alu instid0(VALU_DEP_2) | instskip(NEXT) | instid1(VALU_DEP_2)
	v_add_f32_e32 v2, 0x31739010, v2
	v_dual_add_f32 v13, 0x3f2aaaaa, v11 :: v_dual_fmac_f32 v12, v10, v8
	v_ldexp_f32 v8, v8, 1
	s_delay_alu instid0(VALU_DEP_2) | instskip(NEXT) | instid1(VALU_DEP_1)
	v_dual_add_f32 v9, 0xbf2aaaaa, v13 :: v_dual_fmac_f32 v12, v7, v6
	v_sub_f32_e32 v9, v11, v9
	s_delay_alu instid0(VALU_DEP_1) | instskip(NEXT) | instid1(VALU_DEP_3)
	v_add_f32_e32 v2, v2, v9
	v_add_f32_e32 v9, v14, v12
	s_delay_alu instid0(VALU_DEP_2) | instskip(NEXT) | instid1(VALU_DEP_1)
	v_add_f32_e32 v7, v13, v2
	v_sub_f32_e32 v10, v13, v7
	s_delay_alu instid0(VALU_DEP_3) | instskip(SKIP_2) | instid1(VALU_DEP_4)
	v_mul_f32_e32 v11, v9, v7
	v_sub_f32_e32 v13, v9, v14
	v_subrev_co_ci_u32_e64 v1, s4, 0, v1, s4
	v_add_f32_e32 v2, v2, v10
	s_delay_alu instid0(VALU_DEP_4) | instskip(NEXT) | instid1(VALU_DEP_4)
	v_fma_f32 v10, v9, v7, -v11
	v_sub_f32_e32 v12, v12, v13
	s_delay_alu instid0(VALU_DEP_4) | instskip(NEXT) | instid1(VALU_DEP_3)
	v_cvt_f32_i32_e32 v1, v1
	v_fmac_f32_e32 v10, v9, v2
	v_ldexp_f32 v2, v6, 1
	s_delay_alu instid0(VALU_DEP_2) | instskip(NEXT) | instid1(VALU_DEP_1)
	v_fmac_f32_e32 v10, v12, v7
	v_add_f32_e32 v6, v11, v10
	s_delay_alu instid0(VALU_DEP_1) | instskip(NEXT) | instid1(VALU_DEP_1)
	v_add_f32_e32 v7, v2, v6
	v_dual_sub_f32 v2, v7, v2 :: v_dual_sub_f32 v9, v6, v11
	s_delay_alu instid0(VALU_DEP_1) | instskip(NEXT) | instid1(VALU_DEP_2)
	v_sub_f32_e32 v2, v6, v2
	v_sub_f32_e32 v9, v10, v9
	s_delay_alu instid0(VALU_DEP_1) | instskip(NEXT) | instid1(VALU_DEP_1)
	v_add_f32_e32 v6, v8, v9
	v_dual_mul_f32 v11, 0x3f317218, v1 :: v_dual_add_f32 v2, v6, v2
	s_delay_alu instid0(VALU_DEP_1) | instskip(NEXT) | instid1(VALU_DEP_2)
	v_fma_f32 v10, 0x3f317218, v1, -v11
	v_add_f32_e32 v8, v7, v2
	s_delay_alu instid0(VALU_DEP_1) | instskip(NEXT) | instid1(VALU_DEP_1)
	v_sub_f32_e32 v7, v8, v7
	v_dual_fmamk_f32 v1, v1, 0xb102e308, v10 :: v_dual_sub_f32 v2, v2, v7
	s_delay_alu instid0(VALU_DEP_1) | instskip(NEXT) | instid1(VALU_DEP_1)
	v_add_f32_e32 v6, v11, v1
	v_add_f32_e32 v9, v6, v8
	s_delay_alu instid0(VALU_DEP_1) | instskip(NEXT) | instid1(VALU_DEP_1)
	v_dual_sub_f32 v11, v6, v11 :: v_dual_sub_f32 v10, v9, v6
	v_sub_f32_e32 v12, v9, v10
	s_delay_alu instid0(VALU_DEP_2) | instskip(NEXT) | instid1(VALU_DEP_2)
	v_sub_f32_e32 v1, v1, v11
	v_dual_sub_f32 v7, v8, v10 :: v_dual_sub_f32 v6, v6, v12
	s_delay_alu instid0(VALU_DEP_2) | instskip(NEXT) | instid1(VALU_DEP_2)
	v_add_f32_e32 v8, v1, v2
	v_add_f32_e32 v6, v7, v6
	s_delay_alu instid0(VALU_DEP_1) | instskip(NEXT) | instid1(VALU_DEP_1)
	v_add_f32_e32 v6, v8, v6
	v_dual_sub_f32 v7, v8, v1 :: v_dual_add_f32 v10, v9, v6
	s_delay_alu instid0(VALU_DEP_1) | instskip(SKIP_1) | instid1(VALU_DEP_3)
	v_sub_f32_e32 v8, v8, v7
	v_sub_f32_e32 v2, v2, v7
	;; [unrolled: 1-line block ×3, first 2 shown]
	s_delay_alu instid0(VALU_DEP_3) | instskip(NEXT) | instid1(VALU_DEP_1)
	v_sub_f32_e32 v1, v1, v8
	v_add_f32_e32 v1, v2, v1
	s_delay_alu instid0(VALU_DEP_3) | instskip(NEXT) | instid1(VALU_DEP_1)
	v_sub_f32_e32 v2, v6, v7
	v_add_f32_e32 v1, v1, v2
	s_delay_alu instid0(VALU_DEP_1) | instskip(NEXT) | instid1(VALU_DEP_1)
	v_add_f32_e32 v2, v10, v1
	v_mul_f32_e32 v7, v4, v2
	v_sub_f32_e32 v6, v2, v10
	s_delay_alu instid0(VALU_DEP_2) | instskip(NEXT) | instid1(VALU_DEP_2)
	v_fma_f32 v2, v4, v2, -v7
	v_sub_f32_e32 v1, v1, v6
	v_cmp_class_f32_e64 s4, v7, 0x204
	s_delay_alu instid0(VALU_DEP_2) | instskip(NEXT) | instid1(VALU_DEP_1)
	v_fmac_f32_e32 v2, v4, v1
	v_add_f32_e32 v1, v7, v2
	s_delay_alu instid0(VALU_DEP_1) | instskip(NEXT) | instid1(VALU_DEP_1)
	v_cndmask_b32_e64 v6, v1, v7, s4
	v_cmp_eq_f32_e64 s4, 0x42b17218, v6
	s_delay_alu instid0(VALU_DEP_1) | instskip(SKIP_1) | instid1(VALU_DEP_2)
	v_cndmask_b32_e64 v8, 0, 0x37000000, s4
	v_cmp_neq_f32_e64 s4, 0x7f800000, |v6|
	v_sub_f32_e32 v9, v6, v8
	v_trunc_f32_e32 v6, v4
	s_delay_alu instid0(VALU_DEP_2) | instskip(NEXT) | instid1(VALU_DEP_1)
	v_mul_f32_e32 v10, 0x3fb8aa3b, v9
	v_fma_f32 v11, 0x3fb8aa3b, v9, -v10
	v_rndne_f32_e32 v12, v10
	s_delay_alu instid0(VALU_DEP_1) | instskip(NEXT) | instid1(VALU_DEP_1)
	v_dual_fmamk_f32 v11, v9, 0x32a5705f, v11 :: v_dual_sub_f32 v10, v10, v12
	v_add_f32_e32 v10, v10, v11
	v_sub_f32_e32 v1, v1, v7
	v_cvt_i32_f32_e32 v7, v12
	s_delay_alu instid0(VALU_DEP_3) | instskip(NEXT) | instid1(VALU_DEP_2)
	v_exp_f32_e32 v10, v10
	v_sub_f32_e32 v1, v2, v1
	s_delay_alu instid0(VALU_DEP_1)
	v_cndmask_b32_e64 v1, 0, v1, s4
	v_cmp_ngt_f32_e64 s4, 0xc2ce8ed0, v9
	s_waitcnt_depctr 0xfff
	v_ldexp_f32 v2, v10, v7
	v_mul_f32_e32 v7, 0.5, v4
	v_add_f32_e32 v1, v8, v1
	s_delay_alu instid0(VALU_DEP_3) | instskip(NEXT) | instid1(VALU_DEP_3)
	v_cndmask_b32_e64 v2, 0, v2, s4
	v_trunc_f32_e32 v10, v7
	v_cmp_nlt_f32_e64 s4, 0x42b17218, v9
	s_delay_alu instid0(VALU_DEP_2) | instskip(NEXT) | instid1(VALU_DEP_2)
	v_cmp_neq_f32_e64 s5, v10, v7
	v_cndmask_b32_e64 v2, 0x7f800000, v2, s4
	v_cmp_eq_f32_e64 s4, v6, v4
	s_delay_alu instid0(VALU_DEP_2) | instskip(NEXT) | instid1(VALU_DEP_2)
	v_fma_f32 v1, v2, v1, v2
	s_and_b32 vcc_lo, s4, s5
	v_cmp_class_f32_e64 s5, v2, 0x204
	v_cndmask_b32_e32 v6, 1.0, v3, vcc_lo
	s_delay_alu instid0(VALU_DEP_2) | instskip(SKIP_1) | instid1(VALU_DEP_2)
	v_cndmask_b32_e64 v1, v1, v2, s5
	v_cmp_gt_f32_e64 s5, 0, v4
	v_bfi_b32 v1, 0x7fffffff, v1, v6
	v_cndmask_b32_e32 v6, 0, v3, vcc_lo
	s_delay_alu instid0(VALU_DEP_3)
	s_xor_b32 s5, s5, s6
	v_cmp_eq_f32_e32 vcc_lo, 0x7f800000, v5
	v_cndmask_b32_e64 v2, 0x7f800000, 0, s5
	v_cndmask_b32_e64 v4, 0x7fc00000, v1, s4
	v_cmp_gt_f32_e64 s4, 0, v3
	s_or_b32 vcc_lo, vcc_lo, s6
	s_delay_alu instid0(VALU_DEP_3) | instskip(NEXT) | instid1(VALU_DEP_2)
	v_bfi_b32 v2, 0x7fffffff, v2, v6
	v_cndmask_b32_e64 v1, v1, v4, s4
	s_delay_alu instid0(VALU_DEP_1) | instskip(SKIP_1) | instid1(VALU_DEP_2)
	v_cndmask_b32_e32 v1, v1, v2, vcc_lo
	v_cmp_o_f32_e32 vcc_lo, v3, v3
	v_cndmask_b32_e32 v1, 0x7fc00000, v1, vcc_lo
	scratch_store_b32 off, v1, off offset:80 ; 4-byte Folded Spill
.LBB31_2:
	s_load_b64 s[0:1], s[0:1], 0x4
	v_bfe_u32 v37, v0, 10, 10
	v_and_b32_e32 v36, 0x3ff, v0
	s_load_b512 s[56:71], s[2:3], 0x0
	v_bfe_u32 v0, v0, 20, 10
	s_lshl_b32 s80, s13, 1
	v_lshlrev_b32_e32 v38, 9, v37
	s_mov_b32 s9, exec_lo
	s_waitcnt lgkmcnt(0)
	v_mul_u32_u24_e32 v1, s1, v37
	s_lshr_b32 s0, s0, 16
	s_delay_alu instid0(SALU_CYCLE_1)
	s_mul_i32 s0, s0, s1
	s_delay_alu instid0(VALU_DEP_1) | instid1(SALU_CYCLE_1)
	v_mad_u32_u24 v1, s0, v36, v1
	v_cmp_lt_u32_e64 s0, 1, v37
	s_delay_alu instid0(VALU_DEP_2) | instskip(NEXT) | instid1(VALU_DEP_1)
	v_add_lshl_u32 v34, v1, v0, 5
	v_dual_mov_b32 v28, 0 :: v_dual_add_nc_u32 v1, 0xa0c, v34
	v_add_nc_u32_e32 v0, 0xa04, v34
	v_add_nc_u32_e32 v2, 0xa14, v34
	;; [unrolled: 1-line block ×3, first 2 shown]
	ds_store_2addr_b32 v0, v28, v28 offset1:1
	ds_store_2addr_b32 v1, v28, v28 offset1:1
	ds_store_2addr_b32 v2, v28, v28 offset1:1
	ds_store_2addr_b32 v3, v28, v28 offset0:128 offset1:135
	v_cmpx_gt_u32_e32 2, v37
	s_cbranch_execz .LBB31_17
; %bb.3:
	v_or_b32_e32 v0, s80, v37
	v_lshl_add_u32 v4, v36, 2, v38
	s_mov_b32 s1, exec_lo
	s_delay_alu instid0(VALU_DEP_2)
	v_cmpx_le_i32_e64 s76, v0
	s_xor_b32 s1, exec_lo, s1
	s_cbranch_execz .LBB31_7
; %bb.4:
	v_mov_b32_e32 v0, 0
	s_mov_b32 s4, exec_lo
	ds_store_2addr_b32 v4, v0, v0 offset1:32
	v_cmpx_gt_u32_e32 8, v36
	s_cbranch_execz .LBB31_6
; %bb.5:
	v_lshl_add_u32 v2, v36, 2, v4
	v_mov_b32_e32 v1, v0
	ds_store_b64 v2, v[0:1] offset:256
.LBB31_6:
	s_or_b32 exec_lo, exec_lo, s4
                                        ; implicit-def: $vgpr4
.LBB31_7:
	s_and_not1_saveexec_b32 s1, s1
	s_cbranch_execz .LBB31_17
; %bb.8:
	s_load_b128 s[20:23], s[2:3], 0x70
	v_lshlrev_b32_e32 v1, 4, v36
	s_mov_b32 s6, exec_lo
	s_waitcnt lgkmcnt(0)
	v_mul_lo_u32 v0, v37, s20
	s_mul_i32 s1, s86, s22
	s_mul_i32 s4, s80, s20
	;; [unrolled: 1-line block ×3, first 2 shown]
	s_add_i32 s1, s1, s4
	s_delay_alu instid0(SALU_CYCLE_1) | instskip(NEXT) | instid1(SALU_CYCLE_1)
	s_add_i32 s1, s1, s5
	s_ashr_i32 s4, s1, 31
	s_delay_alu instid0(VALU_DEP_1) | instskip(SKIP_3) | instid1(VALU_DEP_2)
	v_ashrrev_i32_e32 v2, 31, v0
	s_add_u32 s1, s56, s1
	s_addc_u32 s4, s57, s4
	v_add_co_u32 v0, vcc_lo, s1, v0
	v_add_co_ci_u32_e32 v2, vcc_lo, s4, v2, vcc_lo
	s_delay_alu instid0(VALU_DEP_2) | instskip(NEXT) | instid1(VALU_DEP_2)
	v_add_co_u32 v0, vcc_lo, v0, v1
	v_add_co_ci_u32_e32 v1, vcc_lo, 0, v2, vcc_lo
	v_mbcnt_lo_u32_b32 v2, -1, 0
	global_load_b128 v[12:15], v[0:1], off
	v_xor_b32_e32 v5, 4, v2
	v_xor_b32_e32 v9, 2, v2
	s_delay_alu instid0(VALU_DEP_2) | instskip(SKIP_1) | instid1(VALU_DEP_3)
	v_cmp_gt_i32_e32 vcc_lo, 32, v5
	v_cndmask_b32_e32 v5, v2, v5, vcc_lo
	v_cmp_gt_i32_e32 vcc_lo, 32, v9
	s_delay_alu instid0(VALU_DEP_2) | instskip(SKIP_4) | instid1(VALU_DEP_2)
	v_lshlrev_b32_e32 v5, 2, v5
	v_cndmask_b32_e32 v9, v2, v9, vcc_lo
	s_waitcnt vmcnt(0)
	v_dual_mul_f32 v3, s8, v12 :: v_dual_mul_f32 v12, s8, v14
	v_dual_mul_f32 v8, s8, v13 :: v_dual_mul_f32 v11, s8, v15
	v_max_f32_e64 v6, |v3|, |v3|
	s_delay_alu instid0(VALU_DEP_1) | instskip(NEXT) | instid1(VALU_DEP_1)
	v_max_f32_e64 v6, v6, |v8|
	v_max3_f32 v6, v6, |v12|, |v11|
	ds_bpermute_b32 v7, v5, v6
	s_waitcnt lgkmcnt(0)
	v_dual_max_f32 v10, v7, v7 :: v_dual_lshlrev_b32 v7, 2, v9
	s_delay_alu instid0(VALU_DEP_1)
	v_max_f32_e32 v9, v6, v10
	v_xor_b32_e32 v10, 1, v2
	ds_bpermute_b32 v6, v7, v9
	v_cmp_gt_i32_e32 vcc_lo, 32, v10
	v_cndmask_b32_e32 v2, v2, v10, vcc_lo
	s_waitcnt lgkmcnt(0)
	v_max_f32_e32 v10, v6, v6
	s_delay_alu instid0(VALU_DEP_2) | instskip(NEXT) | instid1(VALU_DEP_2)
	v_lshlrev_b32_e32 v6, 2, v2
	v_max_f32_e32 v2, v9, v10
	v_fma_f32 v10, s8, v13, v3
	ds_bpermute_b32 v9, v6, v2
	s_waitcnt lgkmcnt(0)
	v_dual_fmac_f32 v10, s8, v14 :: v_dual_max_f32 v9, v9, v9
	s_delay_alu instid0(VALU_DEP_1) | instskip(NEXT) | instid1(VALU_DEP_2)
	v_fmac_f32_e32 v10, s8, v15
	v_max_f32_e32 v2, v2, v9
	ds_bpermute_b32 v13, v5, v10
	v_div_scale_f32 v14, null, 0x42fe0000, 0x42fe0000, v2
	v_div_scale_f32 v16, vcc_lo, v2, 0x42fe0000, v2
	s_delay_alu instid0(VALU_DEP_2)
	v_rcp_f32_e32 v15, v14
	s_waitcnt lgkmcnt(0)
	v_add_f32_e32 v9, v10, v13
	s_waitcnt_depctr 0xfff
	v_fma_f32 v10, -v14, v15, 1.0
	ds_bpermute_b32 v13, v7, v9
	v_fmac_f32_e32 v15, v10, v15
	s_delay_alu instid0(VALU_DEP_1) | instskip(NEXT) | instid1(VALU_DEP_1)
	v_mul_f32_e32 v17, v16, v15
	v_fma_f32 v10, -v14, v17, v16
	s_delay_alu instid0(VALU_DEP_1) | instskip(SKIP_2) | instid1(VALU_DEP_2)
	v_fmac_f32_e32 v17, v10, v15
	s_waitcnt lgkmcnt(0)
	v_add_f32_e32 v9, v9, v13
	v_fma_f32 v13, -v14, v17, v16
	ds_bpermute_b32 v10, v6, v9
	v_div_fmas_f32 v13, v13, v15, v17
	s_delay_alu instid0(VALU_DEP_1) | instskip(SKIP_1) | instid1(VALU_DEP_2)
	v_div_fixup_f32 v2, v13, 0x42fe0000, v2
	v_mov_b32_e32 v13, 0
	v_cmpx_neq_f32_e32 0, v2
	s_cbranch_execz .LBB31_10
; %bb.9:
	v_div_scale_f32 v13, null, v2, v2, v3
	v_div_scale_f32 v14, null, v2, v2, v8
	;; [unrolled: 1-line block ×3, first 2 shown]
	s_delay_alu instid0(VALU_DEP_3) | instskip(SKIP_1) | instid1(VALU_DEP_3)
	v_rcp_f32_e32 v15, v13
	v_div_scale_f32 v17, null, v2, v2, v11
	v_rcp_f32_e32 v18, v14
	s_delay_alu instid0(VALU_DEP_2) | instskip(SKIP_1) | instid1(VALU_DEP_2)
	v_rcp_f32_e32 v19, v16
	v_div_scale_f32 v23, vcc_lo, v3, v2, v3
	v_rcp_f32_e32 v20, v17
	v_fma_f32 v21, -v13, v15, 1.0
	s_delay_alu instid0(TRANS32_DEP_3)
	v_fma_f32 v22, -v14, v18, 1.0
	s_waitcnt_depctr 0xfff
	v_fma_f32 v24, -v16, v19, 1.0
	v_fmac_f32_e32 v15, v21, v15
	v_div_scale_f32 v21, s1, v8, v2, v8
	v_fmac_f32_e32 v18, v22, v18
	v_fma_f32 v25, -v17, v20, 1.0
	v_fmac_f32_e32 v19, v24, v19
	v_div_scale_f32 v22, s4, v12, v2, v12
	s_delay_alu instid0(VALU_DEP_4) | instskip(NEXT) | instid1(VALU_DEP_4)
	v_mul_f32_e32 v26, v21, v18
	v_dual_fmac_f32 v20, v25, v20 :: v_dual_mul_f32 v25, v23, v15
	v_div_scale_f32 v24, s5, v11, v2, v11
	s_delay_alu instid0(VALU_DEP_3) | instskip(SKIP_1) | instid1(VALU_DEP_4)
	v_fma_f32 v31, -v14, v26, v21
	v_mul_f32_e32 v27, v22, v19
	v_fma_f32 v30, -v13, v25, v23
	s_delay_alu instid0(VALU_DEP_3) | instskip(NEXT) | instid1(VALU_DEP_3)
	v_fmac_f32_e32 v26, v31, v18
	v_fma_f32 v32, -v16, v27, v22
	s_delay_alu instid0(VALU_DEP_3) | instskip(NEXT) | instid1(VALU_DEP_3)
	v_fmac_f32_e32 v25, v30, v15
	;; [unrolled: 3-line block ×3, first 2 shown]
	v_fma_f32 v13, -v13, v25, v23
	s_delay_alu instid0(VALU_DEP_2) | instskip(NEXT) | instid1(VALU_DEP_2)
	v_fma_f32 v16, -v16, v27, v22
	v_div_fmas_f32 v13, v13, v15, v25
	s_mov_b32 vcc_lo, s1
	v_div_fmas_f32 v14, v14, v18, v26
	s_mov_b32 vcc_lo, s4
	s_delay_alu instid0(VALU_DEP_2) | instskip(SKIP_3) | instid1(VALU_DEP_3)
	v_div_fixup_f32 v3, v13, v2, v3
	v_div_fmas_f32 v15, v16, v19, v27
	s_mov_b32 vcc_lo, s5
	v_div_fixup_f32 v8, v14, v2, v8
	v_trunc_f32_e32 v18, v3
	v_mul_f32_e32 v29, v24, v20
	v_div_fixup_f32 v12, v15, v2, v12
	s_delay_alu instid0(VALU_DEP_2) | instskip(NEXT) | instid1(VALU_DEP_2)
	v_fma_f32 v33, -v17, v29, v24
	v_trunc_f32_e32 v14, v12
	s_delay_alu instid0(VALU_DEP_2) | instskip(NEXT) | instid1(VALU_DEP_1)
	v_fmac_f32_e32 v29, v33, v20
	v_fma_f32 v16, -v17, v29, v24
	s_delay_alu instid0(VALU_DEP_1) | instskip(NEXT) | instid1(VALU_DEP_4)
	v_div_fmas_f32 v15, v16, v20, v29
	v_sub_f32_e32 v16, v12, v14
	s_delay_alu instid0(VALU_DEP_2) | instskip(NEXT) | instid1(VALU_DEP_2)
	v_div_fixup_f32 v11, v15, v2, v11
	v_cmp_ge_f32_e64 s1, |v16|, 0.5
	v_trunc_f32_e32 v15, v8
	s_delay_alu instid0(VALU_DEP_3) | instskip(NEXT) | instid1(VALU_DEP_3)
	v_trunc_f32_e32 v13, v11
	v_cndmask_b32_e64 v16, 0, 1.0, s1
	s_delay_alu instid0(VALU_DEP_3) | instskip(NEXT) | instid1(VALU_DEP_2)
	v_sub_f32_e32 v17, v8, v15
	v_bfi_b32 v12, 0x7fffffff, v16, v12
	s_delay_alu instid0(VALU_DEP_2) | instskip(SKIP_1) | instid1(VALU_DEP_3)
	v_cmp_ge_f32_e64 s1, |v17|, 0.5
	v_sub_f32_e32 v16, v3, v18
	v_add_f32_e32 v12, v14, v12
	s_delay_alu instid0(VALU_DEP_3) | instskip(NEXT) | instid1(VALU_DEP_2)
	v_cndmask_b32_e64 v17, 0, 1.0, s1
	v_cvt_i32_f32_e32 v12, v12
	v_sub_f32_e32 v19, v11, v13
	s_delay_alu instid0(VALU_DEP_3) | instskip(NEXT) | instid1(VALU_DEP_3)
	v_bfi_b32 v8, 0x7fffffff, v17, v8
	v_and_b32_e32 v12, 0xff, v12
	s_delay_alu instid0(VALU_DEP_3) | instskip(NEXT) | instid1(VALU_DEP_3)
	v_cmp_ge_f32_e64 s1, |v19|, 0.5
	v_add_f32_e32 v8, v15, v8
	s_delay_alu instid0(VALU_DEP_3) | instskip(NEXT) | instid1(VALU_DEP_3)
	v_lshlrev_b32_e32 v12, 16, v12
	v_cndmask_b32_e64 v19, 0, 1.0, s1
	v_cmp_ge_f32_e64 s1, |v16|, 0.5
	s_delay_alu instid0(VALU_DEP_4) | instskip(NEXT) | instid1(VALU_DEP_3)
	v_cvt_i32_f32_e32 v8, v8
	v_bfi_b32 v11, 0x7fffffff, v19, v11
	s_delay_alu instid0(VALU_DEP_3) | instskip(NEXT) | instid1(VALU_DEP_2)
	v_cndmask_b32_e64 v14, 0, 1.0, s1
	v_dual_add_f32 v11, v13, v11 :: v_dual_and_b32 v8, 0xff, v8
	s_delay_alu instid0(VALU_DEP_2) | instskip(NEXT) | instid1(VALU_DEP_2)
	v_bfi_b32 v3, 0x7fffffff, v14, v3
	v_lshlrev_b32_e32 v8, 8, v8
	s_delay_alu instid0(VALU_DEP_3) | instskip(NEXT) | instid1(VALU_DEP_3)
	v_cvt_i32_f32_e32 v11, v11
	v_add_f32_e32 v3, v18, v3
	s_delay_alu instid0(VALU_DEP_2) | instskip(NEXT) | instid1(VALU_DEP_2)
	v_lshl_or_b32 v11, v11, 24, v12
	v_cvt_i32_f32_e32 v3, v3
	s_delay_alu instid0(VALU_DEP_1) | instskip(NEXT) | instid1(VALU_DEP_1)
	v_and_b32_e32 v3, 0xff, v3
	v_or3_b32 v13, v11, v8, v3
.LBB31_10:
	s_or_b32 exec_lo, exec_lo, s6
	v_and_b32_e32 v3, 7, v36
	v_add_nc_u32_e32 v8, v38, v36
	ds_store_b32 v4, v13
	v_cmp_eq_u32_e64 s1, 0, v3
	s_delay_alu instid0(VALU_DEP_1)
	s_and_saveexec_b32 s4, s1
	s_cbranch_execz .LBB31_12
; %bb.11:
	s_waitcnt lgkmcnt(1)
	v_add_f32_e32 v3, v9, v10
	ds_store_b64 v8, v[2:3] offset:256
.LBB31_12:
	s_or_b32 exec_lo, exec_lo, s4
	global_load_b128 v[11:14], v[0:1], off offset:512
	s_waitcnt vmcnt(0) lgkmcnt(1)
	v_dual_mul_f32 v3, s8, v11 :: v_dual_mul_f32 v10, s8, v14
	v_mul_f32_e32 v9, s8, v12
	s_delay_alu instid0(VALU_DEP_2) | instskip(SKIP_1) | instid1(VALU_DEP_2)
	v_max_f32_e64 v0, |v3|, |v3|
	v_fma_f32 v2, s8, v12, v3
	v_max_f32_e64 v0, v0, |v9|
	s_delay_alu instid0(VALU_DEP_2) | instskip(NEXT) | instid1(VALU_DEP_1)
	v_fmac_f32_e32 v2, s8, v13
	v_dual_mul_f32 v11, s8, v13 :: v_dual_fmac_f32 v2, s8, v14
	s_delay_alu instid0(VALU_DEP_1)
	v_max3_f32 v0, v0, |v11|, |v10|
	s_mov_b32 s8, exec_lo
	ds_bpermute_b32 v1, v5, v0
	ds_bpermute_b32 v5, v5, v2
	s_waitcnt lgkmcnt(1)
	v_max_f32_e32 v1, v1, v1
	s_delay_alu instid0(VALU_DEP_1) | instskip(SKIP_3) | instid1(VALU_DEP_1)
	v_max_f32_e32 v0, v0, v1
	ds_bpermute_b32 v1, v7, v0
	s_waitcnt lgkmcnt(0)
	v_max_f32_e32 v1, v1, v1
	v_max_f32_e32 v0, v0, v1
	ds_bpermute_b32 v1, v6, v0
	s_waitcnt lgkmcnt(0)
	v_max_f32_e32 v1, v1, v1
	s_delay_alu instid0(VALU_DEP_1) | instskip(SKIP_1) | instid1(VALU_DEP_2)
	v_max_f32_e32 v0, v0, v1
	v_add_f32_e32 v1, v2, v5
	v_div_scale_f32 v12, null, 0x42fe0000, 0x42fe0000, v0
	ds_bpermute_b32 v5, v7, v1
	v_div_scale_f32 v7, vcc_lo, v0, 0x42fe0000, v0
	v_rcp_f32_e32 v13, v12
	s_waitcnt_depctr 0xfff
	v_fma_f32 v2, -v12, v13, 1.0
	s_delay_alu instid0(VALU_DEP_1) | instskip(SKIP_2) | instid1(VALU_DEP_2)
	v_fmac_f32_e32 v13, v2, v13
	s_waitcnt lgkmcnt(0)
	v_add_f32_e32 v1, v1, v5
	v_mul_f32_e32 v14, v7, v13
	s_delay_alu instid0(VALU_DEP_1) | instskip(NEXT) | instid1(VALU_DEP_1)
	v_fma_f32 v2, -v12, v14, v7
	v_fmac_f32_e32 v14, v2, v13
	ds_bpermute_b32 v2, v6, v1
	v_fma_f32 v5, -v12, v14, v7
	s_delay_alu instid0(VALU_DEP_1) | instskip(NEXT) | instid1(VALU_DEP_1)
	v_div_fmas_f32 v5, v5, v13, v14
	v_div_fixup_f32 v0, v5, 0x42fe0000, v0
	v_mov_b32_e32 v5, 0
	s_delay_alu instid0(VALU_DEP_2)
	v_cmpx_neq_f32_e32 0, v0
	s_cbranch_execz .LBB31_14
; %bb.13:
	v_div_scale_f32 v5, null, v0, v0, v3
	v_div_scale_f32 v6, null, v0, v0, v9
	;; [unrolled: 1-line block ×3, first 2 shown]
	s_delay_alu instid0(VALU_DEP_3) | instskip(SKIP_1) | instid1(VALU_DEP_3)
	v_rcp_f32_e32 v7, v5
	v_div_scale_f32 v13, null, v0, v0, v10
	v_rcp_f32_e32 v14, v6
	s_delay_alu instid0(VALU_DEP_2) | instskip(SKIP_1) | instid1(VALU_DEP_2)
	v_rcp_f32_e32 v15, v12
	v_div_scale_f32 v19, vcc_lo, v3, v0, v3
	v_rcp_f32_e32 v16, v13
	v_fma_f32 v17, -v5, v7, 1.0
	s_delay_alu instid0(TRANS32_DEP_3)
	v_fma_f32 v18, -v6, v14, 1.0
	s_waitcnt_depctr 0xfff
	v_fma_f32 v20, -v12, v15, 1.0
	v_fmac_f32_e32 v7, v17, v7
	v_div_scale_f32 v17, s4, v9, v0, v9
	v_fmac_f32_e32 v14, v18, v14
	v_fma_f32 v21, -v13, v16, 1.0
	v_fmac_f32_e32 v15, v20, v15
	v_div_scale_f32 v18, s5, v11, v0, v11
	s_delay_alu instid0(VALU_DEP_4) | instskip(NEXT) | instid1(VALU_DEP_4)
	v_mul_f32_e32 v22, v17, v14
	v_dual_fmac_f32 v16, v21, v16 :: v_dual_mul_f32 v21, v19, v7
	v_div_scale_f32 v20, s6, v10, v0, v10
	s_delay_alu instid0(VALU_DEP_4) | instskip(NEXT) | instid1(VALU_DEP_4)
	v_mul_f32_e32 v23, v18, v15
	v_fma_f32 v26, -v6, v22, v17
	s_delay_alu instid0(VALU_DEP_4) | instskip(NEXT) | instid1(VALU_DEP_4)
	v_fma_f32 v25, -v5, v21, v19
	v_mul_f32_e32 v24, v20, v16
	s_delay_alu instid0(VALU_DEP_4) | instskip(NEXT) | instid1(VALU_DEP_3)
	v_fma_f32 v27, -v12, v23, v18
	v_dual_fmac_f32 v22, v26, v14 :: v_dual_fmac_f32 v21, v25, v7
	s_delay_alu instid0(VALU_DEP_3) | instskip(NEXT) | instid1(VALU_DEP_3)
	v_fma_f32 v29, -v13, v24, v20
	v_fmac_f32_e32 v23, v27, v15
	s_delay_alu instid0(VALU_DEP_3) | instskip(NEXT) | instid1(VALU_DEP_4)
	v_fma_f32 v6, -v6, v22, v17
	v_fma_f32 v5, -v5, v21, v19
	s_delay_alu instid0(VALU_DEP_4) | instskip(NEXT) | instid1(VALU_DEP_4)
	v_fmac_f32_e32 v24, v29, v16
	v_fma_f32 v12, -v12, v23, v18
	s_delay_alu instid0(VALU_DEP_3) | instskip(SKIP_3) | instid1(VALU_DEP_2)
	v_div_fmas_f32 v5, v5, v7, v21
	s_mov_b32 vcc_lo, s4
	v_div_fmas_f32 v6, v6, v14, v22
	s_mov_b32 vcc_lo, s5
	v_div_fixup_f32 v3, v5, v0, v3
	v_div_fmas_f32 v7, v12, v15, v23
	v_fma_f32 v12, -v13, v24, v20
	s_mov_b32 vcc_lo, s6
	v_div_fixup_f32 v6, v6, v0, v9
	v_trunc_f32_e32 v14, v3
	v_div_fixup_f32 v7, v7, v0, v11
	v_div_fmas_f32 v11, v12, v16, v24
	s_delay_alu instid0(VALU_DEP_2) | instskip(NEXT) | instid1(VALU_DEP_2)
	v_trunc_f32_e32 v9, v7
	v_div_fixup_f32 v10, v11, v0, v10
	v_trunc_f32_e32 v11, v6
	s_delay_alu instid0(VALU_DEP_3) | instskip(NEXT) | instid1(VALU_DEP_3)
	v_sub_f32_e32 v12, v7, v9
	v_trunc_f32_e32 v5, v10
	s_delay_alu instid0(VALU_DEP_3) | instskip(NEXT) | instid1(VALU_DEP_3)
	v_sub_f32_e32 v13, v6, v11
	v_cmp_ge_f32_e64 s4, |v12|, 0.5
	s_delay_alu instid0(VALU_DEP_3) | instskip(NEXT) | instid1(VALU_DEP_2)
	v_sub_f32_e32 v15, v10, v5
	v_cndmask_b32_e64 v12, 0, 1.0, s4
	s_delay_alu instid0(VALU_DEP_4) | instskip(NEXT) | instid1(VALU_DEP_2)
	v_cmp_ge_f32_e64 s4, |v13|, 0.5
	v_bfi_b32 v7, 0x7fffffff, v12, v7
	v_sub_f32_e32 v12, v3, v14
	s_delay_alu instid0(VALU_DEP_3) | instskip(SKIP_1) | instid1(VALU_DEP_2)
	v_cndmask_b32_e64 v13, 0, 1.0, s4
	v_cmp_ge_f32_e64 s4, |v15|, 0.5
	v_bfi_b32 v6, 0x7fffffff, v13, v6
	s_delay_alu instid0(VALU_DEP_2) | instskip(SKIP_1) | instid1(VALU_DEP_3)
	v_cndmask_b32_e64 v15, 0, 1.0, s4
	v_cmp_ge_f32_e64 s4, |v12|, 0.5
	v_dual_add_f32 v7, v9, v7 :: v_dual_add_f32 v6, v11, v6
	s_delay_alu instid0(VALU_DEP_3) | instskip(NEXT) | instid1(VALU_DEP_3)
	v_bfi_b32 v10, 0x7fffffff, v15, v10
	v_cndmask_b32_e64 v9, 0, 1.0, s4
	s_delay_alu instid0(VALU_DEP_3) | instskip(NEXT) | instid1(VALU_DEP_4)
	v_cvt_i32_f32_e32 v7, v7
	v_cvt_i32_f32_e32 v6, v6
	s_delay_alu instid0(VALU_DEP_4) | instskip(NEXT) | instid1(VALU_DEP_4)
	v_add_f32_e32 v5, v5, v10
	v_bfi_b32 v3, 0x7fffffff, v9, v3
	s_delay_alu instid0(VALU_DEP_4) | instskip(NEXT) | instid1(VALU_DEP_4)
	v_and_b32_e32 v7, 0xff, v7
	v_and_b32_e32 v6, 0xff, v6
	s_delay_alu instid0(VALU_DEP_4) | instskip(NEXT) | instid1(VALU_DEP_4)
	v_cvt_i32_f32_e32 v5, v5
	v_add_f32_e32 v3, v14, v3
	s_delay_alu instid0(VALU_DEP_4) | instskip(NEXT) | instid1(VALU_DEP_4)
	v_lshlrev_b32_e32 v7, 16, v7
	v_lshlrev_b32_e32 v6, 8, v6
	s_delay_alu instid0(VALU_DEP_3) | instskip(NEXT) | instid1(VALU_DEP_3)
	v_cvt_i32_f32_e32 v3, v3
	v_lshl_or_b32 v5, v5, 24, v7
	s_delay_alu instid0(VALU_DEP_2) | instskip(NEXT) | instid1(VALU_DEP_1)
	v_and_b32_e32 v3, 0xff, v3
	v_or3_b32 v5, v5, v6, v3
.LBB31_14:
	s_or_b32 exec_lo, exec_lo, s8
	ds_store_b32 v4, v5 offset:128
	s_and_saveexec_b32 s4, s1
	s_cbranch_execz .LBB31_16
; %bb.15:
	s_waitcnt lgkmcnt(1)
	v_add_f32_e32 v1, v1, v2
	ds_store_b64 v8, v[0:1] offset:288
.LBB31_16:
	s_or_b32 exec_lo, exec_lo, s4
.LBB31_17:
	s_delay_alu instid0(SALU_CYCLE_1)
	s_or_b32 exec_lo, exec_lo, s9
	v_and_b32_e32 v35, 1, v36
	s_waitcnt lgkmcnt(0)
	s_waitcnt_vscnt null, 0x0
	s_barrier
	buffer_gl0_inv
	ds_load_b128 v[0:3], v28 offset:256
	v_lshlrev_b32_e32 v32, 2, v35
	s_cmp_eq_u64 s[66:67], 0
	s_mov_b32 s79, s16
	ds_load_2addr_b32 v[8:9], v32 offset1:2
	ds_load_2addr_b32 v[16:17], v32 offset0:16 offset1:18
	ds_load_2addr_b32 v[24:25], v32 offset0:148 offset1:150
	s_waitcnt lgkmcnt(2)
	scratch_store_b64 off, v[8:9], off offset:84 ; 8-byte Folded Spill
	s_waitcnt lgkmcnt(1)
	scratch_store_b64 off, v[16:17], off offset:116 ; 8-byte Folded Spill
	s_waitcnt lgkmcnt(0)
	scratch_store_b64 off, v[24:25], off offset:252 ; 8-byte Folded Spill
	ds_load_2addr_b32 v[8:9], v32 offset0:4 offset1:6
	ds_load_2addr_b32 v[16:17], v32 offset0:20 offset1:22
	ds_load_2addr_b32 v[24:25], v32 offset0:152 offset1:154
	s_waitcnt lgkmcnt(2)
	scratch_store_b64 off, v[8:9], off offset:92 ; 8-byte Folded Spill
	s_waitcnt lgkmcnt(1)
	scratch_store_b64 off, v[16:17], off offset:124 ; 8-byte Folded Spill
	s_waitcnt lgkmcnt(0)
	scratch_store_b64 off, v[24:25], off offset:260 ; 8-byte Folded Spill
	ds_load_2addr_b32 v[8:9], v32 offset0:8 offset1:10
	;; [unrolled: 9-line block ×4, first 2 shown]
	ds_load_2addr_b32 v[24:25], v32 offset0:164 offset1:166
	s_waitcnt lgkmcnt(1)
	scratch_store_b64 off, v[16:17], off offset:148 ; 8-byte Folded Spill
	s_waitcnt lgkmcnt(0)
	scratch_store_b64 off, v[24:25], off offset:284 ; 8-byte Folded Spill
	ds_load_2addr_b32 v[16:17], v32 offset0:36 offset1:38
	ds_load_2addr_b32 v[24:25], v32 offset0:168 offset1:170
	s_waitcnt lgkmcnt(1)
	scratch_store_b64 off, v[16:17], off offset:156 ; 8-byte Folded Spill
	s_waitcnt lgkmcnt(0)
	scratch_store_b64 off, v[24:25], off offset:292 ; 8-byte Folded Spill
	ds_load_2addr_b32 v[16:17], v32 offset0:40 offset1:42
	;; [unrolled: 6-line block ×7, first 2 shown]
	scratch_store_b128 off, v[0:3], off offset:340 ; 16-byte Folded Spill
	ds_load_b128 v[0:3], v28 offset:272
	s_waitcnt lgkmcnt(1)
	scratch_store_b64 off, v[16:17], off offset:204 ; 8-byte Folded Spill
	ds_load_2addr_b32 v[16:17], v32 offset0:128 offset1:130
	s_waitcnt lgkmcnt(1)
	scratch_store_b128 off, v[0:3], off offset:356 ; 16-byte Folded Spill
	ds_load_b128 v[0:3], v28 offset:288
	s_waitcnt lgkmcnt(1)
	scratch_store_b64 off, v[16:17], off offset:212 ; 8-byte Folded Spill
	ds_load_2addr_b32 v[16:17], v32 offset0:132 offset1:134
	s_waitcnt lgkmcnt(1)
	;; [unrolled: 6-line block ×5, first 2 shown]
	scratch_store_b128 off, v[0:3], off offset:420 ; 16-byte Folded Spill
	ds_load_b128 v[0:3], v28 offset:800
	s_waitcnt lgkmcnt(1)
	scratch_store_b64 off, v[16:17], off offset:244 ; 8-byte Folded Spill
	s_waitcnt lgkmcnt(0)
	scratch_store_b128 off, v[0:3], off offset:436 ; 16-byte Folded Spill
	ds_load_b128 v[0:3], v28 offset:816
	s_waitcnt lgkmcnt(0)
	scratch_store_b128 off, v[0:3], off offset:452 ; 16-byte Folded Spill
	s_waitcnt_vscnt null, 0x0
	s_barrier
	buffer_gl0_inv
	s_cbranch_scc1 .LBB31_19
; %bb.18:
	s_load_b32 s1, s[2:3], 0xd0
	s_mov_b32 s5, 0
	s_waitcnt lgkmcnt(0)
	s_mul_i32 s1, s1, s86
	s_delay_alu instid0(SALU_CYCLE_1) | instskip(NEXT) | instid1(SALU_CYCLE_1)
	s_add_i32 s4, s1, s13
	s_lshl_b64 s[4:5], s[4:5], 2
	s_delay_alu instid0(SALU_CYCLE_1)
	s_add_u32 s4, s66, s4
	s_addc_u32 s5, s67, s5
	s_load_b32 s79, s[4:5], 0x0
.LBB31_19:
	s_mov_b32 s8, 0
	s_mov_b32 s4, 0xfeffffff
	;; [unrolled: 1-line block ×3, first 2 shown]
	s_delay_alu instid0(SALU_CYCLE_1) | instskip(SKIP_2) | instid1(VALU_DEP_2)
	v_dual_mov_b32 v18, s9 :: v_dual_lshlrev_b32 v241, 5, v37
	s_mov_b32 s5, s4
	v_dual_mov_b32 v17, s8 :: v_dual_add_nc_u32 v124, 0xa00, v34
	v_add_nc_u32_e32 v33, v241, v36
	v_dual_mov_b32 v115, s5 :: v_dual_mov_b32 v114, s4
	v_lshlrev_b32_e32 v39, 2, v36
	s_lshl_b32 s56, s14, 7
	s_delay_alu instid0(VALU_DEP_3)
	v_lshlrev_b32_e32 v34, 1, v33
	s_waitcnt lgkmcnt(0)
	s_cmp_ge_i32 s56, s79
	scratch_store_b32 off, v34, off offset:1404 ; 4-byte Folded Spill
	s_cbranch_scc1 .LBB31_49
; %bb.20:
	s_clause 0x2
	scratch_store_b32 off, v33, off offset:1440
	scratch_store_b32 off, v38, off offset:1436
	;; [unrolled: 1-line block ×3, first 2 shown]
	s_clause 0x1
	s_load_b128 s[72:75], s[2:3], 0x98
	s_load_b64 s[84:85], s[2:3], 0x8c
	s_sub_i32 s1, 0, s15
	s_sub_i32 s4, 0, s12
	s_mul_i32 s1, s1, s19
	s_abs_i32 s5, s78
	s_mul_hi_u32 s1, s19, s1
	s_mul_i32 s4, s4, s18
	s_add_i32 s19, s19, s1
	s_mul_hi_u32 s1, s18, s4
	s_mul_hi_u32 s4, s5, s19
	s_ashr_i32 s11, s17, 31
	s_ashr_i32 s6, s86, 31
	s_add_i32 s18, s18, s1
	s_mul_i32 s1, s4, s15
	s_ashr_i32 s10, s78, 31
	s_sub_i32 s1, s5, s1
	s_abs_i32 s9, s86
	s_xor_b32 s10, s10, s11
	s_add_i32 s11, s4, 1
	s_waitcnt lgkmcnt(0)
	s_mul_i32 s13, s86, s73
	s_mul_hi_u32 s17, s86, s72
	s_mul_i32 s19, s6, s72
	s_add_i32 s88, s17, s13
	s_sub_i32 s5, s1, s15
	s_add_i32 s88, s88, s19
	s_cmp_ge_u32 s1, s15
	v_and_b32_e32 v34, 0x7e, v36
	s_cselect_b32 s4, s11, s4
	s_cselect_b32 s1, s5, s1
	s_add_i32 s5, s4, 1
	s_cmp_ge_u32 s1, s15
	s_mul_i32 s73, s80, s7
	s_cselect_b32 s1, s5, s4
	s_mul_hi_u32 s4, s9, s18
	s_xor_b32 s1, s1, s10
	s_mul_i32 s4, s4, s12
	s_sub_i32 s91, s1, s10
	s_load_b64 s[10:11], s[2:3], 0xc8
	s_sub_i32 s1, s9, s4
	s_load_b32 s9, s[2:3], 0xd4
	s_mul_i32 s89, s91, s85
	s_mul_i32 s91, s91, s75
	s_ashr_i32 s90, s89, 31
	s_ashr_i32 s92, s91, 31
	s_sub_i32 s4, s1, s12
	s_cmp_ge_u32 s1, s12
	v_add_nc_u32_e32 v62, v241, v34
	s_cselect_b32 s1, s4, s1
	v_mov_b32_e32 v186, v36
	s_sub_i32 s4, s1, s12
	s_cmp_ge_u32 s1, s12
	v_add_nc_u32_e32 v36, s16, v62
	s_cselect_b32 s1, s4, s1
	s_load_b64 s[4:5], s[2:3], 0xa8
	s_xor_b32 s1, s1, s6
	s_ashr_i32 s75, s73, 31
	s_sub_i32 s1, s1, s6
	v_ashrrev_i32_e32 v37, 31, v36
	s_waitcnt lgkmcnt(0)
	s_mul_i32 s11, s1, s11
	s_mul_hi_u32 s12, s1, s10
	s_ashr_i32 s13, s1, 31
	s_add_i32 s11, s12, s11
	s_mul_i32 s13, s13, s10
	s_mul_i32 s7, s1, s10
	s_add_i32 s11, s11, s13
	s_cmp_lg_u64 s[62:63], 0
	s_mov_b32 s57, s8
	s_cselect_b32 s10, -1, 0
	s_lshl_b32 s66, s9, 7
	s_cmp_lt_i32 s80, s76
	s_mov_b32 s67, s8
	s_cselect_b32 s1, -1, 0
	v_add_co_u32 v38, s9, v62, s16
	s_and_b32 s85, s10, s1
	s_or_b32 s1, s80, 1
	scratch_store_b32 off, v39, off offset:1444 ; 4-byte Folded Spill
	s_cmp_lt_i32 s1, s76
	v_cmp_eq_u32_e64 s1, 0, v35
	v_add_nc_u32_e32 v35, 0x80, v39
	s_cselect_b32 s8, -1, 0
	v_bfe_u32 v40, v186, 3, 27
	s_and_b32 s87, s10, s8
	s_ashr_i32 s8, s16, 31
	s_add_u32 s93, s58, s89
	v_lshrrev_b32_e32 v46, 5, v35
	v_and_b32_e32 v47, 12, v35
	v_add_co_ci_u32_e64 v39, null, 0, s8, s9
	s_addc_u32 s94, s59, s90
	s_lshl_b64 s[8:9], s[56:57], 1
	v_lshlrev_b64 v[35:36], 1, v[36:37]
	s_add_u32 s10, s62, s8
	s_addc_u32 s12, s63, s9
	s_add_u32 s10, s10, s7
	s_addc_u32 s12, s12, s11
	v_mul_lo_u32 v42, v241, s74
	v_add_co_u32 v187, vcc_lo, s10, v35
	v_add_co_ci_u32_e32 v33, vcc_lo, s12, v36, vcc_lo
	v_mul_hi_u32_u24_e32 v36, 20, v40
	v_mul_u32_u24_e32 v35, 20, v40
	s_lshl_b64 s[82:83], s[66:67], 1
	v_lshlrev_b64 v[37:38], 1, v[38:39]
	s_add_u32 s7, s7, s8
	s_addc_u32 s8, s11, s9
	v_mad_u64_u32 v[44:45], null, s86, s4, v[35:36]
	s_mul_i32 s5, s86, s5
	s_mul_i32 s6, s6, s4
	s_add_u32 s62, s62, s7
	s_addc_u32 s57, s63, s8
	s_add_i32 s5, s5, s6
	v_mul_hi_u32_u24_e32 v40, 20, v46
	v_mul_u32_u24_e32 v39, 20, v46
	v_ashrrev_i32_e32 v43, 31, v42
	v_add_co_u32 v65, vcc_lo, s10, v37
	v_add_nc_u32_e32 v45, s5, v45
	v_add_co_ci_u32_e32 v66, vcc_lo, s12, v38, vcc_lo
	v_mad_u64_u32 v[60:61], null, s86, s4, v[39:40]
	v_add_co_u32 v91, vcc_lo, v44, v42
	s_delay_alu instid0(VALU_DEP_4) | instskip(SKIP_3) | instid1(VALU_DEP_3)
	v_add_co_ci_u32_e32 v92, vcc_lo, v45, v43, vcc_lo
	v_add_co_u32 v48, vcc_lo, v44, v47
	v_add_co_ci_u32_e32 v49, vcc_lo, 0, v45, vcc_lo
	v_add_nc_u32_e32 v57, s5, v61
	v_add_co_u32 v61, vcc_lo, v48, v42
	s_delay_alu instid0(VALU_DEP_3) | instskip(SKIP_1) | instid1(VALU_DEP_4)
	v_add_co_ci_u32_e32 v140, vcc_lo, v49, v43, vcc_lo
	v_add_co_u32 v59, vcc_lo, v60, v47
	v_add_co_ci_u32_e32 v58, vcc_lo, 0, v57, vcc_lo
	v_add_co_u32 v2, vcc_lo, v60, v42
	v_add_co_ci_u32_e32 v0, vcc_lo, v57, v43, vcc_lo
	s_delay_alu instid0(VALU_DEP_4) | instskip(SKIP_4) | instid1(VALU_DEP_4)
	v_add_co_u32 v142, vcc_lo, v59, v42
	v_add_nc_u32_e32 v55, s74, v42
	v_add_co_ci_u32_e32 v146, vcc_lo, v58, v43, vcc_lo
	v_add_co_u32 v52, vcc_lo, v44, s91
	v_add_co_ci_u32_e32 v50, vcc_lo, s92, v45, vcc_lo
	v_ashrrev_i32_e32 v56, 31, v55
	v_add_co_u32 v53, vcc_lo, v48, s91
	v_add_co_ci_u32_e32 v51, vcc_lo, s92, v49, vcc_lo
	v_add_co_u32 v148, vcc_lo, v52, v55
	s_delay_alu instid0(VALU_DEP_4) | instskip(NEXT) | instid1(VALU_DEP_4)
	v_add_co_ci_u32_e32 v3, vcc_lo, v50, v56, vcc_lo
	v_add_co_u32 v68, vcc_lo, v53, v55
	s_delay_alu instid0(VALU_DEP_4) | instskip(SKIP_4) | instid1(VALU_DEP_3)
	v_add_co_ci_u32_e32 v70, vcc_lo, v51, v56, vcc_lo
	v_add_co_u32 v54, vcc_lo, v60, s91
	v_add_nc_u32_e32 v60, 31, v241
	v_add_co_ci_u32_e32 v57, vcc_lo, s92, v57, vcc_lo
	v_add_co_u32 v59, vcc_lo, v59, s91
	v_mul_lo_u32 v60, s74, v60
	v_add_co_ci_u32_e32 v58, vcc_lo, s92, v58, vcc_lo
	v_add_co_u32 v69, vcc_lo, v54, v55
	v_add_co_ci_u32_e32 v245, vcc_lo, v57, v56, vcc_lo
	v_add_nc_u32_e32 v63, 30, v241
	v_add_co_u32 v248, vcc_lo, v59, v55
	v_ashrrev_i32_e32 v64, 31, v60
	v_add_co_ci_u32_e32 v250, vcc_lo, v58, v56, vcc_lo
	v_add_co_u32 v225, vcc_lo, v59, v60
	v_mul_lo_u32 v63, s74, v63
	s_delay_alu instid0(VALU_DEP_4)
	v_add_co_ci_u32_e32 v74, vcc_lo, v58, v64, vcc_lo
	v_add_co_u32 v1, vcc_lo, v54, v60
	v_add_nc_u32_e32 v34, s74, v55
	v_add_co_ci_u32_e32 v55, vcc_lo, v57, v64, vcc_lo
	v_add_co_u32 v27, vcc_lo, v53, v60
	v_add_co_ci_u32_e32 v128, vcc_lo, v51, v64, vcc_lo
	v_add_nc_u32_e32 v71, 29, v241
	v_add_co_u32 v5, vcc_lo, v52, v60
	v_ashrrev_i32_e32 v72, 31, v63
	v_add_co_ci_u32_e32 v11, vcc_lo, v50, v64, vcc_lo
	v_add_co_u32 v73, vcc_lo, v59, v63
	v_mul_lo_u32 v71, s74, v71
	s_delay_alu instid0(VALU_DEP_4)
	v_add_co_ci_u32_e32 v7, vcc_lo, v58, v72, vcc_lo
	v_add_co_u32 v30, vcc_lo, v54, v63
	v_add_co_ci_u32_e32 v31, vcc_lo, v57, v72, vcc_lo
	v_add_co_u32 v75, vcc_lo, v53, v63
	v_add_co_ci_u32_e32 v84, vcc_lo, v51, v72, vcc_lo
	v_add_nc_u32_e32 v79, 28, v241
	v_add_co_u32 v14, vcc_lo, v52, v63
	v_ashrrev_i32_e32 v80, 31, v71
	v_add_co_ci_u32_e32 v29, vcc_lo, v50, v72, vcc_lo
	v_add_co_u32 v81, vcc_lo, v59, v71
	v_mul_lo_u32 v79, s74, v79
	s_delay_alu instid0(VALU_DEP_4)
	v_add_co_ci_u32_e32 v82, vcc_lo, v58, v80, vcc_lo
	v_add_co_u32 v83, vcc_lo, v54, v71
	v_add_co_ci_u32_e32 v8, vcc_lo, v57, v80, vcc_lo
	v_add_co_u32 v9, vcc_lo, v53, v71
	v_add_co_ci_u32_e32 v86, vcc_lo, v51, v80, vcc_lo
	v_add_nc_u32_e32 v87, 27, v241
	v_add_co_u32 v85, vcc_lo, v52, v71
	v_ashrrev_i32_e32 v88, 31, v79
	v_add_co_ci_u32_e32 v80, vcc_lo, v50, v80, vcc_lo
	v_add_nc_u32_e32 v95, 26, v241
	v_add_co_u32 v89, vcc_lo, v59, v79
	v_mul_lo_u32 v87, s74, v87
	v_add_co_ci_u32_e32 v10, vcc_lo, v58, v88, vcc_lo
	v_add_nc_u32_e32 v103, 25, v241
	v_add_co_u32 v12, vcc_lo, v54, v79
	v_mul_lo_u32 v95, s74, v95
	v_add_co_ci_u32_e32 v28, vcc_lo, v57, v88, vcc_lo
	v_add_co_u32 v93, vcc_lo, v53, v79
	v_mul_lo_u32 v103, s74, v103
	v_add_co_ci_u32_e32 v94, vcc_lo, v51, v88, vcc_lo
	v_add_co_u32 v79, vcc_lo, v52, v79
	v_ashrrev_i32_e32 v96, 31, v87
	v_add_nc_u32_e32 v111, 24, v241
	v_add_co_ci_u32_e32 v22, vcc_lo, v50, v88, vcc_lo
	v_add_co_u32 v23, vcc_lo, v54, v87
	v_add_co_u32 v98, s4, v53, v87
	v_add_co_u32 v109, s5, v52, v87
	;; [unrolled: 1-line block ×3, first 2 shown]
	v_ashrrev_i32_e32 v104, 31, v95
	v_add_co_ci_u32_e64 v100, s6, v58, v96, s6
	v_add_co_ci_u32_e32 v101, vcc_lo, v57, v96, vcc_lo
	v_add_co_ci_u32_e64 v110, vcc_lo, v51, v96, s4
	v_add_co_ci_u32_e64 v17, vcc_lo, v50, v96, s5
	v_mul_lo_u32 v111, s74, v111
	v_add_co_u32 v21, vcc_lo, v54, v95
	v_add_co_u32 v16, s4, v53, v95
	v_add_co_u32 v107, s5, v52, v95
	;; [unrolled: 1-line block ×3, first 2 shown]
	v_ashrrev_i32_e32 v112, 31, v103
	v_add_co_ci_u32_e64 v18, s6, v58, v104, s6
	v_add_co_ci_u32_e32 v219, vcc_lo, v57, v104, vcc_lo
	v_add_co_ci_u32_e64 v19, vcc_lo, v51, v104, s4
	v_add_co_ci_u32_e64 v87, vcc_lo, v50, v104, s5
	v_add_co_u32 v118, vcc_lo, v54, v103
	v_add_co_u32 v119, s4, v53, v103
	v_add_co_u32 v108, s5, v52, v103
	;; [unrolled: 1-line block ×3, first 2 shown]
	s_delay_alu instid0(VALU_DEP_1)
	v_add_co_ci_u32_e64 v121, s6, v58, v112, s6
	v_add_co_ci_u32_e32 v122, vcc_lo, v57, v112, vcc_lo
	v_add_co_ci_u32_e64 v123, vcc_lo, v51, v112, s4
	v_add_co_ci_u32_e64 v125, vcc_lo, v50, v112, s5
	v_add_nc_u32_e32 v112, 23, v241
	v_ashrrev_i32_e32 v113, 31, v111
	v_add_co_u32 v126, vcc_lo, v54, v111
	v_add_co_u32 v24, s4, v53, v111
	s_delay_alu instid0(VALU_DEP_4) | instskip(SKIP_2) | instid1(VALU_DEP_1)
	v_mul_lo_u32 v112, s74, v112
	v_add_co_u32 v26, s5, v52, v111
	v_add_co_u32 v88, s6, v59, v111
	v_add_co_ci_u32_e64 v129, s6, v58, v113, s6
	v_add_co_ci_u32_e32 v130, vcc_lo, v57, v113, vcc_lo
	v_add_co_ci_u32_e64 v131, vcc_lo, v51, v113, s4
	v_add_co_ci_u32_e64 v132, vcc_lo, v50, v113, s5
	v_add_nc_u32_e32 v113, 22, v241
	v_ashrrev_i32_e32 v114, 31, v112
	v_add_co_u32 v133, vcc_lo, v54, v112
	v_add_co_u32 v96, s4, v53, v112
	s_delay_alu instid0(VALU_DEP_4)
	v_mul_lo_u32 v113, s74, v113
	v_add_co_u32 v99, s5, v52, v112
	v_add_co_u32 v136, s6, v59, v112
	v_add_nc_u32_e32 v112, 21, v241
	v_add_co_ci_u32_e64 v103, s6, v58, v114, s6
	v_add_co_ci_u32_e32 v104, vcc_lo, v57, v114, vcc_lo
	s_delay_alu instid0(VALU_DEP_3)
	v_mul_lo_u32 v112, s74, v112
	v_add_co_ci_u32_e64 v97, vcc_lo, v51, v114, s4
	v_add_co_ci_u32_e64 v102, vcc_lo, v50, v114, s5
	v_ashrrev_i32_e32 v114, 31, v113
	v_add_co_u32 v141, vcc_lo, v54, v113
	v_add_co_u32 v13, s4, v53, v113
	v_add_co_u32 v143, s5, v52, v113
	;; [unrolled: 1-line block ×3, first 2 shown]
	v_add_nc_u32_e32 v113, 20, v241
	v_add_co_ci_u32_e64 v105, s6, v58, v114, s6
	v_add_co_ci_u32_e32 v106, vcc_lo, v57, v114, vcc_lo
	v_add_co_ci_u32_e64 v147, vcc_lo, v51, v114, s4
	v_add_co_ci_u32_e64 v249, vcc_lo, v50, v114, s5
	v_mul_lo_u32 v113, s74, v113
	v_ashrrev_i32_e32 v114, 31, v112
	v_add_co_u32 v111, vcc_lo, v54, v112
	v_add_co_u32 v127, s4, v53, v112
	v_add_co_u32 v134, s5, v52, v112
	;; [unrolled: 1-line block ×3, first 2 shown]
	v_add_nc_u32_e32 v112, 19, v241
	v_add_co_ci_u32_e64 v48, s6, v58, v114, s6
	v_add_co_ci_u32_e32 v71, vcc_lo, v57, v114, vcc_lo
	s_delay_alu instid0(VALU_DEP_3)
	v_mul_lo_u32 v112, s74, v112
	v_add_co_ci_u32_e64 v155, vcc_lo, v51, v114, s4
	v_add_co_ci_u32_e64 v252, vcc_lo, v50, v114, s5
	v_ashrrev_i32_e32 v114, 31, v113
	v_add_nc_u32_e32 v179, s74, v34
	v_add_co_u32 v167, vcc_lo, v54, v113
	v_add_co_u32 v135, s4, v53, v113
	v_add_co_u32 v139, s5, v52, v113
	;; [unrolled: 1-line block ×3, first 2 shown]
	s_delay_alu instid0(VALU_DEP_1)
	v_add_co_ci_u32_e64 v231, s6, v58, v114, s6
	v_add_co_ci_u32_e32 v137, vcc_lo, v57, v114, vcc_lo
	v_add_co_ci_u32_e64 v138, vcc_lo, v51, v114, s4
	v_add_co_ci_u32_e64 v64, vcc_lo, v50, v114, s5
	v_ashrrev_i32_e32 v113, 31, v112
	v_add_co_u32 v145, vcc_lo, v54, v112
	v_add_co_u32 v149, s4, v53, v112
	v_add_co_u32 v60, s5, v52, v112
	;; [unrolled: 1-line block ×3, first 2 shown]
	v_add_nc_u32_e32 v112, s74, v179
	v_add_co_ci_u32_e64 v151, s6, v58, v113, s6
	v_add_co_ci_u32_e32 v15, vcc_lo, v57, v113, vcc_lo
	v_add_co_ci_u32_e64 v153, vcc_lo, v51, v113, s4
	v_add_co_ci_u32_e64 v63, vcc_lo, v50, v113, s5
	v_add_nc_u32_e32 v113, s74, v112
	v_ashrrev_i32_e32 v254, 31, v112
	v_ashrrev_i32_e32 v255, 31, v34
	;; [unrolled: 1-line block ×3, first 2 shown]
	v_add_co_u32 v95, s44, v52, v112
	v_add_nc_u32_e32 v114, s74, v113
	v_ashrrev_i32_e32 v253, 31, v113
	v_add_co_u32 v191, s39, v53, v113
	v_add_co_u32 v189, s47, v53, v179
	s_delay_alu instid0(VALU_DEP_4) | instskip(SKIP_3) | instid1(VALU_DEP_4)
	v_add_nc_u32_e32 v115, s74, v114
	v_ashrrev_i32_e32 v251, 31, v114
	v_add_co_u32 v197, s33, v59, v114
	v_add_co_u32 v192, s34, v54, v114
	v_add_nc_u32_e32 v116, s74, v115
	v_ashrrev_i32_e32 v247, 31, v115
	v_add_co_u32 v196, s29, v54, v115
	v_add_co_u32 v200, s30, v53, v115
	s_delay_alu instid0(VALU_DEP_4) | instskip(SKIP_3) | instid1(VALU_DEP_4)
	v_add_nc_u32_e32 v117, s74, v116
	v_ashrrev_i32_e32 v242, 31, v116
	v_add_co_u32 v201, s25, v54, v116
	;; [unrolled: 9-line block ×3, first 2 shown]
	v_add_co_u32 v188, s51, v59, v34
	v_add_nc_u32_e32 v169, s74, v168
	v_ashrrev_i32_e32 v227, 31, v168
	v_add_co_u32 v193, s37, v59, v113
	v_add_co_u32 v198, s53, v59, v179
	s_delay_alu instid0(VALU_DEP_4) | instskip(SKIP_4) | instid1(VALU_DEP_2)
	v_add_nc_u32_e32 v172, s74, v169
	v_ashrrev_i32_e32 v222, 31, v169
	scratch_store_b32 off, v186, off offset:1428 ; 4-byte Folded Spill
	v_add_nc_u32_e32 v181, s74, v172
	v_ashrrev_i32_e32 v217, 31, v172
	v_add_nc_u32_e32 v173, s74, v181
	v_ashrrev_i32_e32 v238, 31, v181
	v_add_co_u32 v230, s55, v59, v181
	v_add_co_u32 v42, s46, v53, v181
	s_delay_alu instid0(VALU_DEP_4) | instskip(SKIP_2) | instid1(VALU_DEP_3)
	v_add_nc_u32_e32 v176, s74, v173
	v_add_co_u32 v44, s49, v52, v181
	v_add_co_ci_u32_e64 v35, s46, v51, v238, s46
	v_add_nc_u32_e32 v180, s74, v176
	v_add_co_ci_u32_e64 v38, s46, v50, v238, s49
	s_delay_alu instid0(VALU_DEP_2) | instskip(SKIP_1) | instid1(VALU_DEP_2)
	v_add_nc_u32_e32 v182, s74, v180
	v_ashrrev_i32_e32 v190, 31, v180
	v_ashrrev_i32_e32 v183, 31, v182
	v_add_co_u32 v158, vcc_lo, v54, v182
	v_add_co_u32 v159, s4, v53, v182
	v_add_co_u32 v160, s5, v52, v182
	;; [unrolled: 1-line block ×3, first 2 shown]
	s_delay_alu instid0(VALU_DEP_1)
	v_add_co_ci_u32_e64 v161, s6, v58, v183, s6
	v_add_co_ci_u32_e32 v162, vcc_lo, v57, v183, vcc_lo
	v_add_co_ci_u32_e64 v163, vcc_lo, v51, v183, s4
	v_add_co_ci_u32_e64 v157, vcc_lo, v50, v183, s5
	v_add_co_u32 v166, vcc_lo, v54, v180
	v_add_co_u32 v171, s4, v53, v180
	v_add_co_u32 v174, s5, v52, v180
	;; [unrolled: 1-line block ×3, first 2 shown]
	v_ashrrev_i32_e32 v180, 31, v176
	v_add_co_ci_u32_e64 v182, s6, v58, v190, s6
	v_add_co_ci_u32_e32 v183, vcc_lo, v57, v190, vcc_lo
	v_add_co_ci_u32_e64 v184, vcc_lo, v51, v190, s4
	v_add_co_ci_u32_e64 v165, vcc_lo, v50, v190, s5
	v_add_co_u32 v185, vcc_lo, v54, v176
	v_add_co_u32 v202, s4, v53, v176
	v_add_co_u32 v170, s5, v52, v176
	;; [unrolled: 1-line block ×3, first 2 shown]
	v_ashrrev_i32_e32 v176, 31, v173
	v_add_co_ci_u32_e32 v206, vcc_lo, v57, v180, vcc_lo
	v_add_co_ci_u32_e64 v207, vcc_lo, v51, v180, s4
	v_add_co_ci_u32_e64 v208, vcc_lo, v50, v180, s5
	v_add_co_u32 v175, vcc_lo, v54, v173
	v_add_co_u32 v210, s4, v53, v173
	v_add_co_ci_u32_e32 v214, vcc_lo, v57, v176, vcc_lo
	v_add_co_ci_u32_e64 v215, vcc_lo, v51, v176, s4
	v_add_co_u32 v6, s4, v54, v172
	v_add_co_u32 v178, s5, v52, v173
	s_delay_alu instid0(VALU_DEP_1) | instskip(SKIP_4) | instid1(VALU_DEP_1)
	v_add_co_ci_u32_e64 v216, vcc_lo, v50, v176, s5
	scratch_store_b32 off, v6, off offset:616 ; 4-byte Folded Spill
	v_add_co_u32 v6, s5, v53, v172
	v_add_co_ci_u32_e64 v205, s6, v58, v180, s6
	v_add_co_u32 v212, s6, v59, v173
	v_add_co_ci_u32_e64 v213, s6, v58, v176, s6
	scratch_store_b32 off, v6, off offset:628 ; 4-byte Folded Spill
	v_add_co_u32 v6, s6, v52, v172
	v_add_co_u32 v243, vcc_lo, v59, v172
	v_add_co_u32 v190, s36, v52, v114
	scratch_store_b32 off, v6, off offset:600 ; 4-byte Folded Spill
	v_add_co_u32 v6, s7, v59, v169
	v_add_co_u32 v172, s43, v53, v112
	;; [unrolled: 1-line block ×3, first 2 shown]
	scratch_store_b32 off, v6, off offset:624 ; 4-byte Folded Spill
	v_add_co_u32 v6, s8, v54, v169
	v_add_co_u32 v176, s38, v54, v113
	;; [unrolled: 1-line block ×3, first 2 shown]
	scratch_store_b32 off, v6, off offset:592 ; 4-byte Folded Spill
	v_add_co_u32 v6, s9, v53, v169
	v_add_co_ci_u32_e32 v37, vcc_lo, v58, v217, vcc_lo
	v_add_co_ci_u32_e64 v40, vcc_lo, v57, v217, s4
	scratch_store_b32 off, v6, off offset:612 ; 4-byte Folded Spill
	v_add_co_u32 v6, s10, v52, v169
	v_add_co_u32 v169, s40, v52, v113
	v_add_co_ci_u32_e64 v39, vcc_lo, v51, v217, s5
	scratch_store_b32 off, v6, off offset:588 ; 4-byte Folded Spill
	v_add_co_u32 v6, s11, v59, v168
	v_add_co_ci_u32_e64 v217, vcc_lo, v50, v217, s6
	v_add_co_ci_u32_e64 v41, vcc_lo, v58, v222, s7
	scratch_store_b32 off, v6, off offset:596 ; 4-byte Folded Spill
	v_add_co_u32 v6, s12, v54, v168
	v_add_co_ci_u32_e64 v45, vcc_lo, v57, v222, s8
	;; [unrolled: 4-line block ×3, first 2 shown]
	v_add_co_ci_u32_e64 v46, vcc_lo, v58, v227, s11
	scratch_store_b32 off, v6, off offset:608 ; 4-byte Folded Spill
	v_add_co_u32 v6, s15, v52, v168
	v_add_co_u32 v168, s52, v54, v34
	v_add_co_ci_u32_e64 v235, vcc_lo, v57, v227, s12
	scratch_store_b32 off, v6, off offset:488 ; 4-byte Folded Spill
	v_add_co_u32 v6, s16, v59, v164
	v_add_co_ci_u32_e64 v47, vcc_lo, v51, v227, s13
	v_add_co_ci_u32_e64 v227, vcc_lo, v50, v227, s15
	scratch_store_b32 off, v6, off offset:620 ; 4-byte Folded Spill
	v_add_co_u32 v6, s17, v54, v164
	s_delay_alu instid0(VALU_DEP_1) | instskip(SKIP_3) | instid1(VALU_DEP_1)
	v_add_co_ci_u32_e64 v114, vcc_lo, v57, v232, s17
	v_add_co_ci_u32_e64 v120, vcc_lo, v57, v242, s25
	scratch_store_b32 off, v6, off offset:480 ; 4-byte Folded Spill
	v_add_co_u32 v6, s18, v53, v164
	v_add_co_ci_u32_e64 v113, vcc_lo, v51, v232, s18
	v_add_co_ci_u32_e64 v228, vcc_lo, v50, v242, s27
	scratch_store_b32 off, v6, off offset:492 ; 4-byte Folded Spill
	v_add_co_u32 v6, s19, v52, v164
	v_add_co_u32 v164, s42, v54, v112
	v_add_co_ci_u32_e64 v112, vcc_lo, v58, v232, s16
	scratch_store_b32 off, v6, off offset:472 ; 4-byte Folded Spill
	v_add_co_u32 v6, s20, v59, v117
	v_add_co_ci_u32_e64 v232, vcc_lo, v50, v232, s19
	v_add_co_ci_u32_e64 v220, vcc_lo, v57, v247, s29
	scratch_store_b32 off, v6, off offset:484 ; 4-byte Folded Spill
	v_add_co_u32 v6, s21, v54, v117
	v_add_co_ci_u32_e64 v209, vcc_lo, v51, v247, s30
	v_add_co_ci_u32_e64 v223, vcc_lo, v50, v247, s31
	scratch_store_b32 off, v6, off offset:48 ; 4-byte Folded Spill
	v_add_co_u32 v6, s22, v53, v117
	v_add_co_ci_u32_e64 v221, vcc_lo, v58, v251, s33
	v_add_co_ci_u32_e64 v76, vcc_lo, v57, v251, s34
	scratch_store_b32 off, v6, off offset:476 ; 4-byte Folded Spill
	v_add_co_u32 v6, s23, v52, v117
	v_add_co_ci_u32_e64 v117, vcc_lo, v57, v237, s21
	v_add_co_ci_u32_e64 v224, vcc_lo, v51, v251, s35
	scratch_store_b32 off, v6, off offset:40 ; 4-byte Folded Spill
	v_add_co_u32 v6, s24, v59, v116
	s_delay_alu instid0(VALU_DEP_1)
	v_add_co_ci_u32_e64 v236, vcc_lo, v58, v242, s24
	v_add_co_ci_u32_e64 v77, vcc_lo, v50, v251, s36
	scratch_store_b32 off, v6, off offset:52 ; 4-byte Folded Spill
	v_add_co_u32 v6, s26, v53, v116
	v_add_co_ci_u32_e64 v116, vcc_lo, v51, v237, s22
	v_add_co_ci_u32_e64 v240, vcc_lo, v51, v242, s26
	scratch_store_b32 off, v6, off offset:44 ; 4-byte Folded Spill
	v_add_co_u32 v6, s28, v59, v115
	scratch_store_b32 off, v33, off offset:76 ; 4-byte Folded Spill
	v_add_co_u32 v33, s45, v53, v34
	scratch_store_b32 off, v6, off offset:12 ; 4-byte Folded Spill
	v_add_co_ci_u32_e64 v34, s55, v58, v238, s55
	v_add_co_u32 v203, s55, v54, v181
	v_add_co_ci_u32_e64 v115, vcc_lo, v58, v237, s20
	v_add_co_ci_u32_e64 v237, vcc_lo, v50, v237, s23
	v_add_co_ci_u32_e64 v246, vcc_lo, v58, v247, s28
	v_add_co_ci_u32_e64 v78, vcc_lo, v51, v253, s39
	v_add_co_ci_u32_e64 v218, vcc_lo, v50, v253, s40
	v_add_co_ci_u32_e64 v229, vcc_lo, v51, v254, s43
	v_add_co_ci_u32_e64 v251, vcc_lo, v50, v254, s44
	v_add_co_ci_u32_e64 v242, vcc_lo, v51, v255, s45
	v_add_co_ci_u32_e64 v247, vcc_lo, v51, v239, s47
	v_add_co_ci_u32_e64 v51, vcc_lo, v50, v255, s48
	v_add_co_ci_u32_e64 v181, vcc_lo, v50, v239, s50
	v_add_co_ci_u32_e64 v50, vcc_lo, v58, v255, s51
	v_mbcnt_lo_u32_b32 v59, -1, 0
	v_add_co_u32 v179, s54, v54, v179
	scratch_store_b32 off, v50, off offset:892 ; 4-byte Folded Spill
	v_add_co_ci_u32_e64 v6, vcc_lo, v58, v253, s37
	v_and_b32_e32 v50, 30, v59
	v_xor_b32_e32 v54, 1, v59
	v_add_co_ci_u32_e64 v226, vcc_lo, v57, v253, s38
	v_add_co_ci_u32_e64 v211, vcc_lo, v58, v254, s41
	s_delay_alu instid0(VALU_DEP_4)
	v_add_nc_u32_e32 v50, 2, v50
	v_add_co_ci_u32_e64 v244, vcc_lo, v57, v254, s42
	v_add_co_ci_u32_e64 v254, vcc_lo, v58, v239, s53
	;; [unrolled: 1-line block ×4, first 2 shown]
	v_cmp_lt_i32_e32 vcc_lo, v54, v50
	v_add_co_ci_u32_e64 v36, s55, v57, v238, s55
	v_xor_b32_e32 v57, 8, v59
	v_xor_b32_e32 v58, 16, v59
	v_cndmask_b32_e32 v50, v59, v54, vcc_lo
	v_xor_b32_e32 v54, 4, v59
	s_mul_i32 s8, s86, s72
	s_mul_i32 s4, s56, s74
	v_add_co_u32 v32, s9, s8, v32
	v_lshlrev_b32_e32 v50, 2, v50
	s_mul_i32 s5, s56, s84
	s_mul_i32 s6, s66, s84
	;; [unrolled: 1-line block ×3, first 2 shown]
	scratch_store_b32 off, v50, off offset:468 ; 4-byte Folded Spill
	v_xor_b32_e32 v50, 2, v59
	s_delay_alu instid0(VALU_DEP_1) | instskip(SKIP_2) | instid1(VALU_DEP_2)
	v_cmp_gt_i32_e32 vcc_lo, 32, v50
	v_cndmask_b32_e32 v50, v59, v50, vcc_lo
	v_cmp_gt_i32_e32 vcc_lo, 32, v54
	v_lshlrev_b32_e32 v50, 2, v50
	v_cndmask_b32_e32 v54, v59, v54, vcc_lo
	v_cmp_gt_i32_e32 vcc_lo, 32, v57
	scratch_store_b32 off, v50, off offset:1408 ; 4-byte Folded Spill
	v_dual_cndmask_b32 v57, v59, v57 :: v_dual_lshlrev_b32 v50, 2, v54
	v_cmp_gt_i32_e32 vcc_lo, 32, v58
	v_lshlrev_b32_e32 v54, 1, v62
	scratch_store_b32 off, v50, off offset:1412 ; 4-byte Folded Spill
	v_lshlrev_b32_e32 v50, 2, v57
	v_cndmask_b32_e32 v58, v59, v58, vcc_lo
	v_add_co_ci_u32_e64 v59, null, s88, 0, s9
	v_add_co_u32 v54, s9, s62, v54
	scratch_store_b32 off, v50, off offset:1416 ; 4-byte Folded Spill
	v_lshlrev_b32_e32 v50, 2, v58
	scratch_store_b32 off, v50, off offset:1420 ; 4-byte Folded Spill
	v_lshlrev_b32_e32 v50, 1, v241
	scratch_store_b32 off, v50, off offset:1424 ; 4-byte Folded Spill
	v_mul_lo_u32 v50, v62, s84
	s_delay_alu instid0(VALU_DEP_1) | instskip(NEXT) | instid1(VALU_DEP_1)
	v_add_nc_u32_e32 v57, s84, v50
	v_ashrrev_i32_e32 v58, 31, v57
	v_add_co_u32 v238, vcc_lo, v32, v57
	s_delay_alu instid0(VALU_DEP_2) | instskip(NEXT) | instid1(VALU_DEP_2)
	v_add_co_ci_u32_e32 v239, vcc_lo, v59, v58, vcc_lo
	v_add_co_u32 v238, vcc_lo, s93, v238
	scratch_store_b32 off, v238, off offset:16 ; 4-byte Folded Spill
	v_add_co_ci_u32_e32 v238, vcc_lo, s94, v239, vcc_lo
	v_add_co_u32 v54, vcc_lo, v54, 2
	scratch_store_b32 off, v238, off offset:20 ; 4-byte Folded Spill
	v_add_co_ci_u32_e64 v238, null, s57, 0, s9
	scratch_store_b32 off, v54, off offset:24 ; 4-byte Folded Spill
	s_add_u32 s9, s60, s91
	s_addc_u32 s10, s61, s92
	v_add_co_ci_u32_e32 v54, vcc_lo, 0, v238, vcc_lo
	v_add_co_u32 v53, vcc_lo, v65, 2
	v_add_co_ci_u32_e32 v67, vcc_lo, 0, v66, vcc_lo
	scratch_store_b32 off, v54, off offset:28 ; 4-byte Folded Spill
	v_add_co_u32 v54, vcc_lo, s9, v61
	v_add_co_ci_u32_e32 v238, vcc_lo, s10, v140, vcc_lo
	v_add_co_u32 v65, vcc_lo, s9, v91
	v_add_co_ci_u32_e32 v66, vcc_lo, s10, v92, vcc_lo
	s_delay_alu instid0(VALU_DEP_4) | instskip(NEXT) | instid1(VALU_DEP_4)
	v_add_co_u32 v140, vcc_lo, v54, 4
	v_add_co_ci_u32_e32 v61, vcc_lo, 0, v238, vcc_lo
	v_add_co_u32 v62, vcc_lo, s9, v2
	s_add_u32 s11, s93, s8
	v_add_co_ci_u32_e32 v144, vcc_lo, s10, v0, vcc_lo
	v_add_co_u32 v54, vcc_lo, s11, v57
	s_addc_u32 s12, s94, s88
	v_ashrrev_i32_e32 v57, 31, v50
	s_add_u32 s8, s8, s89
	scratch_store_b32 off, v54, off offset:32 ; 4-byte Folded Spill
	v_add_co_ci_u32_e32 v54, vcc_lo, s12, v58, vcc_lo
	v_add_co_u32 v32, vcc_lo, v32, s89
	scratch_store_b32 off, v54, off offset:36 ; 4-byte Folded Spill
	v_add_co_ci_u32_e32 v54, vcc_lo, s90, v59, vcc_lo
	v_add_co_u32 v32, vcc_lo, v32, v50
	s_delay_alu instid0(VALU_DEP_2) | instskip(SKIP_2) | instid1(VALU_DEP_4)
	v_add_co_ci_u32_e32 v54, vcc_lo, v54, v57, vcc_lo
	v_add_co_u32 v58, vcc_lo, s9, v142
	v_add_co_ci_u32_e32 v59, vcc_lo, s10, v146, vcc_lo
	v_add_co_u32 v91, vcc_lo, s58, v32
	s_delay_alu instid0(VALU_DEP_4) | instskip(NEXT) | instid1(VALU_DEP_4)
	v_add_co_ci_u32_e32 v92, vcc_lo, s59, v54, vcc_lo
	v_add_co_u32 v146, vcc_lo, v58, 4
	s_delay_alu instid0(VALU_DEP_4)
	v_add_co_ci_u32_e32 v142, vcc_lo, 0, v59, vcc_lo
	v_add_co_u32 v32, vcc_lo, v68, s60
	v_add_co_ci_u32_e32 v54, vcc_lo, s61, v70, vcc_lo
	v_add_co_u32 v0, vcc_lo, s60, v148
	v_add_co_ci_u32_e32 v150, vcc_lo, s61, v3, vcc_lo
	s_addc_u32 s9, s88, s90
	scratch_store_b32 off, v0, off offset:944 ; 4-byte Folded Spill
	v_add_co_u32 v0, vcc_lo, v32, 4
	v_add_co_ci_u32_e32 v148, vcc_lo, 0, v54, vcc_lo
	v_add_co_u32 v32, vcc_lo, v248, s60
	v_add_co_ci_u32_e32 v54, vcc_lo, s61, v250, vcc_lo
	scratch_store_b32 off, v0, off offset:948 ; 4-byte Folded Spill
	v_add_co_u32 v0, vcc_lo, s60, v69
	s_add_u32 s8, s58, s8
	s_addc_u32 s9, s59, s9
	scratch_store_b32 off, v0, off offset:940 ; 4-byte Folded Spill
	v_add_co_ci_u32_e32 v0, vcc_lo, s61, v245, vcc_lo
	scratch_store_b32 off, v0, off offset:68 ; 4-byte Folded Spill
	v_add_co_u32 v0, vcc_lo, v32, 4
	scratch_store_b32 off, v0, off offset:64 ; 4-byte Folded Spill
	v_add_co_ci_u32_e32 v0, vcc_lo, 0, v54, vcc_lo
	v_add_co_u32 v32, vcc_lo, v33, s60
	v_add_co_ci_u32_e32 v33, vcc_lo, s61, v242, vcc_lo
	scratch_store_b32 off, v0, off offset:72 ; 4-byte Folded Spill
	v_add_co_u32 v0, vcc_lo, s60, v234
	v_add_co_ci_u32_e32 v152, vcc_lo, s61, v51, vcc_lo
	v_add_co_u32 v2, vcc_lo, v32, 4
	v_add_co_ci_u32_e32 v154, vcc_lo, 0, v33, vcc_lo
	;; [unrolled: 2-line block ×4, first 2 shown]
	s_delay_alu instid0(VALU_DEP_4) | instskip(NEXT) | instid1(VALU_DEP_4)
	v_add_co_u32 v3, vcc_lo, 0x8c, v32
	v_add_co_ci_u32_e32 v59, vcc_lo, 0, v33, vcc_lo
	s_delay_alu instid0(VALU_DEP_4)
	v_add_co_u32 v32, vcc_lo, v50, 4
	scratch_store_b32 off, v2, off offset:56 ; 4-byte Folded Spill
	s_mov_b32 s8, 0xbbbac73d
	scratch_store_b32 off, v32, off         ; 4-byte Folded Spill
	v_add_co_ci_u32_e32 v32, vcc_lo, 0, v51, vcc_lo
	scratch_store_b32 off, v0, off offset:60 ; 4-byte Folded Spill
	scratch_load_b32 v0, off, off offset:628 ; 4-byte Folded Reload
	scratch_store_b32 off, v32, off offset:4 ; 4-byte Folded Spill
	v_add_co_u32 v32, vcc_lo, v27, s60
	v_add_co_ci_u32_e32 v33, vcc_lo, s61, v128, vcc_lo
	v_add_co_u32 v1, vcc_lo, s60, v1
	scratch_store_b32 off, v1, off offset:496 ; 4-byte Folded Spill
	v_add_co_ci_u32_e32 v1, vcc_lo, s61, v55, vcc_lo
	scratch_store_b32 off, v1, off offset:500 ; 4-byte Folded Spill
	v_add_co_u32 v1, vcc_lo, v32, 4
	scratch_store_b32 off, v1, off offset:504 ; 4-byte Folded Spill
	v_add_co_ci_u32_e32 v1, vcc_lo, 0, v33, vcc_lo
	v_add_co_u32 v32, vcc_lo, v73, s60
	v_add_co_ci_u32_e32 v33, vcc_lo, s61, v7, vcc_lo
	scratch_store_b32 off, v1, off offset:508 ; 4-byte Folded Spill
	v_add_co_u32 v1, vcc_lo, s60, v5
	scratch_store_b32 off, v1, off offset:512 ; 4-byte Folded Spill
	v_add_co_ci_u32_e32 v1, vcc_lo, s61, v11, vcc_lo
	scratch_store_b32 off, v1, off offset:516 ; 4-byte Folded Spill
	v_add_co_u32 v1, vcc_lo, v32, 4
	scratch_store_b32 off, v1, off offset:520 ; 4-byte Folded Spill
	v_add_co_ci_u32_e32 v1, vcc_lo, 0, v33, vcc_lo
	v_add_co_u32 v32, vcc_lo, v75, s60
	v_add_co_ci_u32_e32 v33, vcc_lo, s61, v84, vcc_lo
	scratch_store_b32 off, v1, off offset:524 ; 4-byte Folded Spill
	;; [unrolled: 10-line block ×5, first 2 shown]
	v_add_co_u32 v1, vcc_lo, s60, v85
	scratch_store_b32 off, v1, off offset:968 ; 4-byte Folded Spill
	v_add_co_ci_u32_e32 v1, vcc_lo, s61, v80, vcc_lo
	scratch_store_b32 off, v1, off offset:972 ; 4-byte Folded Spill
	v_add_co_u32 v1, vcc_lo, v32, 4
	scratch_store_b32 off, v1, off offset:976 ; 4-byte Folded Spill
	v_add_co_ci_u32_e32 v1, vcc_lo, 0, v33, vcc_lo
	v_add_co_u32 v32, vcc_lo, v93, s60
	v_add_co_ci_u32_e32 v33, vcc_lo, s61, v94, vcc_lo
	v_add_co_u32 v52, vcc_lo, s60, v12
	v_add_co_ci_u32_e32 v8, vcc_lo, s61, v28, vcc_lo
	s_delay_alu instid0(VALU_DEP_4) | instskip(NEXT) | instid1(VALU_DEP_4)
	v_add_co_u32 v30, vcc_lo, v32, 4
	v_add_co_ci_u32_e32 v29, vcc_lo, 0, v33, vcc_lo
	v_add_co_u32 v32, vcc_lo, v20, s60
	v_add_co_ci_u32_e32 v33, vcc_lo, s61, v100, vcc_lo
	;; [unrolled: 2-line block ×3, first 2 shown]
	s_delay_alu instid0(VALU_DEP_4)
	v_add_co_u32 v73, vcc_lo, v32, 4
	scratch_store_b32 off, v1, off offset:980 ; 4-byte Folded Spill
	v_add_co_ci_u32_e32 v1, vcc_lo, 0, v33, vcc_lo
	v_add_co_u32 v32, vcc_lo, v98, s60
	v_add_co_ci_u32_e32 v33, vcc_lo, s61, v110, vcc_lo
	scratch_store_b32 off, v1, off offset:700 ; 4-byte Folded Spill
	v_add_co_u32 v1, vcc_lo, s60, v23
	scratch_store_b32 off, v1, off offset:704 ; 4-byte Folded Spill
	v_add_co_ci_u32_e32 v1, vcc_lo, s61, v101, vcc_lo
	scratch_store_b32 off, v1, off offset:552 ; 4-byte Folded Spill
	v_add_co_u32 v1, vcc_lo, v32, 4
	scratch_store_b32 off, v1, off offset:556 ; 4-byte Folded Spill
	v_add_co_ci_u32_e32 v1, vcc_lo, 0, v33, vcc_lo
	v_add_co_u32 v32, vcc_lo, v90, s60
	v_add_co_ci_u32_e32 v33, vcc_lo, s61, v18, vcc_lo
	scratch_store_b32 off, v1, off offset:708 ; 4-byte Folded Spill
	v_add_co_u32 v1, vcc_lo, s60, v109
	scratch_store_b32 off, v1, off offset:784 ; 4-byte Folded Spill
	v_add_co_ci_u32_e32 v1, vcc_lo, s61, v17, vcc_lo
	scratch_store_b32 off, v1, off offset:788 ; 4-byte Folded Spill
	;; [unrolled: 10-line block ×5, first 2 shown]
	v_add_co_u32 v1, vcc_lo, v32, 4
	scratch_store_b32 off, v1, off offset:832 ; 4-byte Folded Spill
	v_add_co_ci_u32_e32 v1, vcc_lo, 0, v33, vcc_lo
	v_add_co_u32 v32, vcc_lo, v88, s60
	v_add_co_ci_u32_e32 v33, vcc_lo, s61, v129, vcc_lo
	scratch_store_b32 off, v1, off offset:836 ; 4-byte Folded Spill
	v_add_co_u32 v1, vcc_lo, s60, v108
	v_mov_b32_e32 v129, v187
	scratch_store_b32 off, v1, off offset:840 ; 4-byte Folded Spill
	v_add_co_ci_u32_e32 v1, vcc_lo, s61, v125, vcc_lo
	scratch_store_b32 off, v1, off offset:844 ; 4-byte Folded Spill
	v_add_co_u32 v1, vcc_lo, v32, 4
	scratch_store_b32 off, v1, off offset:848 ; 4-byte Folded Spill
	v_add_co_ci_u32_e32 v1, vcc_lo, 0, v33, vcc_lo
	v_add_co_u32 v32, vcc_lo, v24, s60
	v_add_co_ci_u32_e32 v33, vcc_lo, s61, v131, vcc_lo
	scratch_store_b32 off, v1, off offset:852 ; 4-byte Folded Spill
	v_add_co_u32 v1, vcc_lo, s60, v126
	scratch_store_b32 off, v1, off offset:856 ; 4-byte Folded Spill
	v_add_co_ci_u32_e32 v1, vcc_lo, s61, v130, vcc_lo
	scratch_store_b32 off, v1, off offset:860 ; 4-byte Folded Spill
	v_add_co_u32 v1, vcc_lo, v32, 4
	scratch_store_b32 off, v1, off offset:864 ; 4-byte Folded Spill
	v_add_co_ci_u32_e32 v1, vcc_lo, 0, v33, vcc_lo
	v_add_co_u32 v32, vcc_lo, v136, s60
	v_add_co_ci_u32_e32 v33, vcc_lo, s61, v103, vcc_lo
	scratch_store_b32 off, v1, off offset:868 ; 4-byte Folded Spill
	v_add_co_u32 v1, vcc_lo, s60, v26
	;; [unrolled: 10-line block ×17, first 2 shown]
	v_and_b32_e32 v202, 4, v186
	scratch_store_b32 off, v1, off offset:1188 ; 4-byte Folded Spill
	v_add_co_ci_u32_e32 v1, vcc_lo, s61, v206, vcc_lo
	scratch_store_b32 off, v1, off offset:1184 ; 4-byte Folded Spill
	v_add_co_u32 v1, vcc_lo, v32, 4
	scratch_store_b32 off, v1, off offset:1196 ; 4-byte Folded Spill
	v_add_co_ci_u32_e32 v1, vcc_lo, 0, v33, vcc_lo
	v_add_co_u32 v32, vcc_lo, v212, s60
	v_add_co_ci_u32_e32 v33, vcc_lo, s61, v213, vcc_lo
	scratch_store_b32 off, v1, off offset:1192 ; 4-byte Folded Spill
	v_add_co_u32 v1, vcc_lo, s60, v170
	scratch_store_b32 off, v1, off offset:1204 ; 4-byte Folded Spill
	v_add_co_ci_u32_e32 v1, vcc_lo, s61, v208, vcc_lo
	scratch_store_b32 off, v1, off offset:1200 ; 4-byte Folded Spill
	v_add_co_u32 v1, vcc_lo, v32, 4
	scratch_store_b32 off, v1, off offset:1212 ; 4-byte Folded Spill
	v_add_co_ci_u32_e32 v1, vcc_lo, 0, v33, vcc_lo
	v_add_co_u32 v32, vcc_lo, v210, s60
	v_add_co_ci_u32_e32 v33, vcc_lo, s61, v215, vcc_lo
	scratch_store_b32 off, v1, off offset:1208 ; 4-byte Folded Spill
	v_add_co_u32 v1, vcc_lo, s60, v175
	;; [unrolled: 10-line block ×3, first 2 shown]
	v_mov_b32_e32 v34, v3
	scratch_store_b32 off, v1, off offset:1236 ; 4-byte Folded Spill
	v_add_co_ci_u32_e32 v1, vcc_lo, s61, v216, vcc_lo
	scratch_store_b32 off, v1, off offset:1232 ; 4-byte Folded Spill
	v_add_co_u32 v1, vcc_lo, v32, 4
	scratch_store_b32 off, v1, off offset:1244 ; 4-byte Folded Spill
	v_add_co_ci_u32_e32 v1, vcc_lo, 0, v33, vcc_lo
	v_add_co_u32 v32, vcc_lo, v42, s60
	v_add_co_ci_u32_e32 v33, vcc_lo, s61, v35, vcc_lo
	scratch_store_b32 off, v1, off offset:1240 ; 4-byte Folded Spill
	v_add_co_u32 v1, vcc_lo, s60, v203
	v_mov_b32_e32 v35, v59
	scratch_store_b32 off, v1, off offset:1252 ; 4-byte Folded Spill
	v_add_co_ci_u32_e32 v1, vcc_lo, s61, v36, vcc_lo
	v_mov_b32_e32 v36, 0xfeffffff
	scratch_store_b32 off, v1, off offset:1248 ; 4-byte Folded Spill
	v_add_co_u32 v1, vcc_lo, v32, 4
	scratch_store_b32 off, v1, off offset:1260 ; 4-byte Folded Spill
	v_add_co_ci_u32_e32 v1, vcc_lo, 0, v33, vcc_lo
	v_add_co_u32 v32, vcc_lo, v243, s60
	v_add_co_ci_u32_e32 v33, vcc_lo, s61, v37, vcc_lo
	scratch_store_b32 off, v1, off offset:1256 ; 4-byte Folded Spill
	v_add_co_u32 v1, vcc_lo, s60, v44
	v_mov_b32_e32 v37, 0xfeffffff
	scratch_store_b32 off, v1, off offset:1268 ; 4-byte Folded Spill
	v_add_co_ci_u32_e32 v1, vcc_lo, s61, v38, vcc_lo
	scratch_store_b32 off, v1, off offset:1264 ; 4-byte Folded Spill
	v_add_co_u32 v1, vcc_lo, v32, 4
	scratch_store_b32 off, v1, off offset:1276 ; 4-byte Folded Spill
	v_add_co_ci_u32_e32 v1, vcc_lo, 0, v33, vcc_lo
	s_waitcnt vmcnt(0)
	v_add_co_u32 v32, vcc_lo, v0, s60
	scratch_load_b32 v0, off, off offset:616 ; 4-byte Folded Reload
	v_add_co_ci_u32_e32 v33, vcc_lo, s61, v39, vcc_lo
	scratch_store_b32 off, v1, off offset:1272 ; 4-byte Folded Spill
	s_waitcnt vmcnt(0)
	v_add_co_u32 v1, vcc_lo, s60, v0
	scratch_load_b32 v0, off, off offset:624 ; 4-byte Folded Reload
	scratch_store_b32 off, v1, off offset:1284 ; 4-byte Folded Spill
	v_add_co_ci_u32_e32 v1, vcc_lo, s61, v40, vcc_lo
	scratch_store_b32 off, v1, off offset:1280 ; 4-byte Folded Spill
	v_add_co_u32 v1, vcc_lo, v32, 4
	scratch_store_b32 off, v1, off offset:1292 ; 4-byte Folded Spill
	v_add_co_ci_u32_e32 v1, vcc_lo, 0, v33, vcc_lo
	scratch_store_b32 off, v1, off offset:1288 ; 4-byte Folded Spill
	s_waitcnt vmcnt(0)
	v_add_co_u32 v32, vcc_lo, v0, s60
	scratch_load_b32 v0, off, off offset:600 ; 4-byte Folded Reload
	v_add_co_ci_u32_e32 v33, vcc_lo, s61, v41, vcc_lo
	s_waitcnt vmcnt(0)
	v_add_co_u32 v1, vcc_lo, s60, v0
	scratch_load_b32 v0, off, off offset:612 ; 4-byte Folded Reload
	scratch_store_b32 off, v1, off offset:1300 ; 4-byte Folded Spill
	v_add_co_ci_u32_e32 v1, vcc_lo, s61, v217, vcc_lo
	scratch_store_b32 off, v1, off offset:1296 ; 4-byte Folded Spill
	v_add_co_u32 v1, vcc_lo, v32, 4
	scratch_store_b32 off, v1, off offset:1308 ; 4-byte Folded Spill
	v_add_co_ci_u32_e32 v1, vcc_lo, 0, v33, vcc_lo
	scratch_store_b32 off, v1, off offset:1304 ; 4-byte Folded Spill
	s_waitcnt vmcnt(0)
	v_add_co_u32 v32, vcc_lo, v0, s60
	scratch_load_b32 v0, off, off offset:592 ; 4-byte Folded Reload
	v_add_co_ci_u32_e32 v33, vcc_lo, s61, v43, vcc_lo
	;; [unrolled: 14-line block ×5, first 2 shown]
	v_mov_b32_e32 v112, 0
	s_waitcnt vmcnt(0)
	v_add_co_u32 v1, vcc_lo, s60, v0
	scratch_load_b32 v0, off, off offset:492 ; 4-byte Folded Reload
	scratch_store_b32 off, v1, off offset:620 ; 4-byte Folded Spill
	v_add_co_ci_u32_e32 v1, vcc_lo, s61, v227, vcc_lo
	scratch_store_b32 off, v1, off offset:624 ; 4-byte Folded Spill
	v_add_co_u32 v1, vcc_lo, v32, 4
	scratch_store_b32 off, v1, off offset:628 ; 4-byte Folded Spill
	v_add_co_ci_u32_e32 v1, vcc_lo, 0, v33, vcc_lo
	scratch_store_b32 off, v1, off offset:632 ; 4-byte Folded Spill
	s_waitcnt vmcnt(0)
	v_add_co_u32 v32, vcc_lo, v0, s60
	scratch_load_b32 v0, off, off offset:480 ; 4-byte Folded Reload
	v_add_co_ci_u32_e32 v33, vcc_lo, s61, v113, vcc_lo
	v_mov_b32_e32 v113, 0
	s_waitcnt vmcnt(0)
	v_add_co_u32 v1, vcc_lo, s60, v0
	scratch_load_b32 v0, off, off offset:484 ; 4-byte Folded Reload
	scratch_store_b32 off, v1, off offset:636 ; 4-byte Folded Spill
	v_add_co_ci_u32_e32 v1, vcc_lo, s61, v114, vcc_lo
	scratch_store_b32 off, v1, off offset:640 ; 4-byte Folded Spill
	v_add_co_u32 v1, vcc_lo, v32, 4
	scratch_store_b32 off, v1, off offset:644 ; 4-byte Folded Spill
	v_add_co_ci_u32_e32 v1, vcc_lo, 0, v33, vcc_lo
	scratch_store_b32 off, v1, off offset:648 ; 4-byte Folded Spill
	s_waitcnt vmcnt(0)
	v_add_co_u32 v32, vcc_lo, v0, s60
	scratch_load_b32 v0, off, off offset:472 ; 4-byte Folded Reload
	v_add_co_ci_u32_e32 v33, vcc_lo, s61, v115, vcc_lo
	s_waitcnt vmcnt(0)
	v_add_co_u32 v1, vcc_lo, s60, v0
	scratch_load_b32 v0, off, off offset:476 ; 4-byte Folded Reload
	scratch_store_b32 off, v1, off offset:652 ; 4-byte Folded Spill
	v_add_co_ci_u32_e32 v1, vcc_lo, s61, v232, vcc_lo
	scratch_store_b32 off, v1, off offset:656 ; 4-byte Folded Spill
	v_add_co_u32 v1, vcc_lo, v32, 4
	scratch_store_b32 off, v1, off offset:660 ; 4-byte Folded Spill
	v_add_co_ci_u32_e32 v1, vcc_lo, 0, v33, vcc_lo
	scratch_store_b32 off, v1, off offset:664 ; 4-byte Folded Spill
	s_waitcnt vmcnt(0)
	v_add_co_u32 v32, vcc_lo, v0, s60
	scratch_load_b32 v0, off, off offset:48 ; 4-byte Folded Reload
	v_add_co_ci_u32_e32 v33, vcc_lo, s61, v116, vcc_lo
	;; [unrolled: 14-line block ×4, first 2 shown]
	v_add_co_u32 v1, vcc_lo, s60, v201
	scratch_store_b32 off, v1, off offset:696 ; 4-byte Folded Spill
	v_add_co_ci_u32_e32 v1, vcc_lo, s61, v120, vcc_lo
	scratch_store_b32 off, v1, off offset:712 ; 4-byte Folded Spill
	v_add_co_u32 v1, vcc_lo, v32, 4
	scratch_store_b32 off, v1, off offset:720 ; 4-byte Folded Spill
	v_add_co_ci_u32_e32 v1, vcc_lo, 0, v33, vcc_lo
	scratch_store_b32 off, v1, off offset:716 ; 4-byte Folded Spill
	s_waitcnt vmcnt(0)
	v_add_co_u32 v32, vcc_lo, v0, s60
	v_add_co_ci_u32_e32 v33, vcc_lo, s61, v246, vcc_lo
	v_add_co_u32 v1, vcc_lo, s60, v199
	scratch_store_b32 off, v1, off offset:732 ; 4-byte Folded Spill
	v_add_co_ci_u32_e32 v1, vcc_lo, s61, v228, vcc_lo
	scratch_store_b32 off, v1, off offset:724 ; 4-byte Folded Spill
	v_add_co_u32 v1, vcc_lo, v32, 4
	scratch_store_b32 off, v1, off offset:736 ; 4-byte Folded Spill
	v_add_co_ci_u32_e32 v1, vcc_lo, 0, v33, vcc_lo
	v_add_co_u32 v32, vcc_lo, v200, s60
	v_add_co_ci_u32_e32 v33, vcc_lo, s61, v209, vcc_lo
	scratch_store_b32 off, v1, off offset:728 ; 4-byte Folded Spill
	v_add_co_u32 v1, vcc_lo, s60, v196
	scratch_store_b32 off, v1, off offset:744 ; 4-byte Folded Spill
	v_add_co_ci_u32_e32 v1, vcc_lo, s61, v220, vcc_lo
	scratch_store_b32 off, v1, off offset:740 ; 4-byte Folded Spill
	v_add_co_u32 v1, vcc_lo, v32, 4
	scratch_store_b32 off, v1, off offset:752 ; 4-byte Folded Spill
	v_add_co_ci_u32_e32 v1, vcc_lo, 0, v33, vcc_lo
	v_add_co_u32 v32, vcc_lo, v197, s60
	v_add_co_ci_u32_e32 v33, vcc_lo, s61, v221, vcc_lo
	scratch_store_b32 off, v1, off offset:748 ; 4-byte Folded Spill
	;; [unrolled: 10-line block ×3, first 2 shown]
	v_add_co_u32 v1, vcc_lo, s60, v192
	scratch_store_b32 off, v1, off offset:772 ; 4-byte Folded Spill
	v_add_co_ci_u32_e32 v1, vcc_lo, s61, v76, vcc_lo
	v_add_co_u32 v0, vcc_lo, v32, 4
	scratch_store_b32 off, v0, off offset:476 ; 4-byte Folded Spill
	v_add_co_ci_u32_e32 v0, vcc_lo, 0, v33, vcc_lo
	v_add_co_u32 v32, vcc_lo, v193, s60
	v_add_co_ci_u32_e32 v33, vcc_lo, s61, v6, vcc_lo
	scratch_store_b32 off, v0, off offset:480 ; 4-byte Folded Spill
	v_add_co_u32 v0, vcc_lo, s60, v190
	scratch_store_b32 off, v0, off offset:484 ; 4-byte Folded Spill
	v_add_co_ci_u32_e32 v0, vcc_lo, s61, v77, vcc_lo
	scratch_store_b32 off, v0, off offset:488 ; 4-byte Folded Spill
	v_add_co_u32 v0, vcc_lo, v32, 4
	s_clause 0x1
	scratch_store_b32 off, v1, off offset:472
	; meta instruction
	; meta instruction
	scratch_store_b32 off, v0, off offset:40
	v_add_co_ci_u32_e32 v0, vcc_lo, 0, v33, vcc_lo
	v_add_co_u32 v32, vcc_lo, v191, s60
	v_add_co_ci_u32_e32 v33, vcc_lo, s61, v78, vcc_lo
	scratch_store_b32 off, v0, off offset:44 ; 4-byte Folded Spill
	v_add_co_u32 v0, vcc_lo, s60, v176
	scratch_store_b32 off, v0, off offset:48 ; 4-byte Folded Spill
	v_add_co_ci_u32_e32 v0, vcc_lo, s61, v226, vcc_lo
	scratch_store_b32 off, v0, off offset:492 ; 4-byte Folded Spill
	v_add_co_u32 v0, vcc_lo, v32, 4
	v_add_co_ci_u32_e32 v18, vcc_lo, 0, v33, vcc_lo
	v_add_co_u32 v32, vcc_lo, v180, s60
	scratch_store_b32 off, v0, off offset:52 ; 4-byte Folded Spill
	scratch_load_b32 v0, off, off offset:892 ; 4-byte Folded Reload
	v_add_co_ci_u32_e32 v33, vcc_lo, s61, v211, vcc_lo
	v_add_co_u32 v19, vcc_lo, s60, v169
	v_add_co_ci_u32_e32 v20, vcc_lo, s61, v218, vcc_lo
	v_add_co_u32 v21, vcc_lo, v32, 4
	s_delay_alu instid0(VALU_DEP_4) | instskip(SKIP_4) | instid1(VALU_DEP_4)
	v_add_co_ci_u32_e32 v22, vcc_lo, 0, v33, vcc_lo
	v_add_co_u32 v32, vcc_lo, v172, s60
	v_add_co_ci_u32_e32 v33, vcc_lo, s61, v229, vcc_lo
	v_add_co_u32 v23, vcc_lo, s60, v164
	v_add_co_ci_u32_e32 v85, vcc_lo, s61, v244, vcc_lo
	v_add_co_u32 v84, vcc_lo, v32, 4
	s_delay_alu instid0(VALU_DEP_4) | instskip(SKIP_4) | instid1(VALU_DEP_4)
	v_add_co_ci_u32_e32 v86, vcc_lo, 0, v33, vcc_lo
	v_add_co_u32 v32, vcc_lo, v198, s60
	;; [unrolled: 7-line block ×3, first 2 shown]
	v_add_co_ci_u32_e32 v33, vcc_lo, s61, v247, vcc_lo
	v_add_co_u32 v25, vcc_lo, s60, v179
	v_add_co_ci_u32_e32 v26, vcc_lo, s61, v253, vcc_lo
	v_add_co_u32 v24, vcc_lo, v32, 4
	s_delay_alu instid0(VALU_DEP_4)
	v_add_co_ci_u32_e32 v27, vcc_lo, 0, v33, vcc_lo
	v_add_co_u32 v32, vcc_lo, v188, s60
	s_waitcnt vmcnt(0)
	v_add_co_ci_u32_e32 v33, vcc_lo, s61, v0, vcc_lo
	v_add_co_u32 v93, vcc_lo, s60, v173
	v_add_co_ci_u32_e32 v94, vcc_lo, s61, v181, vcc_lo
	v_add_co_u32 v28, vcc_lo, v32, 4
	v_mov_b32_e32 v32, v91
	v_add_co_ci_u32_e32 v91, vcc_lo, 0, v33, vcc_lo
	v_add_co_u32 v31, vcc_lo, s60, v168
	v_mov_b32_e32 v33, v92
	v_add_co_ci_u32_e32 v92, vcc_lo, s61, v255, vcc_lo
.LBB31_21:                              ; =>This Inner Loop Header: Depth=1
	v_dual_mov_b32 v1, v34 :: v_dual_mov_b32 v54, v35
	v_add_co_u32 v34, vcc_lo, v34, s5
	v_add_co_ci_u32_e32 v35, vcc_lo, 0, v35, vcc_lo
	v_mov_b32_e32 v59, v32
	v_add_co_u32 v32, vcc_lo, v32, s5
	global_load_b32 v39, v[34:35], off offset:-140
	v_mov_b32_e32 v51, v33
	v_add_co_ci_u32_e32 v33, vcc_lo, 0, v33, vcc_lo
	s_clause 0x1
	global_load_b32 v38, v[32:33], off offset:4
	global_load_b32 v40, v[32:33], off offset:12
	global_load_b32 v41, v[34:35], off offset:-120
	s_clause 0x1
	global_load_b32 v42, v[32:33], off offset:24
	global_load_b32 v43, v[32:33], off offset:32
	s_clause 0x5
	global_load_b32 v44, v[34:35], off offset:-100
	global_load_b32 v45, v[34:35], off offset:-80
	;; [unrolled: 1-line block ×5, first 2 shown]
	global_load_b32 v34, v[34:35], off
	s_waitcnt vmcnt(10)
	v_and_b32_e32 v232, 0xf0f0f0f, v38
	v_lshrrev_b32_e32 v38, 4, v38
	s_waitcnt vmcnt(9)
	v_lshrrev_b32_e32 v203, 4, v40
	v_cvt_f32_f16_e64 v229, v39
	v_lshrrev_b32_e32 v35, 16, v39
	s_clause 0x3
	global_load_b32 v39, v[32:33], off offset:44
	global_load_b32 v114, v[32:33], off offset:52
	;; [unrolled: 1-line block ×4, first 2 shown]
	v_and_b32_e32 v230, 0xf0f0f0f, v38
	s_clause 0x1
	scratch_load_b64 v[118:119], off, off offset:84
	scratch_load_b128 v[120:123], off, off offset:340
	v_cvt_f32_f16_e64 v233, v35
	v_and_b32_e32 v231, 0xf0f0f0f, v40
	s_waitcnt vmcnt(14)
	v_cvt_f32_f16_e64 v223, v41
	s_waitcnt vmcnt(12)
	v_and_b32_e32 v226, 0xf0f0f0f, v43
	s_waitcnt vmcnt(9)
	v_cvt_f32_f16_e64 v205, v46
	v_cvt_f32_f16_e64 v217, v44
	;; [unrolled: 1-line block ×3, first 2 shown]
	v_and_b32_e32 v225, 0xf0f0f0f, v42
	s_waitcnt vmcnt(4)
	v_and_b32_e32 v220, 0xf0f0f0f, v114
	s_waitcnt vmcnt(3)
	v_and_b32_e32 v213, 0xf0f0f0f, v115
	s_waitcnt vmcnt(2)
	v_and_b32_e32 v214, 0xf0f0f0f, v116
	s_waitcnt vmcnt(1)
	v_dot4_i32_iu8 v35, v232, v118, 0 neg_lo:[1,1,0]
	s_waitcnt vmcnt(0)
	v_mul_f32_e32 v40, v121, v233
	v_dot4_i32_iu8 v38, v231, v119, 0 neg_lo:[1,1,0]
	scratch_load_b64 v[118:119], off, off offset:92 ; 8-byte Folded Reload
	v_mul_f32_e32 v204, v120, v229
	v_cvt_f32_i32_e32 v35, v35
	v_mul_f32_e32 v234, 0x3e000000, v40
	v_cvt_f32_i32_e32 v38, v38
	s_delay_alu instid0(VALU_DEP_2) | instskip(SKIP_4) | instid1(VALU_DEP_4)
	v_fma_f32 v235, v204, v35, v234
	v_lshrrev_b32_e32 v35, 16, v41
	v_lshrrev_b32_e32 v41, 4, v43
	v_mul_f32_e32 v43, v122, v223
	v_and_b32_e32 v228, 0xf0f0f0f, v203
	v_cvt_f32_f16_e64 v227, v35
	s_delay_alu instid0(VALU_DEP_4)
	v_and_b32_e32 v222, 0xf0f0f0f, v41
	s_waitcnt vmcnt(0)
	v_dot4_i32_iu8 v40, v230, v118, 0 neg_lo:[1,1,0]
	v_dot4_i32_iu8 v203, v228, v119, 0 neg_lo:[1,1,0]
	scratch_load_b128 v[118:121], off, off offset:356 ; 16-byte Folded Reload
	v_cvt_f32_i32_e32 v40, v40
	v_cvt_f32_i32_e32 v203, v203
	s_delay_alu instid0(VALU_DEP_2) | instskip(SKIP_1) | instid1(VALU_DEP_1)
	v_fma_f32 v236, v204, v40, v234
	v_lshrrev_b32_e32 v40, 4, v42
	v_and_b32_e32 v224, 0xf0f0f0f, v40
	scratch_load_b64 v[40:41], off, off offset:100 ; 8-byte Folded Reload
	s_waitcnt vmcnt(0)
	v_dot4_i32_iu8 v35, v225, v40, 0 neg_lo:[1,1,0]
	v_dot4_i32_iu8 v40, v226, v41, 0 neg_lo:[1,1,0]
	v_mul_f32_e32 v41, v123, v227
	v_fma_f32 v38, v204, v38, v234
	v_fmac_f32_e32 v234, v204, v203
	v_cvt_f32_i32_e32 v35, v35
	v_cvt_f32_i32_e32 v40, v40
	v_mul_f32_e32 v237, 0x3e000000, v41
	scratch_load_b64 v[41:42], off, off offset:108 ; 8-byte Folded Reload
	v_fma_f32 v238, v43, v35, v237
	v_lshrrev_b32_e32 v35, 16, v44
	v_fma_f32 v239, v43, v40, v237
	v_lshrrev_b32_e32 v40, 4, v114
	s_delay_alu instid0(VALU_DEP_3) | instskip(SKIP_2) | instid1(VALU_DEP_4)
	v_cvt_f32_f16_e64 v221, v35
	v_and_b32_e32 v219, 0xf0f0f0f, v39
	v_lshrrev_b32_e32 v39, 4, v39
	v_and_b32_e32 v216, 0xf0f0f0f, v40
	s_delay_alu instid0(VALU_DEP_2) | instskip(SKIP_4) | instid1(VALU_DEP_2)
	v_and_b32_e32 v218, 0xf0f0f0f, v39
	scratch_load_b64 v[39:40], off, off offset:116 ; 8-byte Folded Reload
	s_waitcnt vmcnt(1)
	v_dot4_i32_iu8 v41, v224, v41, 0 neg_lo:[1,1,0]
	v_dot4_i32_iu8 v42, v222, v42, 0 neg_lo:[1,1,0]
	v_cvt_f32_i32_e32 v41, v41
	s_delay_alu instid0(VALU_DEP_2) | instskip(NEXT) | instid1(VALU_DEP_2)
	v_cvt_f32_i32_e32 v42, v42
	v_fma_f32 v240, v43, v41, v237
	s_delay_alu instid0(VALU_DEP_2) | instskip(SKIP_4) | instid1(VALU_DEP_3)
	v_dual_fmac_f32 v237, v43, v42 :: v_dual_mul_f32 v42, v118, v217
	s_waitcnt vmcnt(0)
	v_dot4_i32_iu8 v35, v219, v39, 0 neg_lo:[1,1,0]
	v_dot4_i32_iu8 v39, v220, v40, 0 neg_lo:[1,1,0]
	v_mul_f32_e32 v40, v119, v221
	v_cvt_f32_i32_e32 v35, v35
	s_delay_alu instid0(VALU_DEP_3) | instskip(NEXT) | instid1(VALU_DEP_3)
	v_cvt_f32_i32_e32 v39, v39
	v_mul_f32_e32 v241, 0x3e000000, v40
	scratch_load_b64 v[40:41], off, off offset:124 ; 8-byte Folded Reload
	v_fma_f32 v242, v42, v35, v241
	v_fma_f32 v243, v42, v39, v241
	v_lshrrev_b32_e32 v35, 16, v45
	v_lshrrev_b32_e32 v39, 4, v115
	s_delay_alu instid0(VALU_DEP_2) | instskip(NEXT) | instid1(VALU_DEP_2)
	v_cvt_f32_f16_e64 v215, v35
	v_and_b32_e32 v212, 0xf0f0f0f, v39
	s_waitcnt vmcnt(0)
	v_dot4_i32_iu8 v40, v218, v40, 0 neg_lo:[1,1,0]
	v_dot4_i32_iu8 v41, v216, v41, 0 neg_lo:[1,1,0]
	s_delay_alu instid0(VALU_DEP_2) | instskip(NEXT) | instid1(VALU_DEP_2)
	v_cvt_f32_i32_e32 v40, v40
	v_cvt_f32_i32_e32 v41, v41
	s_delay_alu instid0(VALU_DEP_2) | instskip(SKIP_1) | instid1(VALU_DEP_3)
	v_fma_f32 v244, v42, v40, v241
	v_lshrrev_b32_e32 v40, 4, v116
	v_dual_fmac_f32 v241, v42, v41 :: v_dual_mul_f32 v42, v120, v211
	s_delay_alu instid0(VALU_DEP_2)
	v_and_b32_e32 v209, 0xf0f0f0f, v40
	scratch_load_b64 v[39:40], off, off offset:132 ; 8-byte Folded Reload
	s_waitcnt vmcnt(0)
	v_dot4_i32_iu8 v35, v213, v39, 0 neg_lo:[1,1,0]
	v_dot4_i32_iu8 v39, v214, v40, 0 neg_lo:[1,1,0]
	v_mul_f32_e32 v40, v121, v215
	s_delay_alu instid0(VALU_DEP_3) | instskip(NEXT) | instid1(VALU_DEP_3)
	v_cvt_f32_i32_e32 v35, v35
	v_cvt_f32_i32_e32 v39, v39
	s_delay_alu instid0(VALU_DEP_3)
	v_mul_f32_e32 v245, 0x3e000000, v40
	scratch_load_b64 v[40:41], off, off offset:140 ; 8-byte Folded Reload
	v_fma_f32 v246, v42, v35, v245
	v_fma_f32 v247, v42, v39, v245
	s_waitcnt vmcnt(0)
	v_dot4_i32_iu8 v40, v212, v40, 0 neg_lo:[1,1,0]
	v_dot4_i32_iu8 v41, v209, v41, 0 neg_lo:[1,1,0]
	s_delay_alu instid0(VALU_DEP_2) | instskip(NEXT) | instid1(VALU_DEP_2)
	v_cvt_f32_i32_e32 v40, v40
	v_cvt_f32_i32_e32 v41, v41
	s_delay_alu instid0(VALU_DEP_2) | instskip(NEXT) | instid1(VALU_DEP_2)
	v_fma_f32 v248, v42, v40, v245
	v_fmac_f32_e32 v245, v42, v41
	s_clause 0x7
	global_load_b32 v35, v[32:33], off offset:84
	global_load_b32 v39, v[32:33], off offset:92
	;; [unrolled: 1-line block ×8, first 2 shown]
	v_lshrrev_b32_e32 v32, 16, v46
	scratch_load_b128 v[118:121], off, off offset:372 ; 16-byte Folded Reload
	v_cvt_f32_f16_e32 v46, v117
	s_clause 0x1
	scratch_load_b64 v[122:123], off, off offset:196
	scratch_load_b128 v[76:79], off, off offset:388
	v_cvt_f32_f16_e64 v210, v32
	scratch_load_b32 v50, off, off offset:468 ; 4-byte Folded Reload
	s_waitcnt vmcnt(11)
	v_and_b32_e32 v207, 0xf0f0f0f, v35
	s_waitcnt vmcnt(10)
	v_lshrrev_b32_e32 v44, 4, v39
	v_lshrrev_b32_e32 v35, 4, v35
	v_and_b32_e32 v208, 0xf0f0f0f, v39
	s_waitcnt vmcnt(9)
	v_and_b32_e32 v114, 0xf0f0f0f, v40
	s_waitcnt vmcnt(8)
	v_and_b32_e32 v115, 0xf0f0f0f, v41
	v_and_b32_e32 v204, 0xf0f0f0f, v44
	scratch_load_b64 v[44:45], off, off offset:148 ; 8-byte Folded Reload
	v_and_b32_e32 v206, 0xf0f0f0f, v35
	s_waitcnt vmcnt(0)
	v_dot4_i32_iu8 v32, v207, v44, 0 neg_lo:[1,1,0]
	v_dot4_i32_iu8 v35, v208, v45, 0 neg_lo:[1,1,0]
	scratch_load_b64 v[44:45], off, off offset:156 ; 8-byte Folded Reload
	v_mul_f32_e32 v39, v119, v210
	v_mul_f32_e32 v119, v76, v46
	v_cvt_f32_i32_e32 v32, v32
	v_cvt_f32_i32_e32 v35, v35
	s_delay_alu instid0(VALU_DEP_4) | instskip(SKIP_4) | instid1(VALU_DEP_3)
	v_mul_f32_e32 v250, 0x3e000000, v39
	s_waitcnt vmcnt(0)
	v_dot4_i32_iu8 v39, v206, v44, 0 neg_lo:[1,1,0]
	v_dot4_i32_iu8 v44, v204, v45, 0 neg_lo:[1,1,0]
	v_mul_f32_e32 v45, v118, v205
	v_cvt_f32_i32_e32 v39, v39
	s_delay_alu instid0(VALU_DEP_3) | instskip(NEXT) | instid1(VALU_DEP_3)
	v_cvt_f32_i32_e32 v44, v44
	v_fma_f32 v251, v45, v32, v250
	v_fma_f32 v252, v45, v35, v250
	v_lshrrev_b32_e32 v35, 4, v40
	v_fma_f32 v253, v45, v39, v250
	v_lshrrev_b32_e32 v39, 4, v41
	v_fmac_f32_e32 v250, v45, v44
	v_lshrrev_b32_e32 v32, 16, v47
	v_cvt_f32_f16_e32 v44, v47
	v_and_b32_e32 v47, 0xf0f0f0f, v35
	v_and_b32_e32 v45, 0xf0f0f0f, v39
	scratch_load_b64 v[39:40], off, off offset:164 ; 8-byte Folded Reload
	v_cvt_f32_f16_e32 v116, v32
	v_mul_f32_e32 v41, v120, v44
	s_waitcnt vmcnt(0)
	v_dot4_i32_iu8 v32, v114, v39, 0 neg_lo:[1,1,0]
	s_delay_alu instid0(VALU_DEP_3) | instskip(SKIP_1) | instid1(VALU_DEP_3)
	v_mul_f32_e32 v39, v121, v116
	v_dot4_i32_iu8 v35, v115, v40, 0 neg_lo:[1,1,0]
	v_cvt_f32_i32_e32 v32, v32
	s_delay_alu instid0(VALU_DEP_3) | instskip(SKIP_4) | instid1(VALU_DEP_3)
	v_mul_f32_e32 v254, 0x3e000000, v39
	scratch_load_b64 v[39:40], off, off offset:172 ; 8-byte Folded Reload
	v_cvt_f32_i32_e32 v35, v35
	v_fma_f32 v255, v41, v32, v254
	v_lshrrev_b32_e32 v32, 16, v117
	v_fma_f32 v120, v41, v35, v254
	v_and_b32_e32 v117, 0xf0f0f0f, v42
	v_lshrrev_b32_e32 v35, 4, v42
	s_delay_alu instid0(VALU_DEP_4) | instskip(NEXT) | instid1(VALU_DEP_2)
	v_cvt_f32_f16_e64 v203, v32
	v_and_b32_e32 v35, 0xf0f0f0f, v35
	s_delay_alu instid0(VALU_DEP_2) | instskip(NEXT) | instid1(VALU_DEP_1)
	v_mul_f32_e32 v42, v77, v203
	v_mul_f32_e32 v121, 0x3e000000, v42
	s_waitcnt vmcnt(0)
	v_dot4_i32_iu8 v39, v47, v39, 0 neg_lo:[1,1,0]
	v_dot4_i32_iu8 v40, v45, v40, 0 neg_lo:[1,1,0]
	s_delay_alu instid0(VALU_DEP_2) | instskip(NEXT) | instid1(VALU_DEP_2)
	v_cvt_f32_i32_e32 v39, v39
	v_cvt_f32_i32_e32 v40, v40
	s_delay_alu instid0(VALU_DEP_2) | instskip(NEXT) | instid1(VALU_DEP_2)
	v_fma_f32 v125, v41, v39, v254
	v_fmac_f32_e32 v254, v41, v40
	v_lshrrev_b32_e32 v40, 4, v43
	v_and_b32_e32 v39, 0xf0f0f0f, v43
	scratch_load_b64 v[42:43], off, off offset:188 ; 8-byte Folded Reload
	v_and_b32_e32 v32, 0xf0f0f0f, v40
	scratch_load_b64 v[40:41], off, off offset:180 ; 8-byte Folded Reload
	s_waitcnt vmcnt(1)
	v_dot4_i32_iu8 v42, v35, v42, 0 neg_lo:[1,1,0]
	v_dot4_i32_iu8 v43, v32, v43, 0 neg_lo:[1,1,0]
	s_waitcnt vmcnt(0)
	v_dot4_i32_iu8 v40, v117, v40, 0 neg_lo:[1,1,0]
	v_dot4_i32_iu8 v41, v39, v41, 0 neg_lo:[1,1,0]
	v_cvt_f32_i32_e32 v42, v42
	v_cvt_f32_i32_e32 v43, v43
	s_delay_alu instid0(VALU_DEP_4) | instskip(NEXT) | instid1(VALU_DEP_4)
	v_cvt_f32_i32_e32 v40, v40
	v_cvt_f32_i32_e32 v41, v41
	s_delay_alu instid0(VALU_DEP_4) | instskip(NEXT) | instid1(VALU_DEP_3)
	v_fma_f32 v130, v119, v42, v121
	v_fma_f32 v118, v119, v40, v121
	s_delay_alu instid0(VALU_DEP_3)
	v_fma_f32 v126, v119, v41, v121
	v_fmac_f32_e32 v121, v119, v43
	v_cvt_f32_f16_e32 v41, v34
	v_lshrrev_b32_e32 v34, 16, v34
	v_and_b32_e32 v43, 0xf0f0f0f, v249
	v_lshrrev_b32_e32 v119, 4, v249
	v_lshrrev_b32_e32 v249, 4, v33
	v_and_b32_e32 v40, 0xf0f0f0f, v33
	v_cvt_f32_f16_e32 v42, v34
	s_delay_alu instid0(VALU_DEP_4) | instskip(NEXT) | instid1(VALU_DEP_4)
	v_and_b32_e32 v34, 0xf0f0f0f, v119
	v_and_b32_e32 v33, 0xf0f0f0f, v249
	v_dot4_i32_iu8 v119, v43, v122, 0 neg_lo:[1,1,0]
	v_dot4_i32_iu8 v249, v40, v123, 0 neg_lo:[1,1,0]
	scratch_load_b64 v[122:123], off, off offset:204 ; 8-byte Folded Reload
	v_mul_f32_e32 v131, v79, v42
	v_cvt_f32_i32_e32 v119, v119
	v_cvt_f32_i32_e32 v249, v249
	s_delay_alu instid0(VALU_DEP_3) | instskip(SKIP_4) | instid1(VALU_DEP_3)
	v_mul_f32_e32 v131, 0x3e000000, v131
	s_waitcnt vmcnt(0)
	v_dot4_i32_iu8 v132, v34, v122, 0 neg_lo:[1,1,0]
	v_dot4_i32_iu8 v133, v33, v123, 0 neg_lo:[1,1,0]
	v_mul_f32_e32 v123, v78, v41
	v_cvt_f32_i32_e32 v132, v132
	s_delay_alu instid0(VALU_DEP_3) | instskip(NEXT) | instid1(VALU_DEP_3)
	v_cvt_f32_i32_e32 v133, v133
	v_fma_f32 v119, v123, v119, v131
	v_fma_f32 v249, v123, v249, v131
	s_delay_alu instid0(VALU_DEP_4) | instskip(NEXT) | instid1(VALU_DEP_4)
	v_fma_f32 v132, v123, v132, v131
	v_fmac_f32_e32 v131, v123, v133
	v_add_f32_e32 v123, 0, v235
	s_delay_alu instid0(VALU_DEP_1) | instskip(NEXT) | instid1(VALU_DEP_1)
	v_add_f32_e32 v38, v123, v38
	v_add_f32_e32 v38, v38, v236
	s_delay_alu instid0(VALU_DEP_1) | instskip(NEXT) | instid1(VALU_DEP_1)
	v_add_f32_e32 v38, v38, v234
                                        ; implicit-def: $vgpr234
	v_add_f32_e32 v38, v38, v238
	s_delay_alu instid0(VALU_DEP_1) | instskip(NEXT) | instid1(VALU_DEP_1)
	v_add_f32_e32 v38, v38, v239
	v_add_f32_e32 v38, v38, v240
	s_delay_alu instid0(VALU_DEP_1) | instskip(NEXT) | instid1(VALU_DEP_1)
	v_add_f32_e32 v38, v38, v237
	;; [unrolled: 3-line block ×13, first 2 shown]
	v_add_f32_e32 v38, v38, v132
	s_delay_alu instid0(VALU_DEP_1) | instskip(SKIP_3) | instid1(VALU_DEP_1)
	v_add_f32_e32 v38, v38, v131
	ds_bpermute_b32 v118, v50, v38
	s_waitcnt lgkmcnt(0)
	v_add_f32_e32 v38, v38, v118
	v_cmp_ngt_f32_e64 s9, 0x3f200000, |v38|
	s_delay_alu instid0(VALU_DEP_1) | instskip(NEXT) | instid1(SALU_CYCLE_1)
	s_and_saveexec_b32 s10, s9
	s_xor_b32 s9, exec_lo, s10
	s_cbranch_execz .LBB31_23
; %bb.22:                               ;   in Loop: Header=BB31_21 Depth=1
	v_add_f32_e64 v118, |v38|, |v38|
	s_delay_alu instid0(VALU_DEP_1) | instskip(SKIP_1) | instid1(VALU_DEP_2)
	v_mul_f32_e32 v119, 0x3fb8aa3b, v118
	v_cmp_ngt_f32_e32 vcc_lo, 0xc2ce8ed0, v118
	v_rndne_f32_e32 v120, v119
	v_fma_f32 v121, 0x3fb8aa3b, v118, -v119
	s_delay_alu instid0(VALU_DEP_2) | instskip(NEXT) | instid1(VALU_DEP_2)
	v_sub_f32_e32 v119, v119, v120
	v_fmac_f32_e32 v121, 0x32a5705f, v118
	v_cvt_i32_f32_e32 v120, v120
	s_delay_alu instid0(VALU_DEP_2) | instskip(NEXT) | instid1(VALU_DEP_1)
	v_add_f32_e32 v119, v119, v121
	v_exp_f32_e32 v119, v119
	s_waitcnt_depctr 0xfff
	v_ldexp_f32 v119, v119, v120
	s_delay_alu instid0(VALU_DEP_1) | instskip(SKIP_1) | instid1(VALU_DEP_2)
	v_cndmask_b32_e32 v119, 0, v119, vcc_lo
	v_cmp_nlt_f32_e32 vcc_lo, 0x42b17218, v118
	v_cndmask_b32_e32 v118, 0x7f800000, v119, vcc_lo
	s_delay_alu instid0(VALU_DEP_1) | instskip(NEXT) | instid1(VALU_DEP_1)
	v_add_f32_e32 v118, 1.0, v118
	v_rcp_f32_e32 v118, v118
	s_waitcnt_depctr 0xfff
	v_fma_f32 v234, v118, -2.0, 1.0
.LBB31_23:                              ;   in Loop: Header=BB31_21 Depth=1
	s_and_not1_saveexec_b32 s9, s9
; %bb.24:                               ;   in Loop: Header=BB31_21 Depth=1
	v_mul_f32_e32 v118, v38, v38
	s_delay_alu instid0(VALU_DEP_1) | instskip(NEXT) | instid1(VALU_DEP_1)
	v_fmaak_f32 v119, s8, v118, 0x3ca908c9
	v_fmaak_f32 v119, v118, v119, 0xbd5c1c4e
	s_delay_alu instid0(VALU_DEP_1) | instskip(NEXT) | instid1(VALU_DEP_1)
	v_fmaak_f32 v119, v118, v119, 0x3e088382
	v_fmaak_f32 v119, v118, v119, 0xbeaaaa99
	s_delay_alu instid0(VALU_DEP_1) | instskip(NEXT) | instid1(VALU_DEP_1)
	v_mul_f32_e64 v119, |v38|, v119
	v_fma_f32 v234, v118, v119, |v38|
; %bb.25:                               ;   in Loop: Header=BB31_21 Depth=1
	s_or_b32 exec_lo, exec_lo, s9
	s_delay_alu instid0(VALU_DEP_1) | instskip(SKIP_1) | instid1(VALU_DEP_1)
	v_bfi_b32 v38, 0x7fffffff, v234, v38
	s_and_not1_b32 vcc_lo, exec_lo, s85
	v_mul_f32_e32 v38, s81, v38
	s_cbranch_vccnz .LBB31_27
; %bb.26:                               ;   in Loop: Header=BB31_21 Depth=1
	scratch_load_b32 v48, off, off offset:24 ; 4-byte Folded Reload
	s_waitcnt vmcnt(0)
	v_add_co_u32 v234, vcc_lo, v48, s73
	scratch_load_b32 v48, off, off offset:28 ; 4-byte Folded Reload
	s_waitcnt vmcnt(0)
	v_add_co_ci_u32_e32 v235, vcc_lo, s75, v48, vcc_lo
	global_load_u16 v118, v[234:235], off offset:-2
	scratch_load_b32 v119, off, off offset:80 ; 4-byte Folded Reload
	s_waitcnt vmcnt(0)
	v_fma_mix_f32 v38, v119, v118, v38 op_sel_hi:[0,1,0]
.LBB31_27:                              ;   in Loop: Header=BB31_21 Depth=1
	s_clause 0x1
	scratch_load_b64 v[48:49], off, off offset:212
	scratch_load_b128 v[76:79], off, off offset:404
	s_waitcnt vmcnt(1)
	v_dot4_i32_iu8 v118, v232, v48, 0 neg_lo:[1,1,0]
	v_dot4_i32_iu8 v121, v231, v49, 0 neg_lo:[1,1,0]
	scratch_load_b64 v[48:49], off, off offset:220 ; 8-byte Folded Reload
	s_waitcnt vmcnt(1)
	v_dual_mul_f32 v119, v77, v233 :: v_dual_mul_f32 v126, v79, v227
	v_mul_f32_e32 v120, v76, v229
	v_cvt_f32_i32_e32 v118, v118
	v_cvt_f32_i32_e32 v121, v121
	s_delay_alu instid0(VALU_DEP_4) | instskip(NEXT) | instid1(VALU_DEP_1)
	v_dual_mul_f32 v119, 0x3e000000, v119 :: v_dual_mul_f32 v126, 0x3e000000, v126
	v_fma_f32 v118, v120, v118, v119
	s_delay_alu instid0(VALU_DEP_3) | instskip(NEXT) | instid1(VALU_DEP_2)
	v_fma_f32 v121, v120, v121, v119
	v_add_f32_e32 v118, 0, v118
	s_delay_alu instid0(VALU_DEP_1)
	v_add_f32_e32 v118, v118, v121
	s_waitcnt vmcnt(0)
	v_dot4_i32_iu8 v123, v230, v48, 0 neg_lo:[1,1,0]
	v_dot4_i32_iu8 v125, v228, v49, 0 neg_lo:[1,1,0]
	scratch_load_b64 v[48:49], off, off offset:228 ; 8-byte Folded Reload
	v_cvt_f32_i32_e32 v123, v123
	v_cvt_f32_i32_e32 v125, v125
	s_delay_alu instid0(VALU_DEP_2) | instskip(NEXT) | instid1(VALU_DEP_2)
	v_fma_f32 v123, v120, v123, v119
	v_fmac_f32_e32 v119, v120, v125
	v_mul_f32_e32 v125, v78, v223
	scratch_load_b128 v[76:79], off, off offset:420 ; 16-byte Folded Reload
	v_add_f32_e32 v118, v118, v123
	s_delay_alu instid0(VALU_DEP_1)
	v_add_f32_e32 v118, v118, v119
	s_waitcnt vmcnt(1)
	v_dot4_i32_iu8 v120, v225, v48, 0 neg_lo:[1,1,0]
	v_dot4_i32_iu8 v130, v226, v49, 0 neg_lo:[1,1,0]
	scratch_load_b64 v[48:49], off, off offset:236 ; 8-byte Folded Reload
	v_cvt_f32_i32_e32 v120, v120
	v_cvt_f32_i32_e32 v130, v130
	s_delay_alu instid0(VALU_DEP_2) | instskip(NEXT) | instid1(VALU_DEP_2)
	v_fma_f32 v120, v125, v120, v126
	v_fma_f32 v130, v125, v130, v126
	s_waitcnt vmcnt(1)
	v_mul_f32_e32 v133, v77, v221
	v_mul_f32_e32 v211, v78, v211
	s_delay_alu instid0(VALU_DEP_2) | instskip(NEXT) | instid1(VALU_DEP_1)
	v_dual_add_f32 v118, v118, v120 :: v_dual_mul_f32 v133, 0x3e000000, v133
	v_add_f32_e32 v118, v118, v130
	s_waitcnt vmcnt(0)
	v_dot4_i32_iu8 v131, v224, v48, 0 neg_lo:[1,1,0]
	v_dot4_i32_iu8 v132, v222, v49, 0 neg_lo:[1,1,0]
	scratch_load_b64 v[48:49], off, off offset:244 ; 8-byte Folded Reload
	v_cvt_f32_i32_e32 v131, v131
	v_cvt_f32_i32_e32 v132, v132
	s_delay_alu instid0(VALU_DEP_2) | instskip(NEXT) | instid1(VALU_DEP_2)
	v_fma_f32 v131, v125, v131, v126
	v_fmac_f32_e32 v126, v125, v132
	v_mul_f32_e32 v132, v76, v217
	s_delay_alu instid0(VALU_DEP_3) | instskip(NEXT) | instid1(VALU_DEP_1)
	v_add_f32_e32 v118, v118, v131
	v_add_f32_e32 v118, v118, v126
	s_waitcnt vmcnt(0)
	v_dot4_i32_iu8 v125, v219, v48, 0 neg_lo:[1,1,0]
	v_dot4_i32_iu8 v217, v220, v49, 0 neg_lo:[1,1,0]
	scratch_load_b64 v[48:49], off, off offset:252 ; 8-byte Folded Reload
	v_cvt_f32_i32_e32 v125, v125
	v_cvt_f32_i32_e32 v217, v217
	s_delay_alu instid0(VALU_DEP_2) | instskip(NEXT) | instid1(VALU_DEP_2)
	v_fma_f32 v125, v132, v125, v133
	v_fma_f32 v217, v132, v217, v133
	s_delay_alu instid0(VALU_DEP_2) | instskip(NEXT) | instid1(VALU_DEP_1)
	v_add_f32_e32 v118, v118, v125
	v_add_f32_e32 v118, v118, v217
	s_waitcnt vmcnt(0)
	v_dot4_i32_iu8 v218, v218, v48, 0 neg_lo:[1,1,0]
	v_dot4_i32_iu8 v216, v216, v49, 0 neg_lo:[1,1,0]
	scratch_load_b64 v[48:49], off, off offset:260 ; 8-byte Folded Reload
	v_cvt_f32_i32_e32 v218, v218
	v_cvt_f32_i32_e32 v216, v216
	s_delay_alu instid0(VALU_DEP_2) | instskip(NEXT) | instid1(VALU_DEP_1)
	v_fma_f32 v218, v132, v218, v133
	v_dual_fmac_f32 v133, v132, v216 :: v_dual_add_f32 v118, v118, v218
	s_delay_alu instid0(VALU_DEP_1)
	v_add_f32_e32 v118, v118, v133
	s_waitcnt vmcnt(0)
	v_dot4_i32_iu8 v132, v213, v48, 0 neg_lo:[1,1,0]
	v_dot4_i32_iu8 v214, v214, v49, 0 neg_lo:[1,1,0]
	scratch_load_b64 v[48:49], off, off offset:268 ; 8-byte Folded Reload
	v_mul_f32_e32 v213, v79, v215
	scratch_load_b128 v[76:79], off, off offset:436 ; 16-byte Folded Reload
	v_cvt_f32_i32_e32 v132, v132
	v_cvt_f32_i32_e32 v214, v214
	v_mul_f32_e32 v213, 0x3e000000, v213
	s_waitcnt vmcnt(1)
	v_dot4_i32_iu8 v212, v212, v48, 0 neg_lo:[1,1,0]
	v_dot4_i32_iu8 v209, v209, v49, 0 neg_lo:[1,1,0]
	scratch_load_b64 v[48:49], off, off offset:276 ; 8-byte Folded Reload
	s_waitcnt vmcnt(1)
	v_mul_f32_e32 v116, v79, v116
	v_fma_f32 v132, v211, v132, v213
	v_cvt_f32_i32_e32 v212, v212
	v_cvt_f32_i32_e32 v209, v209
	v_fma_f32 v214, v211, v214, v213
	v_dual_mul_f32 v205, v76, v205 :: v_dual_mul_f32 v44, v78, v44
	s_delay_alu instid0(VALU_DEP_4) | instskip(NEXT) | instid1(VALU_DEP_4)
	v_fma_f32 v212, v211, v212, v213
	v_fmac_f32_e32 v213, v211, v209
	v_mul_f32_e32 v209, v77, v210
	scratch_load_b128 v[76:79], off, off offset:452 ; 16-byte Folded Reload
	v_mul_f32_e32 v116, 0x3e000000, v116
	v_dual_add_f32 v118, v118, v132 :: v_dual_mul_f32 v209, 0x3e000000, v209
	s_delay_alu instid0(VALU_DEP_1) | instskip(NEXT) | instid1(VALU_DEP_1)
	v_add_f32_e32 v118, v118, v214
	v_add_f32_e32 v118, v118, v212
	s_delay_alu instid0(VALU_DEP_1)
	v_add_f32_e32 v118, v118, v213
	s_waitcnt vmcnt(1)
	v_dot4_i32_iu8 v207, v207, v48, 0 neg_lo:[1,1,0]
	v_dot4_i32_iu8 v208, v208, v49, 0 neg_lo:[1,1,0]
	scratch_load_b64 v[48:49], off, off offset:284 ; 8-byte Folded Reload
	v_cvt_f32_i32_e32 v207, v207
	v_cvt_f32_i32_e32 v208, v208
	s_delay_alu instid0(VALU_DEP_2) | instskip(NEXT) | instid1(VALU_DEP_2)
	v_fma_f32 v207, v205, v207, v209
	v_fma_f32 v208, v205, v208, v209
	s_waitcnt vmcnt(1)
	v_dual_mul_f32 v41, v78, v41 :: v_dual_mul_f32 v46, v76, v46
	v_mul_f32_e32 v42, v79, v42
	v_add_f32_e32 v118, v118, v207
	s_delay_alu instid0(VALU_DEP_2) | instskip(NEXT) | instid1(VALU_DEP_2)
	v_mul_f32_e32 v42, 0x3e000000, v42
	v_add_f32_e32 v118, v118, v208
	s_waitcnt vmcnt(0)
	v_dot4_i32_iu8 v206, v206, v48, 0 neg_lo:[1,1,0]
	v_dot4_i32_iu8 v204, v204, v49, 0 neg_lo:[1,1,0]
	scratch_load_b64 v[48:49], off, off offset:292 ; 8-byte Folded Reload
	v_cvt_f32_i32_e32 v206, v206
	v_cvt_f32_i32_e32 v204, v204
	s_delay_alu instid0(VALU_DEP_2) | instskip(NEXT) | instid1(VALU_DEP_1)
	v_fma_f32 v206, v205, v206, v209
	v_dual_fmac_f32 v209, v205, v204 :: v_dual_add_f32 v118, v118, v206
	s_delay_alu instid0(VALU_DEP_1)
	v_add_f32_e32 v118, v118, v209
	s_waitcnt vmcnt(0)
	v_dot4_i32_iu8 v114, v114, v48, 0 neg_lo:[1,1,0]
	v_dot4_i32_iu8 v115, v115, v49, 0 neg_lo:[1,1,0]
	scratch_load_b64 v[48:49], off, off offset:300 ; 8-byte Folded Reload
	v_cvt_f32_i32_e32 v114, v114
	v_cvt_f32_i32_e32 v115, v115
	s_delay_alu instid0(VALU_DEP_2) | instskip(NEXT) | instid1(VALU_DEP_2)
	v_fma_f32 v114, v44, v114, v116
	v_fma_f32 v115, v44, v115, v116
	s_delay_alu instid0(VALU_DEP_2) | instskip(SKIP_1) | instid1(VALU_DEP_2)
	v_add_f32_e32 v114, v118, v114
	v_mul_f32_e32 v118, v77, v203
	v_add_f32_e32 v114, v114, v115
	s_waitcnt vmcnt(0)
	v_dot4_i32_iu8 v47, v47, v48, 0 neg_lo:[1,1,0]
	v_dot4_i32_iu8 v45, v45, v49, 0 neg_lo:[1,1,0]
	scratch_load_b64 v[48:49], off, off offset:308 ; 8-byte Folded Reload
	v_cvt_f32_i32_e32 v47, v47
	v_cvt_f32_i32_e32 v45, v45
	s_waitcnt vmcnt(0)
	v_dot4_i32_iu8 v117, v117, v48, 0 neg_lo:[1,1,0]
	v_dot4_i32_iu8 v39, v39, v49, 0 neg_lo:[1,1,0]
	s_delay_alu instid0(VALU_DEP_2) | instskip(SKIP_4) | instid1(VALU_DEP_4)
	v_cvt_f32_i32_e32 v115, v117
	v_mul_f32_e32 v117, 0x3e000000, v118
	v_fma_f32 v47, v44, v47, v116
	v_fmac_f32_e32 v116, v44, v45
	v_cvt_f32_i32_e32 v39, v39
	v_fma_f32 v45, v46, v115, v117
	s_delay_alu instid0(VALU_DEP_4) | instskip(SKIP_3) | instid1(VALU_DEP_1)
	v_add_f32_e32 v44, v114, v47
	scratch_load_b64 v[47:48], off, off offset:316 ; 8-byte Folded Reload
	v_fma_f32 v39, v46, v39, v117
	v_add_f32_e32 v44, v44, v116
	v_add_f32_e32 v44, v44, v45
	s_delay_alu instid0(VALU_DEP_1)
	v_add_f32_e32 v39, v44, v39
	scratch_load_b64 v[44:45], off, off offset:332 ; 8-byte Folded Reload
	s_waitcnt vmcnt(1)
	v_dot4_i32_iu8 v35, v35, v47, 0 neg_lo:[1,1,0]
	v_dot4_i32_iu8 v32, v32, v48, 0 neg_lo:[1,1,0]
	scratch_load_b64 v[47:48], off, off offset:324 ; 8-byte Folded Reload
	v_cvt_f32_i32_e32 v35, v35
	v_cvt_f32_i32_e32 v32, v32
	s_delay_alu instid0(VALU_DEP_2) | instskip(NEXT) | instid1(VALU_DEP_1)
	v_fma_f32 v35, v46, v35, v117
	v_dual_fmac_f32 v117, v46, v32 :: v_dual_add_f32 v32, v39, v35
	s_waitcnt vmcnt(1)
	v_dot4_i32_iu8 v34, v34, v44, 0 neg_lo:[1,1,0]
	v_dot4_i32_iu8 v33, v33, v45, 0 neg_lo:[1,1,0]
	s_delay_alu instid0(VALU_DEP_3) | instskip(NEXT) | instid1(VALU_DEP_3)
	v_add_f32_e32 v32, v32, v117
	v_cvt_f32_i32_e32 v34, v34
	s_delay_alu instid0(VALU_DEP_3) | instskip(NEXT) | instid1(VALU_DEP_2)
	v_cvt_f32_i32_e32 v33, v33
	v_fma_f32 v34, v41, v34, v42
	s_waitcnt vmcnt(0)
	v_dot4_i32_iu8 v43, v43, v47, 0 neg_lo:[1,1,0]
	v_dot4_i32_iu8 v40, v40, v48, 0 neg_lo:[1,1,0]
	s_delay_alu instid0(VALU_DEP_2) | instskip(NEXT) | instid1(VALU_DEP_2)
	v_cvt_f32_i32_e32 v43, v43
	v_cvt_f32_i32_e32 v35, v40
	s_delay_alu instid0(VALU_DEP_2) | instskip(NEXT) | instid1(VALU_DEP_2)
	v_fma_f32 v39, v41, v43, v42
	v_fma_f32 v35, v41, v35, v42
	v_fmac_f32_e32 v42, v41, v33
	s_delay_alu instid0(VALU_DEP_3) | instskip(NEXT) | instid1(VALU_DEP_1)
	v_add_f32_e32 v32, v32, v39
	v_add_f32_e32 v32, v32, v35
	s_delay_alu instid0(VALU_DEP_1) | instskip(NEXT) | instid1(VALU_DEP_1)
	v_add_f32_e32 v32, v32, v34
	v_add_f32_e32 v32, v32, v42
	ds_bpermute_b32 v33, v50, v32
	s_waitcnt lgkmcnt(0)
	v_add_f32_e32 v32, v32, v33
                                        ; implicit-def: $vgpr33
	s_delay_alu instid0(VALU_DEP_1) | instskip(NEXT) | instid1(VALU_DEP_1)
	v_cmp_ngt_f32_e64 s9, 0x3f200000, |v32|
	s_and_saveexec_b32 s10, s9
	s_delay_alu instid0(SALU_CYCLE_1)
	s_xor_b32 s9, exec_lo, s10
	s_cbranch_execz .LBB31_29
; %bb.28:                               ;   in Loop: Header=BB31_21 Depth=1
	v_add_f32_e64 v33, |v32|, |v32|
	s_delay_alu instid0(VALU_DEP_1) | instskip(SKIP_1) | instid1(VALU_DEP_2)
	v_mul_f32_e32 v34, 0x3fb8aa3b, v33
	v_cmp_ngt_f32_e32 vcc_lo, 0xc2ce8ed0, v33
	v_rndne_f32_e32 v35, v34
	v_fma_f32 v39, 0x3fb8aa3b, v33, -v34
	s_delay_alu instid0(VALU_DEP_1) | instskip(SKIP_1) | instid1(VALU_DEP_2)
	v_dual_sub_f32 v34, v34, v35 :: v_dual_fmac_f32 v39, 0x32a5705f, v33
	v_cvt_i32_f32_e32 v35, v35
	v_add_f32_e32 v34, v34, v39
	s_delay_alu instid0(VALU_DEP_1) | instskip(SKIP_2) | instid1(VALU_DEP_1)
	v_exp_f32_e32 v34, v34
	s_waitcnt_depctr 0xfff
	v_ldexp_f32 v34, v34, v35
	v_cndmask_b32_e32 v34, 0, v34, vcc_lo
	v_cmp_nlt_f32_e32 vcc_lo, 0x42b17218, v33
	s_delay_alu instid0(VALU_DEP_2) | instskip(NEXT) | instid1(VALU_DEP_1)
	v_cndmask_b32_e32 v33, 0x7f800000, v34, vcc_lo
	v_add_f32_e32 v33, 1.0, v33
	s_delay_alu instid0(VALU_DEP_1)
	v_rcp_f32_e32 v33, v33
	s_waitcnt_depctr 0xfff
	v_fma_f32 v33, v33, -2.0, 1.0
.LBB31_29:                              ;   in Loop: Header=BB31_21 Depth=1
	s_and_not1_saveexec_b32 s9, s9
; %bb.30:                               ;   in Loop: Header=BB31_21 Depth=1
	v_mul_f32_e32 v33, v32, v32
	s_delay_alu instid0(VALU_DEP_1) | instskip(NEXT) | instid1(VALU_DEP_1)
	v_fmaak_f32 v34, s8, v33, 0x3ca908c9
	v_fmaak_f32 v34, v33, v34, 0xbd5c1c4e
	s_delay_alu instid0(VALU_DEP_1) | instskip(NEXT) | instid1(VALU_DEP_1)
	v_fmaak_f32 v34, v33, v34, 0x3e088382
	v_fmaak_f32 v34, v33, v34, 0xbeaaaa99
	s_delay_alu instid0(VALU_DEP_1) | instskip(NEXT) | instid1(VALU_DEP_1)
	v_mul_f32_e64 v34, |v32|, v34
	v_fma_f32 v33, v33, v34, |v32|
; %bb.31:                               ;   in Loop: Header=BB31_21 Depth=1
	s_or_b32 exec_lo, exec_lo, s9
	s_delay_alu instid0(VALU_DEP_1) | instskip(SKIP_1) | instid1(VALU_DEP_1)
	v_bfi_b32 v32, 0x7fffffff, v33, v32
	s_and_not1_b32 vcc_lo, exec_lo, s87
	v_mul_f32_e32 v39, s81, v32
	s_cbranch_vccnz .LBB31_33
; %bb.32:                               ;   in Loop: Header=BB31_21 Depth=1
	scratch_load_b32 v33, off, off offset:76 ; 4-byte Folded Reload
	v_add_co_u32 v32, vcc_lo, v129, s73
	v_mov_b32_e32 v50, v129
	s_waitcnt vmcnt(0)
	v_add_co_ci_u32_e32 v33, vcc_lo, s75, v33, vcc_lo
	global_load_u16 v32, v[32:33], off
	scratch_load_b32 v33, off, off offset:80 ; 4-byte Folded Reload
	s_waitcnt vmcnt(0)
	v_fma_mix_f32 v39, v33, v32, v39 op_sel_hi:[0,1,0]
	s_branch .LBB31_34
.LBB31_33:                              ;   in Loop: Header=BB31_21 Depth=1
	v_mov_b32_e32 v50, v129
.LBB31_34:                              ;   in Loop: Header=BB31_21 Depth=1
	scratch_load_b32 v32, off, off offset:32 ; 4-byte Folded Reload
	s_waitcnt vmcnt(0)
	v_add_co_u32 v34, vcc_lo, v32, s5
	scratch_load_b32 v32, off, off offset:36 ; 4-byte Folded Reload
	s_waitcnt vmcnt(0)
	v_add_co_ci_u32_e32 v35, vcc_lo, 0, v32, vcc_lo
	global_load_b32 v41, v[34:35], off
	s_clause 0x1
	scratch_load_b32 v32, off, off offset:16
	scratch_load_b32 v33, off, off offset:20
	s_waitcnt vmcnt(2)
	v_cvt_f32_f16_e64 v231, v41
	s_waitcnt vmcnt(1)
	v_add_co_u32 v32, vcc_lo, v32, s5
	s_waitcnt vmcnt(0)
	v_add_co_ci_u32_e32 v33, vcc_lo, 0, v33, vcc_lo
	s_clause 0x1
	global_load_b32 v40, v[32:33], off offset:4
	global_load_b32 v42, v[32:33], off offset:12
	;; [unrolled: 1-line block ×3, first 2 shown]
	s_clause 0x1
	global_load_b32 v44, v[32:33], off offset:24
	global_load_b32 v45, v[32:33], off offset:32
	s_clause 0x5
	global_load_b32 v46, v[34:35], off offset:40
	global_load_b32 v47, v[34:35], off offset:60
	;; [unrolled: 1-line block ×6, first 2 shown]
	v_lshrrev_b32_e32 v35, 16, v41
	s_clause 0x3
	global_load_b32 v41, v[32:33], off offset:44
	global_load_b32 v116, v[32:33], off offset:52
	;; [unrolled: 1-line block ×4, first 2 shown]
	scratch_load_b128 v[129:132], off, off offset:340 ; 16-byte Folded Reload
	v_cvt_f32_f16_e64 v235, v35
	s_waitcnt vmcnt(15)
	v_and_b32_e32 v234, 0xf0f0f0f, v40
	s_waitcnt vmcnt(14)
	v_lshrrev_b32_e32 v120, 4, v42
	v_lshrrev_b32_e32 v40, 4, v40
	v_and_b32_e32 v233, 0xf0f0f0f, v42
	s_waitcnt vmcnt(13)
	v_cvt_f32_f16_e64 v225, v43
	s_waitcnt vmcnt(10)
	v_cvt_f32_f16_e64 v219, v46
	v_and_b32_e32 v230, 0xf0f0f0f, v120
	scratch_load_b64 v[120:121], off, off offset:84 ; 8-byte Folded Reload
	v_and_b32_e32 v228, 0xf0f0f0f, v45
	v_and_b32_e32 v232, 0xf0f0f0f, v40
	s_waitcnt vmcnt(5)
	v_and_b32_e32 v221, 0xf0f0f0f, v41
	v_cvt_f32_f16_e64 v213, v47
	s_waitcnt vmcnt(2)
	v_and_b32_e32 v216, 0xf0f0f0f, v119
	v_cvt_f32_f16_e64 v207, v114
	s_waitcnt vmcnt(1)
	v_dual_mul_f32 v42, v130, v235 :: v_dual_and_b32 v215, 0xf0f0f0f, v117
	v_mul_f32_e32 v123, v129, v231
	v_and_b32_e32 v227, 0xf0f0f0f, v44
	s_waitcnt vmcnt(0)
	v_dot4_i32_iu8 v40, v233, v121, 0 neg_lo:[1,1,0]
	scratch_load_b64 v[121:122], off, off offset:92 ; 8-byte Folded Reload
	v_dot4_i32_iu8 v35, v234, v120, 0 neg_lo:[1,1,0]
	v_mul_f32_e32 v120, 0x3e000000, v42
	v_cvt_f32_i32_e32 v40, v40
	s_delay_alu instid0(VALU_DEP_3) | instskip(NEXT) | instid1(VALU_DEP_2)
	v_cvt_f32_i32_e32 v35, v35
	v_fma_f32 v126, v123, v40, v120
	v_lshrrev_b32_e32 v40, 4, v44
	s_delay_alu instid0(VALU_DEP_3) | instskip(SKIP_2) | instid1(VALU_DEP_4)
	v_fma_f32 v125, v123, v35, v120
	v_lshrrev_b32_e32 v35, 16, v43
	v_mul_f32_e32 v44, v131, v225
	v_and_b32_e32 v226, 0xf0f0f0f, v40
	s_delay_alu instid0(VALU_DEP_3) | instskip(SKIP_3) | instid1(VALU_DEP_2)
	v_cvt_f32_f16_e64 v229, v35
	s_waitcnt vmcnt(0)
	v_dot4_i32_iu8 v42, v232, v121, 0 neg_lo:[1,1,0]
	v_dot4_i32_iu8 v121, v230, v122, 0 neg_lo:[1,1,0]
	v_cvt_f32_i32_e32 v42, v42
	s_delay_alu instid0(VALU_DEP_2) | instskip(NEXT) | instid1(VALU_DEP_2)
	v_cvt_f32_i32_e32 v121, v121
	v_fma_f32 v130, v123, v42, v120
	v_lshrrev_b32_e32 v42, 4, v45
	s_delay_alu instid0(VALU_DEP_3) | instskip(NEXT) | instid1(VALU_DEP_2)
	v_fmac_f32_e32 v120, v123, v121
	v_and_b32_e32 v224, 0xf0f0f0f, v42
	scratch_load_b64 v[42:43], off, off offset:100 ; 8-byte Folded Reload
	s_waitcnt vmcnt(0)
	v_dot4_i32_iu8 v35, v227, v42, 0 neg_lo:[1,1,0]
	v_mul_f32_e32 v42, v132, v229
	v_dot4_i32_iu8 v40, v228, v43, 0 neg_lo:[1,1,0]
	s_delay_alu instid0(VALU_DEP_3) | instskip(NEXT) | instid1(VALU_DEP_3)
	v_cvt_f32_i32_e32 v35, v35
	v_mul_f32_e32 v121, 0x3e000000, v42
	scratch_load_b64 v[42:43], off, off offset:108 ; 8-byte Folded Reload
	v_cvt_f32_i32_e32 v40, v40
	v_fma_f32 v123, v44, v35, v121
	v_lshrrev_b32_e32 v35, 16, v46
	s_delay_alu instid0(VALU_DEP_3) | instskip(SKIP_2) | instid1(VALU_DEP_4)
	v_fma_f32 v131, v44, v40, v121
	v_lshrrev_b32_e32 v40, 4, v41
	v_lshrrev_b32_e32 v41, 4, v116
	v_cvt_f32_f16_e64 v223, v35
	s_delay_alu instid0(VALU_DEP_3) | instskip(NEXT) | instid1(VALU_DEP_3)
	v_and_b32_e32 v220, 0xf0f0f0f, v40
	v_and_b32_e32 v218, 0xf0f0f0f, v41
	scratch_load_b64 v[40:41], off, off offset:116 ; 8-byte Folded Reload
	s_waitcnt vmcnt(1)
	v_dot4_i32_iu8 v42, v226, v42, 0 neg_lo:[1,1,0]
	v_dot4_i32_iu8 v43, v224, v43, 0 neg_lo:[1,1,0]
	s_delay_alu instid0(VALU_DEP_2) | instskip(NEXT) | instid1(VALU_DEP_2)
	v_cvt_f32_i32_e32 v42, v42
	v_cvt_f32_i32_e32 v43, v43
	s_delay_alu instid0(VALU_DEP_2) | instskip(NEXT) | instid1(VALU_DEP_2)
	v_fma_f32 v132, v44, v42, v121
	v_fmac_f32_e32 v121, v44, v43
	scratch_load_b128 v[43:46], off, off offset:356 ; 16-byte Folded Reload
	v_and_b32_e32 v222, 0xf0f0f0f, v116
	s_waitcnt vmcnt(1)
	v_dot4_i32_iu8 v35, v221, v40, 0 neg_lo:[1,1,0]
	s_delay_alu instid0(VALU_DEP_2) | instskip(NEXT) | instid1(VALU_DEP_2)
	v_dot4_i32_iu8 v40, v222, v41, 0 neg_lo:[1,1,0]
	v_cvt_f32_i32_e32 v35, v35
	s_delay_alu instid0(VALU_DEP_2) | instskip(SKIP_3) | instid1(VALU_DEP_2)
	v_cvt_f32_i32_e32 v40, v40
	s_waitcnt vmcnt(0)
	v_mul_f32_e32 v41, v44, v223
	v_mul_f32_e32 v43, v43, v219
	;; [unrolled: 1-line block ×3, first 2 shown]
	scratch_load_b64 v[41:42], off, off offset:124 ; 8-byte Folded Reload
	v_fma_f32 v237, v43, v40, v133
	v_lshrrev_b32_e32 v40, 4, v117
	v_fma_f32 v236, v43, v35, v133
	v_lshrrev_b32_e32 v35, 16, v47
	v_cvt_f32_f16_e32 v47, v118
	s_delay_alu instid0(VALU_DEP_4) | instskip(NEXT) | instid1(VALU_DEP_3)
	v_and_b32_e32 v214, 0xf0f0f0f, v40
	v_cvt_f32_f16_e64 v217, v35
	s_waitcnt vmcnt(0)
	v_dot4_i32_iu8 v41, v220, v41, 0 neg_lo:[1,1,0]
	v_dot4_i32_iu8 v42, v218, v42, 0 neg_lo:[1,1,0]
	s_delay_alu instid0(VALU_DEP_2) | instskip(NEXT) | instid1(VALU_DEP_2)
	v_cvt_f32_i32_e32 v41, v41
	v_cvt_f32_i32_e32 v42, v42
	s_delay_alu instid0(VALU_DEP_2) | instskip(SKIP_1) | instid1(VALU_DEP_3)
	v_fma_f32 v238, v43, v41, v133
	v_lshrrev_b32_e32 v41, 4, v119
	v_fmac_f32_e32 v133, v43, v42
	v_mul_f32_e32 v43, v45, v213
	s_delay_alu instid0(VALU_DEP_3)
	v_and_b32_e32 v211, 0xf0f0f0f, v41
	scratch_load_b64 v[40:41], off, off offset:132 ; 8-byte Folded Reload
	s_waitcnt vmcnt(0)
	v_dot4_i32_iu8 v35, v215, v40, 0 neg_lo:[1,1,0]
	v_dot4_i32_iu8 v40, v216, v41, 0 neg_lo:[1,1,0]
	v_mul_f32_e32 v41, v46, v217
	s_delay_alu instid0(VALU_DEP_3) | instskip(NEXT) | instid1(VALU_DEP_3)
	v_cvt_f32_i32_e32 v35, v35
	v_cvt_f32_i32_e32 v40, v40
	s_delay_alu instid0(VALU_DEP_3)
	v_mul_f32_e32 v119, 0x3e000000, v41
	scratch_load_b64 v[41:42], off, off offset:140 ; 8-byte Folded Reload
	v_fma_f32 v239, v43, v35, v119
	v_fma_f32 v240, v43, v40, v119
	s_waitcnt vmcnt(0)
	v_dot4_i32_iu8 v41, v214, v41, 0 neg_lo:[1,1,0]
	v_dot4_i32_iu8 v42, v211, v42, 0 neg_lo:[1,1,0]
	s_delay_alu instid0(VALU_DEP_2) | instskip(NEXT) | instid1(VALU_DEP_2)
	v_cvt_f32_i32_e32 v41, v41
	v_cvt_f32_i32_e32 v42, v42
	s_delay_alu instid0(VALU_DEP_2) | instskip(NEXT) | instid1(VALU_DEP_2)
	v_fma_f32 v241, v43, v41, v119
	v_fmac_f32_e32 v119, v43, v42
	s_clause 0x7
	global_load_b32 v35, v[32:33], off offset:84
	global_load_b32 v40, v[32:33], off offset:92
	;; [unrolled: 1-line block ×8, first 2 shown]
	v_lshrrev_b32_e32 v32, 16, v114
	s_clause 0x3
	scratch_load_b128 v[245:248], off, off offset:372
	scratch_load_b64 v[254:255], off, off offset:196
	scratch_load_b64 v[48:49], off, off offset:204
	scratch_load_b128 v[76:79], off, off offset:388
	v_cvt_f32_f16_e64 v212, v32
	s_waitcnt vmcnt(11)
	v_and_b32_e32 v209, 0xf0f0f0f, v35
	s_waitcnt vmcnt(10)
	v_lshrrev_b32_e32 v45, 4, v40
	v_lshrrev_b32_e32 v35, 4, v35
	v_and_b32_e32 v210, 0xf0f0f0f, v40
	s_waitcnt vmcnt(9)
	v_and_b32_e32 v116, 0xf0f0f0f, v41
	s_waitcnt vmcnt(8)
	v_and_b32_e32 v117, 0xf0f0f0f, v42
	v_and_b32_e32 v206, 0xf0f0f0f, v45
	scratch_load_b64 v[45:46], off, off offset:148 ; 8-byte Folded Reload
	v_and_b32_e32 v208, 0xf0f0f0f, v35
	s_waitcnt vmcnt(4)
	v_mul_f32_e32 v40, v246, v212
	v_and_b32_e32 v204, 0xf0f0f0f, v43
	s_waitcnt vmcnt(1)
	v_mul_f32_e32 v250, v76, v47
	s_delay_alu instid0(VALU_DEP_3)
	v_mul_f32_e32 v114, 0x3e000000, v40
	s_waitcnt vmcnt(0)
	v_dot4_i32_iu8 v32, v209, v45, 0 neg_lo:[1,1,0]
	v_dot4_i32_iu8 v35, v210, v46, 0 neg_lo:[1,1,0]
	scratch_load_b64 v[45:46], off, off offset:156 ; 8-byte Folded Reload
	v_cvt_f32_i32_e32 v32, v32
	v_cvt_f32_i32_e32 v35, v35
	s_waitcnt vmcnt(0)
	v_dot4_i32_iu8 v40, v208, v45, 0 neg_lo:[1,1,0]
	v_dot4_i32_iu8 v45, v206, v46, 0 neg_lo:[1,1,0]
	v_mul_f32_e32 v46, v245, v207
	s_delay_alu instid0(VALU_DEP_3) | instskip(NEXT) | instid1(VALU_DEP_3)
	v_cvt_f32_i32_e32 v40, v40
	v_cvt_f32_i32_e32 v45, v45
	s_delay_alu instid0(VALU_DEP_3)
	v_fma_f32 v243, v46, v32, v114
	v_fma_f32 v244, v46, v35, v114
	v_lshrrev_b32_e32 v35, 4, v41
	v_fma_f32 v245, v46, v40, v114
	v_lshrrev_b32_e32 v40, 4, v42
	v_fmac_f32_e32 v114, v46, v45
	v_lshrrev_b32_e32 v32, 16, v115
	v_cvt_f32_f16_e32 v45, v115
	v_and_b32_e32 v115, 0xf0f0f0f, v35
	v_and_b32_e32 v46, 0xf0f0f0f, v40
	scratch_load_b64 v[40:41], off, off offset:164 ; 8-byte Folded Reload
	v_cvt_f32_f16_e64 v203, v32
	v_mul_f32_e32 v42, v247, v45
	s_waitcnt vmcnt(0)
	v_dot4_i32_iu8 v32, v116, v40, 0 neg_lo:[1,1,0]
	s_delay_alu instid0(VALU_DEP_3) | instskip(SKIP_1) | instid1(VALU_DEP_3)
	v_mul_f32_e32 v40, v248, v203
	v_dot4_i32_iu8 v35, v117, v41, 0 neg_lo:[1,1,0]
	v_cvt_f32_i32_e32 v32, v32
	s_delay_alu instid0(VALU_DEP_3) | instskip(SKIP_4) | instid1(VALU_DEP_3)
	v_mul_f32_e32 v246, 0x3e000000, v40
	scratch_load_b64 v[40:41], off, off offset:172 ; 8-byte Folded Reload
	v_cvt_f32_i32_e32 v35, v35
	v_fma_f32 v247, v42, v32, v246
	v_lshrrev_b32_e32 v32, 16, v118
	v_fma_f32 v248, v42, v35, v246
	v_lshrrev_b32_e32 v35, 4, v43
	s_delay_alu instid0(VALU_DEP_3) | instskip(NEXT) | instid1(VALU_DEP_2)
	v_cvt_f32_f16_e64 v205, v32
	v_and_b32_e32 v35, 0xf0f0f0f, v35
	s_delay_alu instid0(VALU_DEP_2) | instskip(NEXT) | instid1(VALU_DEP_1)
	v_mul_f32_e32 v43, v77, v205
	v_mul_f32_e32 v118, 0x3e000000, v43
	s_waitcnt vmcnt(0)
	v_dot4_i32_iu8 v40, v115, v40, 0 neg_lo:[1,1,0]
	v_dot4_i32_iu8 v41, v46, v41, 0 neg_lo:[1,1,0]
	s_delay_alu instid0(VALU_DEP_2) | instskip(NEXT) | instid1(VALU_DEP_2)
	v_cvt_f32_i32_e32 v40, v40
	v_cvt_f32_i32_e32 v41, v41
	s_delay_alu instid0(VALU_DEP_2) | instskip(NEXT) | instid1(VALU_DEP_2)
	v_fma_f32 v249, v42, v40, v246
	v_fmac_f32_e32 v246, v42, v41
	v_lshrrev_b32_e32 v41, 4, v44
	v_and_b32_e32 v40, 0xf0f0f0f, v44
	scratch_load_b64 v[43:44], off, off offset:188 ; 8-byte Folded Reload
	v_and_b32_e32 v32, 0xf0f0f0f, v41
	scratch_load_b64 v[41:42], off, off offset:180 ; 8-byte Folded Reload
	s_waitcnt vmcnt(1)
	v_dot4_i32_iu8 v43, v35, v43, 0 neg_lo:[1,1,0]
	v_dot4_i32_iu8 v44, v32, v44, 0 neg_lo:[1,1,0]
	s_waitcnt vmcnt(0)
	v_dot4_i32_iu8 v41, v204, v41, 0 neg_lo:[1,1,0]
	v_dot4_i32_iu8 v42, v40, v42, 0 neg_lo:[1,1,0]
	v_cvt_f32_i32_e32 v43, v43
	v_cvt_f32_i32_e32 v44, v44
	s_delay_alu instid0(VALU_DEP_4) | instskip(NEXT) | instid1(VALU_DEP_4)
	v_cvt_f32_i32_e32 v41, v41
	v_cvt_f32_i32_e32 v42, v42
	s_delay_alu instid0(VALU_DEP_2) | instskip(SKIP_1) | instid1(VALU_DEP_3)
	v_fma_f32 v251, v250, v41, v118
	v_and_b32_e32 v41, 0xf0f0f0f, v33
	v_fma_f32 v252, v250, v42, v118
	v_fma_f32 v253, v250, v43, v118
	v_fmac_f32_e32 v118, v250, v44
	v_cvt_f32_f16_e32 v42, v34
	v_lshrrev_b32_e32 v34, 16, v34
	v_and_b32_e32 v44, 0xf0f0f0f, v242
	v_lshrrev_b32_e32 v242, 4, v242
	v_lshrrev_b32_e32 v250, 4, v33
	v_mul_f32_e32 v129, v78, v42
	v_cvt_f32_f16_e32 v43, v34
	s_delay_alu instid0(VALU_DEP_4) | instskip(NEXT) | instid1(VALU_DEP_4)
	v_and_b32_e32 v34, 0xf0f0f0f, v242
	v_and_b32_e32 v33, 0xf0f0f0f, v250
	v_dot4_i32_iu8 v242, v44, v254, 0 neg_lo:[1,1,0]
	v_dot4_i32_iu8 v250, v41, v255, 0 neg_lo:[1,1,0]
	v_mul_f32_e32 v254, v79, v43
	v_dot4_i32_iu8 v255, v34, v48, 0 neg_lo:[1,1,0]
	v_dot4_i32_iu8 v122, v33, v49, 0 neg_lo:[1,1,0]
	v_cvt_f32_i32_e32 v242, v242
	v_cvt_f32_i32_e32 v250, v250
	v_mul_f32_e32 v254, 0x3e000000, v254
	v_cvt_f32_i32_e32 v255, v255
	v_cvt_f32_i32_e32 v122, v122
	s_delay_alu instid0(VALU_DEP_3) | instskip(SKIP_1) | instid1(VALU_DEP_4)
	v_fma_f32 v242, v129, v242, v254
	v_fma_f32 v250, v129, v250, v254
	;; [unrolled: 1-line block ×3, first 2 shown]
	s_delay_alu instid0(VALU_DEP_4) | instskip(SKIP_1) | instid1(VALU_DEP_1)
	v_fmac_f32_e32 v254, v129, v122
	v_add_f32_e32 v122, 0, v125
	v_add_f32_e32 v122, v122, v126
	s_delay_alu instid0(VALU_DEP_1) | instskip(NEXT) | instid1(VALU_DEP_1)
	v_add_f32_e32 v122, v122, v130
	v_add_f32_e32 v120, v122, v120
	s_delay_alu instid0(VALU_DEP_1) | instskip(NEXT) | instid1(VALU_DEP_1)
	;; [unrolled: 3-line block ×4, first 2 shown]
	v_add_f32_e32 v120, v120, v236
                                        ; implicit-def: $vgpr236
	v_add_f32_e32 v120, v120, v237
	s_delay_alu instid0(VALU_DEP_1) | instskip(SKIP_2) | instid1(VALU_DEP_1)
	v_add_f32_e32 v120, v120, v238
	scratch_load_b32 v238, off, off offset:468 ; 4-byte Folded Reload
	v_add_f32_e32 v120, v120, v133
	v_add_f32_e32 v120, v120, v239
	s_delay_alu instid0(VALU_DEP_1) | instskip(NEXT) | instid1(VALU_DEP_1)
	v_add_f32_e32 v120, v120, v240
	v_add_f32_e32 v120, v120, v241
	s_delay_alu instid0(VALU_DEP_1) | instskip(NEXT) | instid1(VALU_DEP_1)
	;; [unrolled: 3-line block ×9, first 2 shown]
	v_add_f32_e32 v114, v114, v250
	v_add_f32_e32 v114, v114, v255
	s_delay_alu instid0(VALU_DEP_1) | instskip(SKIP_4) | instid1(VALU_DEP_1)
	v_add_f32_e32 v114, v114, v254
	s_waitcnt vmcnt(0)
	ds_bpermute_b32 v118, v238, v114
	s_waitcnt lgkmcnt(0)
	v_add_f32_e32 v114, v114, v118
	v_cmp_ngt_f32_e64 s9, 0x3f200000, |v114|
	s_delay_alu instid0(VALU_DEP_1) | instskip(NEXT) | instid1(SALU_CYCLE_1)
	s_and_saveexec_b32 s10, s9
	s_xor_b32 s9, exec_lo, s10
	s_cbranch_execz .LBB31_36
; %bb.35:                               ;   in Loop: Header=BB31_21 Depth=1
	v_add_f32_e64 v118, |v114|, |v114|
	s_delay_alu instid0(VALU_DEP_1) | instskip(SKIP_1) | instid1(VALU_DEP_2)
	v_mul_f32_e32 v119, 0x3fb8aa3b, v118
	v_cmp_ngt_f32_e32 vcc_lo, 0xc2ce8ed0, v118
	v_rndne_f32_e32 v120, v119
	v_fma_f32 v121, 0x3fb8aa3b, v118, -v119
	s_delay_alu instid0(VALU_DEP_2) | instskip(NEXT) | instid1(VALU_DEP_2)
	v_sub_f32_e32 v119, v119, v120
	v_fmac_f32_e32 v121, 0x32a5705f, v118
	v_cvt_i32_f32_e32 v120, v120
	s_delay_alu instid0(VALU_DEP_2) | instskip(NEXT) | instid1(VALU_DEP_1)
	v_add_f32_e32 v119, v119, v121
	v_exp_f32_e32 v119, v119
	s_waitcnt_depctr 0xfff
	v_ldexp_f32 v119, v119, v120
	s_delay_alu instid0(VALU_DEP_1) | instskip(SKIP_1) | instid1(VALU_DEP_2)
	v_cndmask_b32_e32 v119, 0, v119, vcc_lo
	v_cmp_nlt_f32_e32 vcc_lo, 0x42b17218, v118
	v_cndmask_b32_e32 v118, 0x7f800000, v119, vcc_lo
	s_delay_alu instid0(VALU_DEP_1) | instskip(NEXT) | instid1(VALU_DEP_1)
	v_add_f32_e32 v118, 1.0, v118
	v_rcp_f32_e32 v118, v118
	s_waitcnt_depctr 0xfff
	v_fma_f32 v236, v118, -2.0, 1.0
.LBB31_36:                              ;   in Loop: Header=BB31_21 Depth=1
	s_or_saveexec_b32 s9, s9
	s_clause 0x7
	scratch_store_b32 off, v51, off offset:896
	scratch_store_b32 off, v52, off offset:912
	;; [unrolled: 1-line block ×8, first 2 shown]
	s_clause 0xf
	scratch_load_b32 v138, off, off offset:712
	scratch_load_b32 v69, off, off offset:720
	;; [unrolled: 1-line block ×16, first 2 shown]
	s_xor_b32 exec_lo, exec_lo, s9
; %bb.37:                               ;   in Loop: Header=BB31_21 Depth=1
	v_mul_f32_e32 v118, v114, v114
	s_delay_alu instid0(VALU_DEP_1) | instskip(NEXT) | instid1(VALU_DEP_1)
	v_fmaak_f32 v119, s8, v118, 0x3ca908c9
	v_fmaak_f32 v119, v118, v119, 0xbd5c1c4e
	s_delay_alu instid0(VALU_DEP_1) | instskip(NEXT) | instid1(VALU_DEP_1)
	v_fmaak_f32 v119, v118, v119, 0x3e088382
	v_fmaak_f32 v119, v118, v119, 0xbeaaaa99
	s_delay_alu instid0(VALU_DEP_1) | instskip(NEXT) | instid1(VALU_DEP_1)
	v_mul_f32_e64 v119, |v114|, v119
	v_fma_f32 v236, v118, v119, |v114|
; %bb.38:                               ;   in Loop: Header=BB31_21 Depth=1
	s_or_b32 exec_lo, exec_lo, s9
	s_delay_alu instid0(VALU_DEP_1) | instskip(SKIP_1) | instid1(VALU_DEP_1)
	v_bfi_b32 v114, 0x7fffffff, v236, v114
	s_and_not1_b32 vcc_lo, exec_lo, s85
	v_mul_f32_e32 v114, s81, v114
	s_cbranch_vccnz .LBB31_40
; %bb.39:                               ;   in Loop: Header=BB31_21 Depth=1
	scratch_load_b32 v48, off, off offset:24 ; 4-byte Folded Reload
	s_waitcnt vmcnt(0)
	v_add_co_u32 v236, vcc_lo, v48, s73
	scratch_load_b32 v48, off, off offset:28 ; 4-byte Folded Reload
	s_waitcnt vmcnt(0)
	v_add_co_ci_u32_e32 v237, vcc_lo, s75, v48, vcc_lo
	global_load_u16 v118, v[236:237], off
	scratch_load_b32 v119, off, off offset:80 ; 4-byte Folded Reload
	s_waitcnt vmcnt(0)
	v_fma_mix_f32 v114, v119, v118, v114 op_sel_hi:[0,1,0]
.LBB31_40:                              ;   in Loop: Header=BB31_21 Depth=1
	s_clause 0x1
	scratch_load_b64 v[48:49], off, off offset:212
	scratch_load_b128 v[80:83], off, off offset:404
	s_waitcnt vmcnt(1)
	v_dot4_i32_iu8 v118, v234, v48, 0 neg_lo:[1,1,0]
	v_dot4_i32_iu8 v121, v233, v49, 0 neg_lo:[1,1,0]
	scratch_load_b64 v[48:49], off, off offset:220 ; 8-byte Folded Reload
	s_waitcnt vmcnt(1)
	v_mul_f32_e32 v119, v81, v235
	v_mul_f32_e32 v120, v80, v231
	v_cvt_f32_i32_e32 v118, v118
	v_cvt_f32_i32_e32 v121, v121
	v_mul_f32_e32 v125, v83, v229
	v_mul_f32_e32 v119, 0x3e000000, v119
	s_delay_alu instid0(VALU_DEP_1) | instskip(NEXT) | instid1(VALU_DEP_4)
	v_fma_f32 v118, v120, v118, v119
	v_fma_f32 v121, v120, v121, v119
	s_delay_alu instid0(VALU_DEP_2) | instskip(NEXT) | instid1(VALU_DEP_1)
	v_add_f32_e32 v118, 0, v118
	v_add_f32_e32 v118, v118, v121
	s_waitcnt vmcnt(0)
	v_dot4_i32_iu8 v122, v232, v48, 0 neg_lo:[1,1,0]
	v_dot4_i32_iu8 v123, v230, v49, 0 neg_lo:[1,1,0]
	scratch_load_b64 v[48:49], off, off offset:228 ; 8-byte Folded Reload
	v_cvt_f32_i32_e32 v122, v122
	v_cvt_f32_i32_e32 v123, v123
	s_delay_alu instid0(VALU_DEP_2) | instskip(NEXT) | instid1(VALU_DEP_2)
	v_fma_f32 v122, v120, v122, v119
	v_fmac_f32_e32 v119, v120, v123
	v_mul_f32_e32 v123, v82, v225
	scratch_load_b128 v[80:83], off, off offset:420 ; 16-byte Folded Reload
	v_dual_add_f32 v118, v118, v122 :: v_dual_mul_f32 v125, 0x3e000000, v125
	s_delay_alu instid0(VALU_DEP_1)
	v_add_f32_e32 v118, v118, v119
	s_waitcnt vmcnt(1)
	v_dot4_i32_iu8 v120, v227, v48, 0 neg_lo:[1,1,0]
	v_dot4_i32_iu8 v126, v228, v49, 0 neg_lo:[1,1,0]
	scratch_load_b64 v[48:49], off, off offset:236 ; 8-byte Folded Reload
	v_cvt_f32_i32_e32 v120, v120
	v_cvt_f32_i32_e32 v126, v126
	s_delay_alu instid0(VALU_DEP_2) | instskip(NEXT) | instid1(VALU_DEP_2)
	v_fma_f32 v120, v123, v120, v125
	v_fma_f32 v126, v123, v126, v125
	s_waitcnt vmcnt(1)
	v_mul_f32_e32 v213, v82, v213
	s_delay_alu instid0(VALU_DEP_3) | instskip(NEXT) | instid1(VALU_DEP_1)
	v_dual_add_f32 v118, v118, v120 :: v_dual_mul_f32 v131, v81, v223
	v_add_f32_e32 v118, v118, v126
	s_waitcnt vmcnt(0)
	v_dot4_i32_iu8 v129, v226, v48, 0 neg_lo:[1,1,0]
	v_dot4_i32_iu8 v130, v224, v49, 0 neg_lo:[1,1,0]
	scratch_load_b64 v[48:49], off, off offset:244 ; 8-byte Folded Reload
	v_cvt_f32_i32_e32 v129, v129
	v_cvt_f32_i32_e32 v130, v130
	s_delay_alu instid0(VALU_DEP_2) | instskip(NEXT) | instid1(VALU_DEP_2)
	v_fma_f32 v129, v123, v129, v125
	v_dual_fmac_f32 v125, v123, v130 :: v_dual_mul_f32 v130, v80, v219
	s_delay_alu instid0(VALU_DEP_2) | instskip(NEXT) | instid1(VALU_DEP_1)
	v_dual_mul_f32 v131, 0x3e000000, v131 :: v_dual_add_f32 v118, v118, v129
	v_add_f32_e32 v118, v118, v125
	s_waitcnt vmcnt(0)
	v_dot4_i32_iu8 v123, v221, v48, 0 neg_lo:[1,1,0]
	v_dot4_i32_iu8 v132, v222, v49, 0 neg_lo:[1,1,0]
	scratch_load_b64 v[48:49], off, off offset:252 ; 8-byte Folded Reload
	v_cvt_f32_i32_e32 v123, v123
	v_cvt_f32_i32_e32 v132, v132
	s_delay_alu instid0(VALU_DEP_2) | instskip(NEXT) | instid1(VALU_DEP_2)
	v_fma_f32 v123, v130, v123, v131
	v_fma_f32 v132, v130, v132, v131
	s_waitcnt vmcnt(0)
	v_dot4_i32_iu8 v133, v220, v48, 0 neg_lo:[1,1,0]
	v_dot4_i32_iu8 v218, v218, v49, 0 neg_lo:[1,1,0]
	scratch_load_b64 v[48:49], off, off offset:260 ; 8-byte Folded Reload
	v_cvt_f32_i32_e32 v133, v133
	v_cvt_f32_i32_e32 v218, v218
	s_delay_alu instid0(VALU_DEP_2) | instskip(NEXT) | instid1(VALU_DEP_2)
	v_fma_f32 v133, v130, v133, v131
	v_fmac_f32_e32 v131, v130, v218
	s_waitcnt vmcnt(0)
	v_dot4_i32_iu8 v130, v215, v48, 0 neg_lo:[1,1,0]
	v_dot4_i32_iu8 v216, v216, v49, 0 neg_lo:[1,1,0]
	scratch_load_b64 v[48:49], off, off offset:268 ; 8-byte Folded Reload
	v_mul_f32_e32 v215, v83, v217
	scratch_load_b128 v[80:83], off, off offset:436 ; 16-byte Folded Reload
	v_cvt_f32_i32_e32 v130, v130
	v_cvt_f32_i32_e32 v216, v216
	s_waitcnt vmcnt(1)
	v_dot4_i32_iu8 v214, v214, v48, 0 neg_lo:[1,1,0]
	v_dot4_i32_iu8 v211, v211, v49, 0 neg_lo:[1,1,0]
	scratch_load_b64 v[48:49], off, off offset:276 ; 8-byte Folded Reload
	s_waitcnt vmcnt(1)
	v_mul_f32_e32 v119, v83, v203
	v_add_f32_e32 v118, v118, v123
	v_mul_f32_e32 v215, 0x3e000000, v215
	v_cvt_f32_i32_e32 v214, v214
	v_cvt_f32_i32_e32 v211, v211
	v_mul_f32_e32 v45, v82, v45
	v_add_f32_e32 v118, v118, v132
	v_fma_f32 v130, v213, v130, v215
	v_fma_f32 v216, v213, v216, v215
	;; [unrolled: 1-line block ×3, first 2 shown]
	s_delay_alu instid0(VALU_DEP_4) | instskip(SKIP_2) | instid1(VALU_DEP_3)
	v_dual_fmac_f32 v215, v213, v211 :: v_dual_add_f32 v118, v118, v133
	v_mul_f32_e32 v211, v81, v212
	v_mul_f32_e32 v119, 0x3e000000, v119
	v_add_f32_e32 v118, v118, v131
	v_mul_f32_e32 v207, v80, v207
	scratch_load_b128 v[80:83], off, off offset:452 ; 16-byte Folded Reload
	v_dual_add_f32 v118, v118, v130 :: v_dual_mul_f32 v211, 0x3e000000, v211
	s_delay_alu instid0(VALU_DEP_1) | instskip(NEXT) | instid1(VALU_DEP_1)
	v_add_f32_e32 v118, v118, v216
	v_add_f32_e32 v118, v118, v214
	s_delay_alu instid0(VALU_DEP_1)
	v_add_f32_e32 v118, v118, v215
	s_waitcnt vmcnt(1)
	v_dot4_i32_iu8 v209, v209, v48, 0 neg_lo:[1,1,0]
	v_dot4_i32_iu8 v210, v210, v49, 0 neg_lo:[1,1,0]
	scratch_load_b64 v[48:49], off, off offset:284 ; 8-byte Folded Reload
	v_cvt_f32_i32_e32 v209, v209
	v_cvt_f32_i32_e32 v210, v210
	s_delay_alu instid0(VALU_DEP_2) | instskip(NEXT) | instid1(VALU_DEP_2)
	v_fma_f32 v209, v207, v209, v211
	v_fma_f32 v210, v207, v210, v211
	s_waitcnt vmcnt(1)
	s_delay_alu instid0(VALU_DEP_2) | instskip(SKIP_1) | instid1(VALU_DEP_1)
	v_dual_add_f32 v118, v118, v209 :: v_dual_mul_f32 v47, v80, v47
	v_dual_mul_f32 v43, v83, v43 :: v_dual_mul_f32 v42, v82, v42
	v_mul_f32_e32 v43, 0x3e000000, v43
	s_waitcnt vmcnt(0)
	v_dot4_i32_iu8 v208, v208, v48, 0 neg_lo:[1,1,0]
	v_dot4_i32_iu8 v206, v206, v49, 0 neg_lo:[1,1,0]
	scratch_load_b64 v[48:49], off, off offset:292 ; 8-byte Folded Reload
	v_cvt_f32_i32_e32 v208, v208
	v_cvt_f32_i32_e32 v206, v206
	s_delay_alu instid0(VALU_DEP_2) | instskip(NEXT) | instid1(VALU_DEP_2)
	v_fma_f32 v208, v207, v208, v211
	v_fmac_f32_e32 v211, v207, v206
	s_waitcnt vmcnt(0)
	v_dot4_i32_iu8 v116, v116, v48, 0 neg_lo:[1,1,0]
	v_dot4_i32_iu8 v117, v117, v49, 0 neg_lo:[1,1,0]
	scratch_load_b64 v[48:49], off, off offset:300 ; 8-byte Folded Reload
	v_cvt_f32_i32_e32 v116, v116
	v_cvt_f32_i32_e32 v117, v117
	s_delay_alu instid0(VALU_DEP_2) | instskip(NEXT) | instid1(VALU_DEP_2)
	v_fma_f32 v116, v45, v116, v119
	v_fma_f32 v117, v45, v117, v119
	s_waitcnt vmcnt(0)
	v_dot4_i32_iu8 v115, v115, v48, 0 neg_lo:[1,1,0]
	v_dot4_i32_iu8 v46, v46, v49, 0 neg_lo:[1,1,0]
	scratch_load_b64 v[48:49], off, off offset:308 ; 8-byte Folded Reload
	v_cvt_f32_i32_e32 v115, v115
	v_cvt_f32_i32_e32 v46, v46
	s_delay_alu instid0(VALU_DEP_2) | instskip(SKIP_1) | instid1(VALU_DEP_1)
	v_fma_f32 v115, v45, v115, v119
	v_add_f32_e32 v118, v118, v210
	v_dual_fmac_f32 v119, v45, v46 :: v_dual_add_f32 v118, v118, v208
	s_delay_alu instid0(VALU_DEP_1) | instskip(NEXT) | instid1(VALU_DEP_1)
	v_add_f32_e32 v118, v118, v211
	v_add_f32_e32 v116, v118, v116
	v_mul_f32_e32 v118, v81, v205
	s_delay_alu instid0(VALU_DEP_2) | instskip(NEXT) | instid1(VALU_DEP_1)
	v_add_f32_e32 v116, v116, v117
	v_dual_mul_f32 v118, 0x3e000000, v118 :: v_dual_add_f32 v45, v116, v115
	s_delay_alu instid0(VALU_DEP_1)
	v_add_f32_e32 v45, v45, v119
	s_waitcnt vmcnt(0)
	v_dot4_i32_iu8 v120, v204, v48, 0 neg_lo:[1,1,0]
	v_dot4_i32_iu8 v40, v40, v49, 0 neg_lo:[1,1,0]
	scratch_load_b64 v[48:49], off, off offset:316 ; 8-byte Folded Reload
	v_cvt_f32_i32_e32 v117, v120
	v_cvt_f32_i32_e32 v40, v40
	s_delay_alu instid0(VALU_DEP_2) | instskip(NEXT) | instid1(VALU_DEP_2)
	v_fma_f32 v46, v47, v117, v118
	v_fma_f32 v40, v47, v40, v118
	s_delay_alu instid0(VALU_DEP_2) | instskip(NEXT) | instid1(VALU_DEP_1)
	v_add_f32_e32 v45, v45, v46
	v_add_f32_e32 v40, v45, v40
	scratch_load_b64 v[45:46], off, off offset:332 ; 8-byte Folded Reload
	s_waitcnt vmcnt(1)
	v_dot4_i32_iu8 v35, v35, v48, 0 neg_lo:[1,1,0]
	v_dot4_i32_iu8 v32, v32, v49, 0 neg_lo:[1,1,0]
	scratch_load_b64 v[48:49], off, off offset:324 ; 8-byte Folded Reload
	v_cvt_f32_i32_e32 v35, v35
	v_cvt_f32_i32_e32 v32, v32
	s_delay_alu instid0(VALU_DEP_2) | instskip(NEXT) | instid1(VALU_DEP_2)
	v_fma_f32 v35, v47, v35, v118
	v_fmac_f32_e32 v118, v47, v32
	s_delay_alu instid0(VALU_DEP_2) | instskip(SKIP_2) | instid1(VALU_DEP_2)
	v_add_f32_e32 v32, v40, v35
	s_waitcnt vmcnt(1)
	v_dot4_i32_iu8 v34, v34, v45, 0 neg_lo:[1,1,0]
	v_add_f32_e32 v32, v32, v118
	v_dot4_i32_iu8 v33, v33, v46, 0 neg_lo:[1,1,0]
	s_delay_alu instid0(VALU_DEP_3) | instskip(NEXT) | instid1(VALU_DEP_2)
	v_cvt_f32_i32_e32 v34, v34
	v_cvt_f32_i32_e32 v33, v33
	s_delay_alu instid0(VALU_DEP_2) | instskip(SKIP_3) | instid1(VALU_DEP_2)
	v_fma_f32 v34, v42, v34, v43
	s_waitcnt vmcnt(0)
	v_dot4_i32_iu8 v44, v44, v48, 0 neg_lo:[1,1,0]
	v_dot4_i32_iu8 v41, v41, v49, 0 neg_lo:[1,1,0]
	v_cvt_f32_i32_e32 v44, v44
	s_delay_alu instid0(VALU_DEP_2) | instskip(NEXT) | instid1(VALU_DEP_2)
	v_cvt_f32_i32_e32 v35, v41
	v_fma_f32 v40, v42, v44, v43
	s_delay_alu instid0(VALU_DEP_2) | instskip(NEXT) | instid1(VALU_DEP_2)
	v_fma_f32 v35, v42, v35, v43
	v_dual_fmac_f32 v43, v42, v33 :: v_dual_add_f32 v32, v32, v40
	s_delay_alu instid0(VALU_DEP_1) | instskip(NEXT) | instid1(VALU_DEP_1)
	v_add_f32_e32 v32, v32, v35
	v_add_f32_e32 v32, v32, v34
	s_delay_alu instid0(VALU_DEP_1) | instskip(SKIP_3) | instid1(VALU_DEP_1)
	v_add_f32_e32 v32, v32, v43
	ds_bpermute_b32 v33, v238, v32
	s_waitcnt lgkmcnt(0)
	v_add_f32_e32 v32, v32, v33
                                        ; implicit-def: $vgpr33
	v_cmp_ngt_f32_e64 s9, 0x3f200000, |v32|
	s_mov_b32 s10, exec_lo
	scratch_load_b32 v9, off, off offset:696 ; 4-byte Folded Reload
	s_and_b32 s11, s10, s9
	s_delay_alu instid0(SALU_CYCLE_1)
	s_xor_b32 s9, s11, s10
	s_mov_b32 exec_lo, s11
	s_cbranch_execz .LBB31_42
; %bb.41:                               ;   in Loop: Header=BB31_21 Depth=1
	v_add_f32_e64 v33, |v32|, |v32|
	s_delay_alu instid0(VALU_DEP_1) | instskip(SKIP_1) | instid1(VALU_DEP_2)
	v_mul_f32_e32 v34, 0x3fb8aa3b, v33
	v_cmp_ngt_f32_e32 vcc_lo, 0xc2ce8ed0, v33
	v_rndne_f32_e32 v35, v34
	v_fma_f32 v40, 0x3fb8aa3b, v33, -v34
	s_delay_alu instid0(VALU_DEP_2) | instskip(NEXT) | instid1(VALU_DEP_2)
	v_sub_f32_e32 v34, v34, v35
	v_fmac_f32_e32 v40, 0x32a5705f, v33
	v_cvt_i32_f32_e32 v35, v35
	s_delay_alu instid0(VALU_DEP_2) | instskip(NEXT) | instid1(VALU_DEP_1)
	v_add_f32_e32 v34, v34, v40
	v_exp_f32_e32 v34, v34
	s_waitcnt_depctr 0xfff
	v_ldexp_f32 v34, v34, v35
	s_delay_alu instid0(VALU_DEP_1) | instskip(SKIP_1) | instid1(VALU_DEP_2)
	v_cndmask_b32_e32 v34, 0, v34, vcc_lo
	v_cmp_nlt_f32_e32 vcc_lo, 0x42b17218, v33
	v_cndmask_b32_e32 v33, 0x7f800000, v34, vcc_lo
	s_delay_alu instid0(VALU_DEP_1) | instskip(NEXT) | instid1(VALU_DEP_1)
	v_add_f32_e32 v33, 1.0, v33
	v_rcp_f32_e32 v33, v33
	s_waitcnt_depctr 0xfff
	v_fma_f32 v33, v33, -2.0, 1.0
.LBB31_42:                              ;   in Loop: Header=BB31_21 Depth=1
	s_or_saveexec_b32 s9, s9
	s_clause 0x2
	scratch_store_b32 off, v50, off offset:12
	scratch_store_b32 off, v59, off offset:900
	;; [unrolled: 1-line block ×3, first 2 shown]
	s_clause 0x1f
	scratch_load_b32 v10, off, off offset:8
	scratch_load_b32 v11, off, off
	scratch_load_b32 v35, off, off offset:4
	scratch_load_b32 v80, off, off offset:952
	scratch_load_b32 v81, off, off offset:956
	scratch_load_b32 v242, off, off offset:960
	scratch_load_b32 v234, off, off offset:964
	scratch_load_b32 v243, off, off offset:980
	scratch_load_b32 v77, off, off offset:968
	scratch_load_b32 v82, off, off offset:972
	scratch_load_b32 v79, off, off offset:976
	scratch_load_b32 v78, off, off offset:700
	scratch_load_b32 v240, off, off offset:704
	scratch_load_b32 v246, off, off offset:552
	scratch_load_b32 v83, off, off offset:556
	scratch_load_b32 v245, off, off offset:792
	scratch_load_b32 v249, off, off offset:708
	scratch_load_b32 v244, off, off offset:784
	scratch_load_b32 v250, off, off offset:788
	scratch_load_b32 v248, off, off offset:560
	scratch_load_b32 v247, off, off offset:808
	scratch_load_b32 v252, off, off offset:796
	scratch_load_b32 v253, off, off offset:800
	scratch_load_b32 v254, off, off offset:804
	scratch_load_b32 v251, off, off offset:564
	scratch_load_b32 v239, off, off offset:812
	scratch_load_b32 v76, off, off offset:816
	scratch_load_b32 v241, off, off offset:820
	scratch_load_b32 v255, off, off offset:824
	scratch_load_b32 v236, off, off offset:828
	scratch_load_b32 v129, off, off offset:832
	scratch_load_b32 v125, off, off offset:836
	s_clause 0x1f
	scratch_load_b32 v238, off, off offset:852
	scratch_load_b32 v237, off, off offset:840
	scratch_load_b32 v123, off, off offset:844
	scratch_load_b32 v126, off, off offset:848
	scratch_load_b32 v96, off, off offset:868
	scratch_load_b32 v97, off, off offset:856
	scratch_load_b32 v98, off, off offset:860
	scratch_load_b32 v99, off, off offset:864
	scratch_load_b32 v100, off, off offset:872
	scratch_load_b32 v101, off, off offset:876
	scratch_load_b32 v102, off, off offset:880
	scratch_load_b32 v103, off, off offset:884
	scratch_load_b32 v104, off, off offset:888
	scratch_load_b32 v105, off, off offset:984
	scratch_load_b32 v106, off, off offset:988
	scratch_load_b32 v107, off, off offset:992
	scratch_load_b32 v108, off, off offset:996
	scratch_load_b32 v109, off, off offset:1000
	scratch_load_b32 v110, off, off offset:1004
	scratch_load_b32 v111, off, off offset:1008
	scratch_load_b32 v130, off, off offset:1012
	scratch_load_b32 v127, off, off offset:1016
	scratch_load_b32 v128, off, off offset:1020
	scratch_load_b32 v131, off, off offset:1024
	scratch_load_b32 v207, off, off offset:1032
	scratch_load_b32 v5, off, off offset:1036
	scratch_load_b32 v7, off, off offset:1044
	scratch_load_b32 v12, off, off offset:1048
	scratch_load_b32 v16, off, off offset:572
	scratch_load_b32 v141, off, off offset:576
	scratch_load_b32 v143, off, off offset:584
	scratch_load_b32 v139, off, off offset:1056
	s_clause 0x1f
	scratch_load_b32 v145, off, off offset:1060
	scratch_load_b32 v64, off, off offset:1064
	;; [unrolled: 33-line block ×4, first 2 shown]
	scratch_load_b32 v217, off, off offset:1320
	scratch_load_b32 v218, off, off offset:588
	;; [unrolled: 1-line block ×28, first 2 shown]
	s_xor_b32 exec_lo, exec_lo, s9
; %bb.43:                               ;   in Loop: Header=BB31_21 Depth=1
	v_mul_f32_e32 v33, v32, v32
	s_delay_alu instid0(VALU_DEP_1) | instskip(NEXT) | instid1(VALU_DEP_1)
	v_fmaak_f32 v34, s8, v33, 0x3ca908c9
	v_fmaak_f32 v34, v33, v34, 0xbd5c1c4e
	s_delay_alu instid0(VALU_DEP_1) | instskip(NEXT) | instid1(VALU_DEP_1)
	v_fmaak_f32 v34, v33, v34, 0x3e088382
	v_fmaak_f32 v34, v33, v34, 0xbeaaaa99
	s_delay_alu instid0(VALU_DEP_1) | instskip(NEXT) | instid1(VALU_DEP_1)
	v_mul_f32_e64 v34, |v32|, v34
	v_fma_f32 v33, v33, v34, |v32|
; %bb.44:                               ;   in Loop: Header=BB31_21 Depth=1
	s_or_b32 exec_lo, exec_lo, s9
	s_delay_alu instid0(VALU_DEP_1)
	v_bfi_b32 v32, 0x7fffffff, v33, v32
	s_and_not1_b32 vcc_lo, exec_lo, s87
	scratch_store_b32 off, v54, off offset:908 ; 4-byte Folded Spill
	s_waitcnt vmcnt(62)
	s_clause 0x4
	scratch_store_b32 off, v10, off offset:8
	scratch_store_b32 off, v11, off
	scratch_store_b32 off, v35, off offset:4
	scratch_store_b32 off, v53, off offset:1336
	;; [unrolled: 1-line block ×3, first 2 shown]
	v_mul_f32_e32 v32, s81, v32
	s_cbranch_vccnz .LBB31_46
; %bb.45:                               ;   in Loop: Header=BB31_21 Depth=1
	v_add_co_u32 v33, vcc_lo, v53, s73
	v_add_co_ci_u32_e32 v34, vcc_lo, s75, v67, vcc_lo
	global_load_u16 v33, v[33:34], off
	scratch_load_b32 v34, off, off offset:80 ; 4-byte Folded Reload
	s_waitcnt vmcnt(0)
	v_fma_mix_f32 v32, v34, v33, v32 op_sel_hi:[0,1,0]
.LBB31_46:                              ;   in Loop: Header=BB31_21 Depth=1
	s_clause 0x5
	scratch_load_b32 v1, off, off offset:892
	scratch_load_b32 v48, off, off offset:1408
	;; [unrolled: 1-line block ×6, first 2 shown]
	v_add_f32_e32 v34, 0x40051340, v38
	v_dual_add_f32 v35, 0x40051340, v114 :: v_dual_mov_b32 v54, v142
	v_mov_b32_e32 v0, v150
	s_add_i32 s56, s56, s66
	v_mov_b32_e32 v17, v144
	s_cmp_ge_i32 s56, s79
	v_dual_mov_b32 v67, v146 :: v_dual_mov_b32 v14, v140
	s_waitcnt vmcnt(13)
	v_mov_b32_e32 v53, v136
	v_mov_b32_e32 v150, v132
	;; [unrolled: 1-line block ×6, first 2 shown]
	s_waitcnt vmcnt(5)
	v_cndmask_b32_e64 v33, v1, v38, s1
	v_add_f32_e32 v38, 0x40051340, v32
	v_max3_f32 v34, v37, v34, v35
	v_add_f32_e32 v35, 0x40051340, v39
	v_cndmask_b32_e64 v39, v32, v39, s1
	v_cndmask_b32_e64 v32, v114, v33, s1
	s_waitcnt vmcnt(4)
	ds_bpermute_b32 v33, v48, v34
	v_max3_f32 v38, v36, v35, v38
	s_waitcnt lgkmcnt(0)
	v_max_f32_e32 v33, v33, v33
	s_delay_alu instid0(VALU_DEP_1) | instskip(SKIP_4) | instid1(VALU_DEP_1)
	v_max_f32_e32 v33, v34, v33
	s_waitcnt vmcnt(3)
	ds_bpermute_b32 v34, v49, v33
	s_waitcnt lgkmcnt(0)
	v_max_f32_e32 v34, v34, v34
	v_max_f32_e32 v33, v33, v34
	s_waitcnt vmcnt(2)
	ds_bpermute_b32 v34, v50, v33
	s_waitcnt lgkmcnt(0)
	v_max_f32_e32 v34, v34, v34
	s_delay_alu instid0(VALU_DEP_1) | instskip(SKIP_4) | instid1(VALU_DEP_1)
	v_max_f32_e32 v33, v33, v34
	s_waitcnt vmcnt(1)
	ds_bpermute_b32 v34, v115, v33
	s_waitcnt lgkmcnt(0)
	v_max_f32_e32 v34, v34, v34
	v_max_f32_e32 v114, v33, v34
	s_delay_alu instid0(VALU_DEP_1) | instskip(SKIP_1) | instid1(VALU_DEP_1)
	v_sub_f32_e32 v32, v32, v114
	v_sub_f32_e32 v33, v37, v114
	v_mul_f32_e32 v34, 0x3fb8aa3b, v33
	v_cmp_ngt_f32_e32 vcc_lo, 0xc2ce8ed0, v33
	s_delay_alu instid0(VALU_DEP_2) | instskip(SKIP_1) | instid1(VALU_DEP_2)
	v_fma_f32 v35, 0x3fb8aa3b, v33, -v34
	v_rndne_f32_e32 v37, v34
	v_fmac_f32_e32 v35, 0x32a5705f, v33
	s_delay_alu instid0(VALU_DEP_2) | instskip(NEXT) | instid1(VALU_DEP_1)
	v_sub_f32_e32 v34, v34, v37
	v_add_f32_e32 v34, v34, v35
	v_cvt_i32_f32_e32 v35, v37
	s_delay_alu instid0(VALU_DEP_2) | instskip(SKIP_2) | instid1(VALU_DEP_1)
	v_exp_f32_e32 v34, v34
	s_waitcnt_depctr 0xfff
	v_ldexp_f32 v34, v34, v35
	v_cndmask_b32_e32 v34, 0, v34, vcc_lo
	v_cmp_nlt_f32_e32 vcc_lo, 0x42b17218, v33
	s_delay_alu instid0(VALU_DEP_2) | instskip(SKIP_2) | instid1(VALU_DEP_2)
	v_cndmask_b32_e32 v33, 0x7f800000, v34, vcc_lo
	v_mul_f32_e32 v34, 0x3fb8aa3b, v32
	v_cmp_ngt_f32_e32 vcc_lo, 0xc2ce8ed0, v32
	v_fma_f32 v35, 0x3fb8aa3b, v32, -v34
	v_rndne_f32_e32 v37, v34
	s_delay_alu instid0(VALU_DEP_1) | instskip(NEXT) | instid1(VALU_DEP_1)
	v_dual_fmac_f32 v35, 0x32a5705f, v32 :: v_dual_sub_f32 v34, v34, v37
	v_add_f32_e32 v34, v34, v35
	v_cvt_i32_f32_e32 v35, v37
	v_cvt_f16_f32_e32 v37, v33
	s_delay_alu instid0(VALU_DEP_3) | instskip(SKIP_2) | instid1(VALU_DEP_1)
	v_exp_f32_e32 v34, v34
	s_waitcnt_depctr 0xfff
	v_ldexp_f32 v34, v34, v35
	v_cndmask_b32_e32 v34, 0, v34, vcc_lo
	v_cmp_nlt_f32_e32 vcc_lo, 0x42b17218, v32
	s_delay_alu instid0(VALU_DEP_2) | instskip(NEXT) | instid1(VALU_DEP_1)
	v_cndmask_b32_e32 v1, 0x7f800000, v34, vcc_lo
	v_cvt_f16_f32_e32 v32, v1
	scratch_store_b32 off, v1, off offset:892 ; 4-byte Folded Spill
	v_fma_f32 v112, v112, v33, v1
	s_waitcnt vmcnt(0)
	ds_store_b16 v116, v32
	ds_load_b128 v[32:35], v124
	ds_load_b128 v[40:43], v124 offset:16
	s_waitcnt lgkmcnt(1)
	v_pk_mul_f16 v47, v37, v32 op_sel_hi:[0,1]
	ds_bpermute_b32 v32, v48, v38
	scratch_load_b32 v48, off, off offset:1424 ; 4-byte Folded Reload
	v_pk_mul_f16 v46, v37, v33 op_sel_hi:[0,1]
	v_pk_mul_f16 v45, v37, v34 op_sel_hi:[0,1]
	;; [unrolled: 1-line block ×3, first 2 shown]
	s_waitcnt lgkmcnt(0)
	v_max_f32_e32 v32, v32, v32
	s_delay_alu instid0(VALU_DEP_1) | instskip(SKIP_4) | instid1(VALU_DEP_1)
	v_max_f32_e32 v32, v38, v32
	ds_bpermute_b32 v33, v49, v32
	v_mov_b32_e32 v49, v4
	s_waitcnt lgkmcnt(0)
	v_max_f32_e32 v33, v33, v33
	v_max_f32_e32 v32, v32, v33
	ds_bpermute_b32 v33, v50, v32
	v_mov_b32_e32 v50, v134
	v_mov_b32_e32 v134, v5
	s_waitcnt lgkmcnt(0)
	v_max_f32_e32 v33, v33, v33
	s_delay_alu instid0(VALU_DEP_1) | instskip(SKIP_3) | instid1(VALU_DEP_1)
	v_max_f32_e32 v32, v32, v33
	ds_bpermute_b32 v33, v115, v32
	s_waitcnt lgkmcnt(0)
	v_max_f32_e32 v33, v33, v33
	v_max_f32_e32 v115, v32, v33
	s_delay_alu instid0(VALU_DEP_1) | instskip(NEXT) | instid1(VALU_DEP_1)
	v_sub_f32_e32 v32, v36, v115
	v_mul_f32_e32 v33, 0x3fb8aa3b, v32
	v_cmp_ngt_f32_e32 vcc_lo, 0xc2ce8ed0, v32
	s_delay_alu instid0(VALU_DEP_2) | instskip(SKIP_1) | instid1(VALU_DEP_1)
	v_fma_f32 v34, 0x3fb8aa3b, v32, -v33
	v_rndne_f32_e32 v35, v33
	v_dual_fmac_f32 v34, 0x32a5705f, v32 :: v_dual_sub_f32 v33, v33, v35
	s_delay_alu instid0(VALU_DEP_1) | instskip(SKIP_1) | instid1(VALU_DEP_2)
	v_add_f32_e32 v33, v33, v34
	v_cvt_i32_f32_e32 v34, v35
	v_exp_f32_e32 v33, v33
	s_waitcnt_depctr 0xfff
	v_ldexp_f32 v33, v33, v34
	s_delay_alu instid0(VALU_DEP_1) | instskip(SKIP_1) | instid1(VALU_DEP_2)
	v_cndmask_b32_e32 v33, 0, v33, vcc_lo
	v_cmp_nlt_f32_e32 vcc_lo, 0x42b17218, v32
	v_dual_cndmask_b32 v32, 0x7f800000, v33 :: v_dual_sub_f32 v33, v39, v115
	s_delay_alu instid0(VALU_DEP_1) | instskip(NEXT) | instid1(VALU_DEP_2)
	v_cvt_f16_f32_e32 v118, v32
	v_mul_f32_e32 v34, 0x3fb8aa3b, v33
	v_cmp_ngt_f32_e32 vcc_lo, 0xc2ce8ed0, v33
	s_delay_alu instid0(VALU_DEP_3) | instskip(NEXT) | instid1(VALU_DEP_3)
	v_pk_mul_f16 v42, v118, v42 op_sel_hi:[0,1]
	v_fma_f32 v35, 0x3fb8aa3b, v33, -v34
	v_rndne_f32_e32 v36, v34
	v_pk_mul_f16 v43, v118, v43 op_sel_hi:[0,1]
	s_delay_alu instid0(VALU_DEP_2) | instskip(NEXT) | instid1(VALU_DEP_1)
	v_dual_fmac_f32 v35, 0x32a5705f, v33 :: v_dual_sub_f32 v34, v34, v36
	v_add_f32_e32 v34, v34, v35
	v_cvt_i32_f32_e32 v35, v36
	s_delay_alu instid0(VALU_DEP_2) | instskip(SKIP_2) | instid1(VALU_DEP_1)
	v_exp_f32_e32 v34, v34
	s_waitcnt_depctr 0xfff
	v_ldexp_f32 v34, v34, v35
	v_cndmask_b32_e32 v34, 0, v34, vcc_lo
	v_cmp_nlt_f32_e32 vcc_lo, 0x42b17218, v33
	s_delay_alu instid0(VALU_DEP_2) | instskip(NEXT) | instid1(VALU_DEP_1)
	v_cndmask_b32_e32 v33, 0x7f800000, v34, vcc_lo
	v_fma_f32 v113, v113, v32, v33
	v_cvt_f16_f32_e32 v33, v33
	scratch_store_b64 off, v[112:113], off offset:1328 ; 8-byte Folded Spill
	ds_store_b16 v116, v33 offset:256
	v_add_co_u32 v116, vcc_lo, v65, s4
	v_add_co_ci_u32_e32 v117, vcc_lo, 0, v66, vcc_lo
	v_add_co_u32 v203, vcc_lo, v14, s4
	v_add_co_ci_u32_e32 v204, vcc_lo, 0, v61, vcc_lo
	s_waitcnt vmcnt(0)
	ds_load_b128 v[32:35], v48
	ds_load_b128 v[36:39], v48 offset:256
	global_load_b32 v119, v[203:204], off
	global_load_b32 v116, v[116:117], off
	v_mov_b32_e32 v113, v225
	v_mov_b32_e32 v225, v137
	s_waitcnt vmcnt(1)
	v_ashrrev_i32_e32 v119, v202, v119
	s_delay_alu instid0(VALU_DEP_1) | instskip(SKIP_3) | instid1(VALU_DEP_4)
	v_lshrrev_b32_e32 v121, 8, v119
	v_and_b32_e32 v120, 15, v119
	v_lshrrev_b32_e32 v122, 16, v119
	v_bfe_u32 v119, v119, 24, 4
	v_and_b32_e32 v121, 15, v121
	s_delay_alu instid0(VALU_DEP_4) | instskip(NEXT) | instid1(VALU_DEP_4)
	v_cvt_f16_u16_e32 v117, v120
	v_and_b32_e32 v122, 15, v122
	s_delay_alu instid0(VALU_DEP_4) | instskip(NEXT) | instid1(VALU_DEP_4)
	v_cvt_f16_u16_e32 v119, v119
	v_cvt_f16_u16_e32 v120, v121
	s_delay_alu instid0(VALU_DEP_1) | instskip(NEXT) | instid1(VALU_DEP_4)
	v_pack_b32_f16 v117, v117, v120
	v_cvt_f16_u16_e32 v120, v122
	s_waitcnt vmcnt(0)
	s_delay_alu instid0(VALU_DEP_2) | instskip(NEXT) | instid1(VALU_DEP_2)
	v_pk_fma_f16 v117, v116, v117, v116 op_sel:[0,0,1] op_sel_hi:[0,1,1]
	v_pack_b32_f16 v119, v120, v119
	s_delay_alu instid0(VALU_DEP_1) | instskip(SKIP_1) | instid1(VALU_DEP_3)
	v_pk_fma_f16 v116, v116, v119, v116 op_sel:[0,0,1] op_sel_hi:[0,1,1]
	s_waitcnt lgkmcnt(1)
	v_pk_fma_f16 v119, v117, v32, v47 op_sel_hi:[1,0,1]
	s_waitcnt lgkmcnt(0)
	v_pk_mul_f16 v47, v117, v36 op_sel_hi:[1,0]
	v_pk_fma_f16 v120, v116, v32, v46 op_sel_hi:[1,0,1]
	v_pk_mul_f16 v46, v116, v36 op_sel_hi:[1,0]
	s_delay_alu instid0(VALU_DEP_3) | instskip(NEXT) | instid1(VALU_DEP_2)
	v_pk_fma_f16 v40, v118, v40, v47 op_sel_hi:[0,1,1]
	v_pk_fma_f16 v41, v118, v41, v46 op_sel_hi:[0,1,1]
	ds_store_b128 v124, v[40:43] offset:16
	v_add_co_u32 v40, vcc_lo, v62, s4
	v_add_co_ci_u32_e32 v41, vcc_lo, 0, v17, vcc_lo
	v_add_co_u32 v46, vcc_lo, v67, s4
	v_add_co_ci_u32_e32 v47, vcc_lo, 0, v54, vcc_lo
	global_load_b32 v40, v[40:41], off
	global_load_b32 v43, v[46:47], off
	s_waitcnt vmcnt(0)
	v_ashrrev_i32_e32 v43, v202, v43
	s_delay_alu instid0(VALU_DEP_1) | instskip(SKIP_3) | instid1(VALU_DEP_4)
	v_lshrrev_b32_e32 v47, 8, v43
	v_and_b32_e32 v46, 15, v43
	v_lshrrev_b32_e32 v116, 16, v43
	v_bfe_u32 v43, v43, 24, 4
	v_and_b32_e32 v47, 15, v47
	s_delay_alu instid0(VALU_DEP_4) | instskip(NEXT) | instid1(VALU_DEP_4)
	v_cvt_f16_u16_e32 v41, v46
	v_and_b32_e32 v116, 15, v116
	s_delay_alu instid0(VALU_DEP_4) | instskip(NEXT) | instid1(VALU_DEP_4)
	v_cvt_f16_u16_e32 v43, v43
	v_cvt_f16_u16_e32 v46, v47
	s_delay_alu instid0(VALU_DEP_1) | instskip(NEXT) | instid1(VALU_DEP_4)
	v_pack_b32_f16 v41, v41, v46
	v_cvt_f16_u16_e32 v46, v116
	s_delay_alu instid0(VALU_DEP_2) | instskip(NEXT) | instid1(VALU_DEP_2)
	v_pk_fma_f16 v41, v40, v41, v40 op_sel:[0,0,1] op_sel_hi:[0,1,1]
	v_pack_b32_f16 v43, v46, v43
	s_delay_alu instid0(VALU_DEP_2) | instskip(NEXT) | instid1(VALU_DEP_2)
	v_pk_fma_f16 v205, v41, v36, v42 op_sel_hi:[1,0,1]
	v_pk_fma_f16 v40, v40, v43, v40 op_sel:[0,0,1] op_sel_hi:[0,1,1]
	v_pk_fma_f16 v43, v41, v32, v45 op_sel_hi:[1,0,1]
	ds_load_b64 v[45:46], v124 offset:16
	ds_load_b32 v41, v124 offset:28
	s_clause 0x1
	scratch_load_b32 v15, off, off offset:944
	scratch_load_b32 v95, off, off offset:948
	v_pk_fma_f16 v44, v40, v32, v44 op_sel_hi:[1,0,1]
	s_clause 0x1
	scratch_load_b32 v2, off, off offset:940
	scratch_load_b32 v1, off, off offset:68
	s_clause 0xd
	scratch_store_b32 off, v31, off offset:1344
	scratch_store_b32 off, v28, off offset:1348
	;; [unrolled: 1-line block ×14, first 2 shown]
	s_waitcnt lgkmcnt(0)
	v_pk_fma_f16 v206, v40, v36, v41 op_sel_hi:[1,0,1]
	scratch_store_b32 off, v152, off offset:1400 ; 4-byte Folded Spill
	s_waitcnt vmcnt(3)
	v_add_co_u32 v40, vcc_lo, v15, s4
	v_add_co_ci_u32_e32 v41, vcc_lo, 0, v0, vcc_lo
	s_waitcnt vmcnt(2)
	v_add_co_u32 v116, vcc_lo, v95, s4
	v_add_co_ci_u32_e32 v117, vcc_lo, 0, v148, vcc_lo
	global_load_b32 v40, v[40:41], off
	v_mov_b32_e32 v148, v9
	global_load_b32 v42, v[116:117], off
	v_mov_b32_e32 v132, v148
	v_mov_b32_e32 v148, v150
	s_waitcnt vmcnt(0)
	v_ashrrev_i32_e32 v42, v202, v42
	s_delay_alu instid0(VALU_DEP_1) | instskip(SKIP_3) | instid1(VALU_DEP_4)
	v_lshrrev_b32_e32 v116, 8, v42
	v_and_b32_e32 v47, 15, v42
	v_lshrrev_b32_e32 v117, 16, v42
	v_bfe_u32 v42, v42, 24, 4
	v_and_b32_e32 v116, 15, v116
	s_delay_alu instid0(VALU_DEP_4) | instskip(NEXT) | instid1(VALU_DEP_4)
	v_cvt_f16_u16_e32 v41, v47
	v_and_b32_e32 v117, 15, v117
	s_delay_alu instid0(VALU_DEP_4) | instskip(NEXT) | instid1(VALU_DEP_4)
	v_cvt_f16_u16_e32 v42, v42
	v_cvt_f16_u16_e32 v47, v116
	s_delay_alu instid0(VALU_DEP_1) | instskip(NEXT) | instid1(VALU_DEP_1)
	v_pack_b32_f16 v41, v41, v47
	v_pk_fma_f16 v47, v40, v41, v40 op_sel:[0,0,1] op_sel_hi:[0,1,1]
	v_cvt_f16_u16_e32 v41, v117
	s_delay_alu instid0(VALU_DEP_2) | instskip(NEXT) | instid1(VALU_DEP_2)
	v_pk_fma_f16 v203, v47, v36, v45 op_sel:[0,1,0]
	v_pack_b32_f16 v41, v41, v42
	v_add_co_u32 v45, vcc_lo, v2, s4
	s_delay_alu instid0(VALU_DEP_2) | instskip(SKIP_1) | instid1(VALU_DEP_2)
	v_pk_fma_f16 v40, v40, v41, v40 op_sel:[0,0,1] op_sel_hi:[0,1,1]
	v_pk_fma_f16 v41, v47, v32, v119 op_sel:[0,1,0]
	v_pk_fma_f16 v204, v40, v36, v46 op_sel:[0,1,0]
	v_add_co_ci_u32_e32 v46, vcc_lo, 0, v1, vcc_lo
	scratch_load_b32 v1, off, off offset:64 ; 4-byte Folded Reload
	v_pk_fma_f16 v42, v40, v32, v120 op_sel:[0,1,0]
	ds_store_b128 v124, v[203:206] offset:16
	global_load_b32 v45, v[45:46], off
	ds_store_b128 v124, v[41:44]
	s_waitcnt vmcnt(1)
	v_add_co_u32 v116, vcc_lo, v1, s4
	scratch_load_b32 v1, off, off offset:72 ; 4-byte Folded Reload
	s_waitcnt vmcnt(0)
	v_add_co_ci_u32_e32 v117, vcc_lo, 0, v1, vcc_lo
	scratch_load_b32 v1, off, off offset:60 ; 4-byte Folded Reload
	global_load_b32 v40, v[116:117], off
	s_waitcnt vmcnt(0)
	v_ashrrev_i32_e32 v40, v202, v40
	s_delay_alu instid0(VALU_DEP_1) | instskip(SKIP_3) | instid1(VALU_DEP_4)
	v_lshrrev_b32_e32 v116, 8, v40
	v_and_b32_e32 v47, 15, v40
	v_lshrrev_b32_e32 v117, 16, v40
	v_bfe_u32 v40, v40, 24, 4
	v_and_b32_e32 v116, 15, v116
	s_delay_alu instid0(VALU_DEP_4) | instskip(NEXT) | instid1(VALU_DEP_4)
	v_cvt_f16_u16_e32 v46, v47
	v_and_b32_e32 v117, 15, v117
	s_delay_alu instid0(VALU_DEP_4) | instskip(NEXT) | instid1(VALU_DEP_4)
	v_cvt_f16_u16_e32 v40, v40
	v_cvt_f16_u16_e32 v47, v116
	s_delay_alu instid0(VALU_DEP_1) | instskip(NEXT) | instid1(VALU_DEP_4)
	v_pack_b32_f16 v46, v46, v47
	v_cvt_f16_u16_e32 v47, v117
	s_delay_alu instid0(VALU_DEP_2) | instskip(NEXT) | instid1(VALU_DEP_2)
	v_pk_fma_f16 v46, v45, v46, v45 op_sel:[0,0,1] op_sel_hi:[0,1,1]
	v_pack_b32_f16 v40, v47, v40
	s_delay_alu instid0(VALU_DEP_2) | instskip(NEXT) | instid1(VALU_DEP_2)
	v_pk_fma_f16 v43, v46, v32, v43 op_sel:[0,1,0]
	v_pk_fma_f16 v40, v45, v40, v45 op_sel:[0,0,1] op_sel_hi:[0,1,1]
	v_add_co_u32 v45, vcc_lo, v1, s4
	scratch_load_b32 v1, off, off offset:56 ; 4-byte Folded Reload
	v_pk_fma_f16 v205, v46, v36, v205 op_sel:[0,1,0]
	v_add_co_ci_u32_e32 v46, vcc_lo, 0, v152, vcc_lo
	v_pk_fma_f16 v44, v40, v32, v44 op_sel:[0,1,0]
	v_pk_fma_f16 v206, v40, v36, v206 op_sel:[0,1,0]
	v_mov_b32_e32 v152, v133
	global_load_b32 v45, v[45:46], off
	s_waitcnt vmcnt(1)
	v_add_co_u32 v116, vcc_lo, v1, s4
	v_add_co_ci_u32_e32 v117, vcc_lo, 0, v154, vcc_lo
	scratch_load_b32 v1, off, off offset:52 ; 4-byte Folded Reload
	v_mov_b32_e32 v154, v135
	global_load_b32 v32, v[116:117], off
	s_waitcnt vmcnt(0)
	v_ashrrev_i32_e32 v32, v202, v32
	s_delay_alu instid0(VALU_DEP_1) | instskip(SKIP_3) | instid1(VALU_DEP_4)
	v_lshrrev_b32_e32 v40, 8, v32
	v_and_b32_e32 v36, 15, v32
	v_lshrrev_b32_e32 v47, 16, v32
	v_bfe_u32 v32, v32, 24, 4
	v_and_b32_e32 v40, 15, v40
	s_delay_alu instid0(VALU_DEP_4) | instskip(NEXT) | instid1(VALU_DEP_4)
	v_cvt_f16_u16_e32 v36, v36
	v_and_b32_e32 v47, 15, v47
	s_delay_alu instid0(VALU_DEP_4) | instskip(NEXT) | instid1(VALU_DEP_4)
	v_cvt_f16_u16_e32 v32, v32
	v_cvt_f16_u16_e32 v40, v40
	s_delay_alu instid0(VALU_DEP_1) | instskip(NEXT) | instid1(VALU_DEP_4)
	v_pack_b32_f16 v36, v36, v40
	v_cvt_f16_u16_e32 v40, v47
	s_delay_alu instid0(VALU_DEP_2) | instskip(NEXT) | instid1(VALU_DEP_2)
	v_pk_fma_f16 v36, v45, v36, v45 op_sel:[0,0,1] op_sel_hi:[0,1,1]
	v_pack_b32_f16 v32, v40, v32
	s_delay_alu instid0(VALU_DEP_2) | instskip(NEXT) | instid1(VALU_DEP_2)
	v_pk_fma_f16 v41, v36, v33, v41 op_sel_hi:[1,0,1]
	v_pk_fma_f16 v32, v45, v32, v45 op_sel:[0,0,1] op_sel_hi:[0,1,1]
	v_add_co_u32 v45, vcc_lo, v31, s4
	v_mov_b32_e32 v31, v91
	v_add_co_ci_u32_e32 v46, vcc_lo, 0, v92, vcc_lo
	v_add_co_u32 v116, vcc_lo, v28, s4
	s_delay_alu instid0(VALU_DEP_3)
	v_add_co_ci_u32_e32 v117, vcc_lo, 0, v31, vcc_lo
	v_pk_fma_f16 v42, v32, v33, v42 op_sel_hi:[1,0,1]
	v_pk_fma_f16 v204, v32, v37, v204 op_sel_hi:[1,0,1]
	global_load_b32 v45, v[45:46], off
	global_load_b32 v32, v[116:117], off
	v_pk_fma_f16 v203, v36, v37, v203 op_sel_hi:[1,0,1]
	v_dual_mov_b32 v91, v24 :: v_dual_mov_b32 v24, v26
	v_mov_b32_e32 v28, v94
	v_mov_b32_e32 v94, v27
	ds_store_b128 v124, v[41:44]
	ds_store_b128 v124, v[203:206] offset:16
	s_clause 0x1
	scratch_load_b32 v26, off, off offset:484
	scratch_load_b32 v27, off, off offset:488
	s_waitcnt vmcnt(2)
	v_ashrrev_i32_e32 v32, v202, v32
	s_delay_alu instid0(VALU_DEP_1) | instskip(SKIP_3) | instid1(VALU_DEP_4)
	v_lshrrev_b32_e32 v40, 8, v32
	v_and_b32_e32 v36, 15, v32
	v_lshrrev_b32_e32 v47, 16, v32
	v_bfe_u32 v32, v32, 24, 4
	v_and_b32_e32 v40, 15, v40
	s_delay_alu instid0(VALU_DEP_4) | instskip(NEXT) | instid1(VALU_DEP_4)
	v_cvt_f16_u16_e32 v36, v36
	v_and_b32_e32 v47, 15, v47
	s_delay_alu instid0(VALU_DEP_4) | instskip(NEXT) | instid1(VALU_DEP_4)
	v_cvt_f16_u16_e32 v32, v32
	v_cvt_f16_u16_e32 v40, v40
	s_delay_alu instid0(VALU_DEP_1) | instskip(NEXT) | instid1(VALU_DEP_4)
	v_pack_b32_f16 v36, v36, v40
	v_cvt_f16_u16_e32 v40, v47
	s_delay_alu instid0(VALU_DEP_2) | instskip(NEXT) | instid1(VALU_DEP_2)
	v_pk_fma_f16 v36, v45, v36, v45 op_sel:[0,0,1] op_sel_hi:[0,1,1]
	v_pack_b32_f16 v32, v40, v32
	s_delay_alu instid0(VALU_DEP_2) | instskip(NEXT) | instid1(VALU_DEP_2)
	v_pk_fma_f16 v43, v36, v33, v43 op_sel_hi:[1,0,1]
	v_pk_fma_f16 v32, v45, v32, v45 op_sel:[0,0,1] op_sel_hi:[0,1,1]
	v_add_co_u32 v45, vcc_lo, v93, s4
	v_add_co_ci_u32_e32 v46, vcc_lo, 0, v28, vcc_lo
	v_add_co_u32 v116, vcc_lo, v91, s4
	v_add_co_ci_u32_e32 v117, vcc_lo, 0, v94, vcc_lo
	v_pk_fma_f16 v44, v32, v33, v44 op_sel_hi:[1,0,1]
	v_pk_fma_f16 v206, v32, v37, v206 op_sel_hi:[1,0,1]
	global_load_b32 v45, v[45:46], off
	global_load_b32 v32, v[116:117], off
	v_pk_fma_f16 v205, v36, v37, v205 op_sel_hi:[1,0,1]
	s_waitcnt vmcnt(0)
	v_ashrrev_i32_e32 v32, v202, v32
	s_delay_alu instid0(VALU_DEP_1) | instskip(SKIP_3) | instid1(VALU_DEP_4)
	v_lshrrev_b32_e32 v40, 8, v32
	v_and_b32_e32 v36, 15, v32
	v_lshrrev_b32_e32 v47, 16, v32
	v_bfe_u32 v32, v32, 24, 4
	v_and_b32_e32 v40, 15, v40
	s_delay_alu instid0(VALU_DEP_4) | instskip(NEXT) | instid1(VALU_DEP_4)
	v_cvt_f16_u16_e32 v36, v36
	v_and_b32_e32 v47, 15, v47
	s_delay_alu instid0(VALU_DEP_4) | instskip(NEXT) | instid1(VALU_DEP_4)
	v_cvt_f16_u16_e32 v32, v32
	v_cvt_f16_u16_e32 v40, v40
	s_delay_alu instid0(VALU_DEP_1) | instskip(NEXT) | instid1(VALU_DEP_4)
	v_pack_b32_f16 v36, v36, v40
	v_cvt_f16_u16_e32 v40, v47
	s_delay_alu instid0(VALU_DEP_2) | instskip(NEXT) | instid1(VALU_DEP_2)
	v_pk_fma_f16 v36, v45, v36, v45 op_sel:[0,0,1] op_sel_hi:[0,1,1]
	v_pack_b32_f16 v32, v40, v32
	s_delay_alu instid0(VALU_DEP_2) | instskip(NEXT) | instid1(VALU_DEP_2)
	v_pk_fma_f16 v41, v36, v33, v41 op_sel:[0,1,0]
	v_pk_fma_f16 v32, v45, v32, v45 op_sel:[0,0,1] op_sel_hi:[0,1,1]
	v_add_co_u32 v45, vcc_lo, v25, s4
	v_add_co_ci_u32_e32 v46, vcc_lo, 0, v24, vcc_lo
	v_add_co_u32 v116, vcc_lo, v88, s4
	v_mov_b32_e32 v88, v89
	v_add_co_ci_u32_e32 v117, vcc_lo, 0, v90, vcc_lo
	v_pk_fma_f16 v42, v32, v33, v42 op_sel:[0,1,0]
	v_pk_fma_f16 v204, v32, v37, v204 op_sel:[0,1,0]
	global_load_b32 v45, v[45:46], off
	global_load_b32 v32, v[116:117], off
	v_pk_fma_f16 v203, v36, v37, v203 op_sel:[0,1,0]
	ds_store_b128 v124, v[41:44]
	v_mov_b32_e32 v25, v71
	scratch_load_b32 v89, off, off offset:492 ; 4-byte Folded Reload
	ds_store_b128 v124, v[203:206] offset:16
	s_waitcnt vmcnt(1)
	v_ashrrev_i32_e32 v32, v202, v32
	s_delay_alu instid0(VALU_DEP_1) | instskip(SKIP_3) | instid1(VALU_DEP_4)
	v_lshrrev_b32_e32 v40, 8, v32
	v_and_b32_e32 v36, 15, v32
	v_lshrrev_b32_e32 v47, 16, v32
	v_bfe_u32 v32, v32, 24, 4
	v_and_b32_e32 v40, 15, v40
	s_delay_alu instid0(VALU_DEP_4) | instskip(NEXT) | instid1(VALU_DEP_4)
	v_cvt_f16_u16_e32 v36, v36
	v_and_b32_e32 v47, 15, v47
	s_delay_alu instid0(VALU_DEP_4) | instskip(NEXT) | instid1(VALU_DEP_4)
	v_cvt_f16_u16_e32 v32, v32
	v_cvt_f16_u16_e32 v40, v40
	s_delay_alu instid0(VALU_DEP_1) | instskip(NEXT) | instid1(VALU_DEP_4)
	v_pack_b32_f16 v36, v36, v40
	v_cvt_f16_u16_e32 v40, v47
	s_delay_alu instid0(VALU_DEP_2) | instskip(NEXT) | instid1(VALU_DEP_2)
	v_pk_fma_f16 v36, v45, v36, v45 op_sel:[0,0,1] op_sel_hi:[0,1,1]
	v_pack_b32_f16 v32, v40, v32
	s_delay_alu instid0(VALU_DEP_2) | instskip(NEXT) | instid1(VALU_DEP_2)
	v_pk_fma_f16 v43, v36, v33, v43 op_sel:[0,1,0]
	v_pk_fma_f16 v32, v45, v32, v45 op_sel:[0,0,1] op_sel_hi:[0,1,1]
	v_pk_fma_f16 v205, v36, v37, v205 op_sel:[0,1,0]
	s_delay_alu instid0(VALU_DEP_2)
	v_pk_fma_f16 v44, v32, v33, v44 op_sel:[0,1,0]
	v_pk_fma_f16 v206, v32, v37, v206 op_sel:[0,1,0]
	v_add_co_u32 v32, vcc_lo, v87, s4
	v_add_co_ci_u32_e32 v33, vcc_lo, 0, v88, vcc_lo
	v_add_co_u32 v36, vcc_lo, v84, s4
	v_mov_b32_e32 v84, v85
	v_add_co_ci_u32_e32 v37, vcc_lo, 0, v86, vcc_lo
	global_load_b32 v32, v[32:33], off
	s_clause 0x1
	scratch_load_b32 v87, off, off offset:480
	scratch_load_b32 v85, off, off offset:472
	global_load_b32 v36, v[36:37], off
	scratch_load_b32 v86, off, off offset:476 ; 4-byte Folded Reload
	s_waitcnt vmcnt(1)
	v_ashrrev_i32_e32 v36, v202, v36
	s_delay_alu instid0(VALU_DEP_1) | instskip(SKIP_3) | instid1(VALU_DEP_4)
	v_lshrrev_b32_e32 v40, 8, v36
	v_and_b32_e32 v37, 15, v36
	v_lshrrev_b32_e32 v45, 16, v36
	v_bfe_u32 v36, v36, 24, 4
	v_and_b32_e32 v40, 15, v40
	s_delay_alu instid0(VALU_DEP_4) | instskip(NEXT) | instid1(VALU_DEP_4)
	v_cvt_f16_u16_e32 v33, v37
	v_and_b32_e32 v45, 15, v45
	s_delay_alu instid0(VALU_DEP_4) | instskip(NEXT) | instid1(VALU_DEP_4)
	v_cvt_f16_u16_e32 v36, v36
	v_cvt_f16_u16_e32 v37, v40
	s_delay_alu instid0(VALU_DEP_1) | instskip(NEXT) | instid1(VALU_DEP_4)
	v_pack_b32_f16 v33, v33, v37
	v_cvt_f16_u16_e32 v37, v45
	s_delay_alu instid0(VALU_DEP_2) | instskip(NEXT) | instid1(VALU_DEP_2)
	v_pk_fma_f16 v33, v32, v33, v32 op_sel:[0,0,1] op_sel_hi:[0,1,1]
	v_pack_b32_f16 v36, v37, v36
	s_delay_alu instid0(VALU_DEP_2) | instskip(NEXT) | instid1(VALU_DEP_2)
	v_pk_fma_f16 v41, v33, v34, v41 op_sel_hi:[1,0,1]
	v_pk_fma_f16 v32, v32, v36, v32 op_sel:[0,0,1] op_sel_hi:[0,1,1]
	v_pk_fma_f16 v203, v33, v38, v203 op_sel_hi:[1,0,1]
	s_delay_alu instid0(VALU_DEP_2)
	v_pk_fma_f16 v42, v32, v34, v42 op_sel_hi:[1,0,1]
	v_pk_fma_f16 v204, v32, v38, v204 op_sel_hi:[1,0,1]
	v_add_co_u32 v32, vcc_lo, v23, s4
	v_add_co_ci_u32_e32 v33, vcc_lo, 0, v84, vcc_lo
	v_add_co_u32 v36, vcc_lo, v21, s4
	v_add_co_ci_u32_e32 v37, vcc_lo, 0, v22, vcc_lo
	global_load_b32 v32, v[32:33], off
	v_mov_b32_e32 v21, v20
	ds_store_b128 v124, v[41:44]
	ds_store_b128 v124, v[203:206] offset:16
	global_load_b32 v36, v[36:37], off
	v_mov_b32_e32 v22, v138
	v_dual_mov_b32 v138, v12 :: v_dual_mov_b32 v23, v69
	s_waitcnt vmcnt(0)
	v_ashrrev_i32_e32 v36, v202, v36
	s_delay_alu instid0(VALU_DEP_1) | instskip(SKIP_3) | instid1(VALU_DEP_4)
	v_lshrrev_b32_e32 v40, 8, v36
	v_and_b32_e32 v37, 15, v36
	v_lshrrev_b32_e32 v45, 16, v36
	v_bfe_u32 v36, v36, 24, 4
	v_and_b32_e32 v40, 15, v40
	s_delay_alu instid0(VALU_DEP_4) | instskip(NEXT) | instid1(VALU_DEP_4)
	v_cvt_f16_u16_e32 v33, v37
	v_and_b32_e32 v45, 15, v45
	s_delay_alu instid0(VALU_DEP_4) | instskip(NEXT) | instid1(VALU_DEP_4)
	v_cvt_f16_u16_e32 v36, v36
	v_cvt_f16_u16_e32 v37, v40
	s_delay_alu instid0(VALU_DEP_1) | instskip(NEXT) | instid1(VALU_DEP_4)
	v_pack_b32_f16 v33, v33, v37
	v_cvt_f16_u16_e32 v37, v45
	s_delay_alu instid0(VALU_DEP_2) | instskip(NEXT) | instid1(VALU_DEP_2)
	v_pk_fma_f16 v33, v32, v33, v32 op_sel:[0,0,1] op_sel_hi:[0,1,1]
	v_pack_b32_f16 v36, v37, v36
	s_delay_alu instid0(VALU_DEP_2) | instskip(NEXT) | instid1(VALU_DEP_2)
	v_pk_fma_f16 v43, v33, v34, v43 op_sel_hi:[1,0,1]
	v_pk_fma_f16 v32, v32, v36, v32 op_sel:[0,0,1] op_sel_hi:[0,1,1]
	v_pk_fma_f16 v205, v33, v38, v205 op_sel_hi:[1,0,1]
	s_delay_alu instid0(VALU_DEP_2)
	v_pk_fma_f16 v44, v32, v34, v44 op_sel_hi:[1,0,1]
	v_pk_fma_f16 v206, v32, v38, v206 op_sel_hi:[1,0,1]
	v_add_co_u32 v32, vcc_lo, v19, s4
	v_add_co_ci_u32_e32 v33, vcc_lo, 0, v21, vcc_lo
	v_add_co_u32 v36, vcc_lo, v1, s4
	v_add_co_ci_u32_e32 v37, vcc_lo, 0, v18, vcc_lo
	global_load_b32 v32, v[32:33], off
	scratch_load_b32 v1, off, off offset:48 ; 4-byte Folded Reload
	global_load_b32 v36, v[36:37], off
	s_waitcnt vmcnt(0)
	v_ashrrev_i32_e32 v36, v202, v36
	s_delay_alu instid0(VALU_DEP_1) | instskip(SKIP_3) | instid1(VALU_DEP_4)
	v_lshrrev_b32_e32 v40, 8, v36
	v_and_b32_e32 v37, 15, v36
	v_lshrrev_b32_e32 v45, 16, v36
	v_bfe_u32 v36, v36, 24, 4
	v_and_b32_e32 v40, 15, v40
	s_delay_alu instid0(VALU_DEP_4) | instskip(NEXT) | instid1(VALU_DEP_4)
	v_cvt_f16_u16_e32 v33, v37
	v_and_b32_e32 v45, 15, v45
	s_delay_alu instid0(VALU_DEP_4) | instskip(NEXT) | instid1(VALU_DEP_4)
	v_cvt_f16_u16_e32 v36, v36
	v_cvt_f16_u16_e32 v37, v40
	s_delay_alu instid0(VALU_DEP_1) | instskip(NEXT) | instid1(VALU_DEP_4)
	v_pack_b32_f16 v33, v33, v37
	v_cvt_f16_u16_e32 v37, v45
	s_delay_alu instid0(VALU_DEP_2) | instskip(NEXT) | instid1(VALU_DEP_2)
	v_pk_fma_f16 v33, v32, v33, v32 op_sel:[0,0,1] op_sel_hi:[0,1,1]
	v_pack_b32_f16 v36, v37, v36
	s_delay_alu instid0(VALU_DEP_2) | instskip(NEXT) | instid1(VALU_DEP_2)
	v_pk_fma_f16 v41, v33, v34, v41 op_sel:[0,1,0]
	v_pk_fma_f16 v32, v32, v36, v32 op_sel:[0,0,1] op_sel_hi:[0,1,1]
	v_pk_fma_f16 v203, v33, v38, v203 op_sel:[0,1,0]
	s_delay_alu instid0(VALU_DEP_2)
	v_pk_fma_f16 v42, v32, v34, v42 op_sel:[0,1,0]
	v_pk_fma_f16 v204, v32, v38, v204 op_sel:[0,1,0]
	v_add_co_u32 v32, vcc_lo, v1, s4
	scratch_load_b32 v1, off, off offset:40 ; 4-byte Folded Reload
	v_add_co_ci_u32_e32 v33, vcc_lo, 0, v89, vcc_lo
	ds_store_b128 v124, v[41:44]
	ds_store_b128 v124, v[203:206] offset:16
	global_load_b32 v32, v[32:33], off
	s_waitcnt vmcnt(1)
	v_add_co_u32 v36, vcc_lo, v1, s4
	scratch_load_b32 v1, off, off offset:44 ; 4-byte Folded Reload
	s_waitcnt vmcnt(0)
	v_add_co_ci_u32_e32 v37, vcc_lo, 0, v1, vcc_lo
	v_mov_b32_e32 v1, v68
	global_load_b32 v36, v[36:37], off
	s_waitcnt vmcnt(0)
	v_ashrrev_i32_e32 v36, v202, v36
	s_delay_alu instid0(VALU_DEP_1) | instskip(SKIP_3) | instid1(VALU_DEP_4)
	v_lshrrev_b32_e32 v40, 8, v36
	v_and_b32_e32 v37, 15, v36
	v_lshrrev_b32_e32 v45, 16, v36
	v_bfe_u32 v36, v36, 24, 4
	v_and_b32_e32 v40, 15, v40
	s_delay_alu instid0(VALU_DEP_4) | instskip(NEXT) | instid1(VALU_DEP_4)
	v_cvt_f16_u16_e32 v33, v37
	v_and_b32_e32 v45, 15, v45
	s_delay_alu instid0(VALU_DEP_4) | instskip(NEXT) | instid1(VALU_DEP_4)
	v_cvt_f16_u16_e32 v36, v36
	v_cvt_f16_u16_e32 v37, v40
	s_delay_alu instid0(VALU_DEP_1) | instskip(NEXT) | instid1(VALU_DEP_4)
	v_pack_b32_f16 v33, v33, v37
	v_cvt_f16_u16_e32 v37, v45
	s_delay_alu instid0(VALU_DEP_2) | instskip(NEXT) | instid1(VALU_DEP_2)
	v_pk_fma_f16 v33, v32, v33, v32 op_sel:[0,0,1] op_sel_hi:[0,1,1]
	v_pack_b32_f16 v36, v37, v36
	s_delay_alu instid0(VALU_DEP_2) | instskip(NEXT) | instid1(VALU_DEP_2)
	v_pk_fma_f16 v46, v33, v34, v43 op_sel:[0,1,0]
	v_pk_fma_f16 v32, v32, v36, v32 op_sel:[0,0,1] op_sel_hi:[0,1,1]
	v_pk_fma_f16 v205, v33, v38, v205 op_sel:[0,1,0]
	s_delay_alu instid0(VALU_DEP_2)
	v_pk_fma_f16 v47, v32, v34, v44 op_sel:[0,1,0]
	v_pk_fma_f16 v206, v32, v38, v206 op_sel:[0,1,0]
	v_add_co_u32 v32, vcc_lo, v26, s4
	v_add_co_ci_u32_e32 v33, vcc_lo, 0, v27, vcc_lo
	v_add_co_u32 v36, vcc_lo, v86, s4
	v_add_co_ci_u32_e32 v37, vcc_lo, 0, v87, vcc_lo
	global_load_b32 v32, v[32:33], off
	global_load_b32 v34, v[36:37], off
	s_waitcnt vmcnt(0)
	v_ashrrev_i32_e32 v34, v202, v34
	s_delay_alu instid0(VALU_DEP_1) | instskip(SKIP_3) | instid1(VALU_DEP_4)
	v_lshrrev_b32_e32 v37, 8, v34
	v_and_b32_e32 v36, 15, v34
	v_lshrrev_b32_e32 v38, 16, v34
	v_bfe_u32 v34, v34, 24, 4
	v_and_b32_e32 v37, 15, v37
	s_delay_alu instid0(VALU_DEP_4) | instskip(NEXT) | instid1(VALU_DEP_4)
	v_cvt_f16_u16_e32 v33, v36
	v_and_b32_e32 v38, 15, v38
	s_delay_alu instid0(VALU_DEP_4) | instskip(NEXT) | instid1(VALU_DEP_4)
	v_cvt_f16_u16_e32 v34, v34
	v_cvt_f16_u16_e32 v36, v37
	s_delay_alu instid0(VALU_DEP_1) | instskip(NEXT) | instid1(VALU_DEP_4)
	v_pack_b32_f16 v33, v33, v36
	v_cvt_f16_u16_e32 v36, v38
	s_delay_alu instid0(VALU_DEP_2) | instskip(NEXT) | instid1(VALU_DEP_2)
	v_pk_fma_f16 v33, v32, v33, v32 op_sel:[0,0,1] op_sel_hi:[0,1,1]
	v_pack_b32_f16 v34, v36, v34
	s_delay_alu instid0(VALU_DEP_2) | instskip(NEXT) | instid1(VALU_DEP_2)
	v_pk_fma_f16 v44, v33, v35, v41 op_sel_hi:[1,0,1]
	v_pk_fma_f16 v32, v32, v34, v32 op_sel:[0,0,1] op_sel_hi:[0,1,1]
	v_pk_fma_f16 v203, v33, v39, v203 op_sel_hi:[1,0,1]
	s_delay_alu instid0(VALU_DEP_2)
	v_pk_fma_f16 v45, v32, v35, v42 op_sel_hi:[1,0,1]
	v_pk_fma_f16 v204, v32, v39, v204 op_sel_hi:[1,0,1]
	v_add_co_u32 v32, vcc_lo, v8, s4
	v_add_co_ci_u32_e32 v33, vcc_lo, 0, v85, vcc_lo
	v_add_co_u32 v36, vcc_lo, v73, s4
	v_add_co_ci_u32_e32 v37, vcc_lo, 0, v74, vcc_lo
	global_load_b32 v32, v[32:33], off
	ds_store_b128 v124, v[44:47]
	ds_store_b128 v124, v[203:206] offset:16
	global_load_b32 v34, v[36:37], off
	s_waitcnt vmcnt(0)
	v_ashrrev_i32_e32 v34, v202, v34
	s_delay_alu instid0(VALU_DEP_1) | instskip(SKIP_3) | instid1(VALU_DEP_4)
	v_lshrrev_b32_e32 v37, 8, v34
	v_and_b32_e32 v36, 15, v34
	v_lshrrev_b32_e32 v38, 16, v34
	v_bfe_u32 v34, v34, 24, 4
	v_and_b32_e32 v37, 15, v37
	s_delay_alu instid0(VALU_DEP_4) | instskip(NEXT) | instid1(VALU_DEP_4)
	v_cvt_f16_u16_e32 v33, v36
	v_and_b32_e32 v38, 15, v38
	s_delay_alu instid0(VALU_DEP_4) | instskip(NEXT) | instid1(VALU_DEP_4)
	v_cvt_f16_u16_e32 v34, v34
	v_cvt_f16_u16_e32 v36, v37
	s_delay_alu instid0(VALU_DEP_1) | instskip(NEXT) | instid1(VALU_DEP_4)
	v_pack_b32_f16 v33, v33, v36
	v_cvt_f16_u16_e32 v36, v38
	s_delay_alu instid0(VALU_DEP_2) | instskip(NEXT) | instid1(VALU_DEP_2)
	v_pk_fma_f16 v33, v32, v33, v32 op_sel:[0,0,1] op_sel_hi:[0,1,1]
	v_pack_b32_f16 v34, v36, v34
	s_delay_alu instid0(VALU_DEP_2) | instskip(NEXT) | instid1(VALU_DEP_2)
	v_pk_fma_f16 v46, v33, v35, v46 op_sel_hi:[1,0,1]
	v_pk_fma_f16 v32, v32, v34, v32 op_sel:[0,0,1] op_sel_hi:[0,1,1]
	v_pk_fma_f16 v42, v33, v39, v205 op_sel_hi:[1,0,1]
	s_delay_alu instid0(VALU_DEP_2)
	v_pk_fma_f16 v47, v32, v35, v47 op_sel_hi:[1,0,1]
	v_pk_fma_f16 v43, v32, v39, v206 op_sel_hi:[1,0,1]
	v_add_co_u32 v32, vcc_lo, v57, s4
	v_add_co_ci_u32_e32 v33, vcc_lo, 0, v72, vcc_lo
	v_add_co_u32 v36, vcc_lo, v75, s4
	v_add_co_ci_u32_e32 v37, vcc_lo, 0, v6, vcc_lo
	global_load_b32 v32, v[32:33], off
	global_load_b32 v34, v[36:37], off
	s_waitcnt vmcnt(0)
	v_ashrrev_i32_e32 v34, v202, v34
	s_delay_alu instid0(VALU_DEP_1) | instskip(SKIP_3) | instid1(VALU_DEP_4)
	v_lshrrev_b32_e32 v37, 8, v34
	v_and_b32_e32 v36, 15, v34
	v_lshrrev_b32_e32 v38, 16, v34
	v_bfe_u32 v34, v34, 24, 4
	v_and_b32_e32 v37, 15, v37
	s_delay_alu instid0(VALU_DEP_4) | instskip(NEXT) | instid1(VALU_DEP_4)
	v_cvt_f16_u16_e32 v33, v36
	v_and_b32_e32 v38, 15, v38
	s_delay_alu instid0(VALU_DEP_4) | instskip(NEXT) | instid1(VALU_DEP_4)
	v_cvt_f16_u16_e32 v34, v34
	v_cvt_f16_u16_e32 v36, v37
	s_delay_alu instid0(VALU_DEP_1) | instskip(NEXT) | instid1(VALU_DEP_4)
	v_pack_b32_f16 v33, v33, v36
	v_cvt_f16_u16_e32 v36, v38
	s_delay_alu instid0(VALU_DEP_2) | instskip(NEXT) | instid1(VALU_DEP_2)
	v_pk_fma_f16 v33, v32, v33, v32 op_sel:[0,0,1] op_sel_hi:[0,1,1]
	v_pack_b32_f16 v34, v36, v34
	s_delay_alu instid0(VALU_DEP_2) | instskip(NEXT) | instid1(VALU_DEP_2)
	v_pk_fma_f16 v44, v33, v35, v44 op_sel:[0,1,0]
	v_pk_fma_f16 v32, v32, v34, v32 op_sel:[0,0,1] op_sel_hi:[0,1,1]
	v_pk_fma_f16 v40, v33, v39, v203 op_sel:[0,1,0]
	s_delay_alu instid0(VALU_DEP_2)
	v_pk_fma_f16 v45, v32, v35, v45 op_sel:[0,1,0]
	v_pk_fma_f16 v41, v32, v39, v204 op_sel:[0,1,0]
	v_add_co_u32 v32, vcc_lo, v30, s4
	v_add_co_ci_u32_e32 v33, vcc_lo, 0, v52, vcc_lo
	v_add_co_u32 v36, vcc_lo, v3, s4
	v_add_co_ci_u32_e32 v37, vcc_lo, 0, v29, vcc_lo
	global_load_b32 v32, v[32:33], off
	v_add_co_u32 v116, vcc_lo, v63, s4
	global_load_b32 v34, v[36:37], off
	v_add_co_ci_u32_e32 v117, vcc_lo, 0, v1, vcc_lo
	v_add_co_u32 v203, vcc_lo, v23, s4
	v_add_co_ci_u32_e32 v204, vcc_lo, 0, v25, vcc_lo
	ds_store_b128 v124, v[44:47]
	ds_store_b128 v124, v[40:43] offset:16
	s_waitcnt vmcnt(0)
	v_ashrrev_i32_e32 v34, v202, v34
	s_delay_alu instid0(VALU_DEP_1) | instskip(SKIP_3) | instid1(VALU_DEP_4)
	v_lshrrev_b32_e32 v37, 8, v34
	v_and_b32_e32 v36, 15, v34
	v_lshrrev_b32_e32 v38, 16, v34
	v_bfe_u32 v34, v34, 24, 4
	v_and_b32_e32 v37, 15, v37
	s_delay_alu instid0(VALU_DEP_4) | instskip(NEXT) | instid1(VALU_DEP_4)
	v_cvt_f16_u16_e32 v33, v36
	v_and_b32_e32 v38, 15, v38
	s_delay_alu instid0(VALU_DEP_4) | instskip(NEXT) | instid1(VALU_DEP_4)
	v_cvt_f16_u16_e32 v34, v34
	v_cvt_f16_u16_e32 v36, v37
	s_delay_alu instid0(VALU_DEP_1) | instskip(NEXT) | instid1(VALU_DEP_4)
	v_pack_b32_f16 v33, v33, v36
	v_cvt_f16_u16_e32 v36, v38
	s_delay_alu instid0(VALU_DEP_2) | instskip(NEXT) | instid1(VALU_DEP_2)
	v_pk_fma_f16 v33, v32, v33, v32 op_sel:[0,0,1] op_sel_hi:[0,1,1]
	v_pack_b32_f16 v34, v36, v34
	s_delay_alu instid0(VALU_DEP_2) | instskip(NEXT) | instid1(VALU_DEP_2)
	v_pk_fma_f16 v46, v33, v35, v46 op_sel:[0,1,0]
	v_pk_fma_f16 v32, v32, v34, v32 op_sel:[0,0,1] op_sel_hi:[0,1,1]
	v_pk_fma_f16 v42, v33, v39, v42 op_sel:[0,1,0]
	s_delay_alu instid0(VALU_DEP_2)
	v_pk_fma_f16 v47, v32, v35, v47 op_sel:[0,1,0]
	v_pk_fma_f16 v43, v32, v39, v43 op_sel:[0,1,0]
	ds_load_b128 v[32:35], v48 offset:16
	ds_load_b128 v[36:39], v48 offset:272
	global_load_b32 v118, v[203:204], off
	global_load_b32 v116, v[116:117], off
	s_waitcnt vmcnt(1)
	v_ashrrev_i32_e32 v118, v202, v118
	s_delay_alu instid0(VALU_DEP_1) | instskip(SKIP_3) | instid1(VALU_DEP_4)
	v_lshrrev_b32_e32 v120, 8, v118
	v_and_b32_e32 v119, 15, v118
	v_lshrrev_b32_e32 v121, 16, v118
	v_bfe_u32 v118, v118, 24, 4
	v_and_b32_e32 v120, 15, v120
	s_delay_alu instid0(VALU_DEP_4) | instskip(NEXT) | instid1(VALU_DEP_4)
	v_cvt_f16_u16_e32 v117, v119
	v_and_b32_e32 v121, 15, v121
	s_delay_alu instid0(VALU_DEP_4) | instskip(NEXT) | instid1(VALU_DEP_4)
	v_cvt_f16_u16_e32 v118, v118
	v_cvt_f16_u16_e32 v119, v120
	s_delay_alu instid0(VALU_DEP_1) | instskip(NEXT) | instid1(VALU_DEP_4)
	v_pack_b32_f16 v117, v117, v119
	v_cvt_f16_u16_e32 v119, v121
	s_waitcnt vmcnt(0)
	s_delay_alu instid0(VALU_DEP_2) | instskip(NEXT) | instid1(VALU_DEP_2)
	v_pk_fma_f16 v117, v116, v117, v116 op_sel:[0,0,1] op_sel_hi:[0,1,1]
	v_pack_b32_f16 v118, v119, v118
	s_waitcnt lgkmcnt(1)
	s_delay_alu instid0(VALU_DEP_2) | instskip(NEXT) | instid1(VALU_DEP_2)
	v_pk_fma_f16 v44, v117, v32, v44 op_sel_hi:[1,0,1]
	v_pk_fma_f16 v116, v116, v118, v116 op_sel:[0,0,1] op_sel_hi:[0,1,1]
	s_waitcnt lgkmcnt(0)
	v_pk_fma_f16 v40, v117, v36, v40 op_sel_hi:[1,0,1]
	s_delay_alu instid0(VALU_DEP_2)
	v_pk_fma_f16 v45, v116, v32, v45 op_sel_hi:[1,0,1]
	v_pk_fma_f16 v41, v116, v36, v41 op_sel_hi:[1,0,1]
	v_add_co_u32 v116, vcc_lo, v9, s4
	scratch_load_b32 v9, off, off offset:776 ; 4-byte Folded Reload
	v_add_co_ci_u32_e32 v117, vcc_lo, 0, v22, vcc_lo
	v_add_co_u32 v203, vcc_lo, v58, s4
	ds_store_b128 v124, v[44:47]
	ds_store_b128 v124, v[40:43] offset:16
	global_load_b32 v116, v[116:117], off
	s_waitcnt vmcnt(1)
	v_add_co_ci_u32_e32 v204, vcc_lo, 0, v9, vcc_lo
	global_load_b32 v118, v[203:204], off
	s_waitcnt vmcnt(0)
	v_ashrrev_i32_e32 v118, v202, v118
	s_delay_alu instid0(VALU_DEP_1) | instskip(SKIP_3) | instid1(VALU_DEP_4)
	v_lshrrev_b32_e32 v120, 8, v118
	v_and_b32_e32 v119, 15, v118
	v_lshrrev_b32_e32 v121, 16, v118
	v_bfe_u32 v118, v118, 24, 4
	v_and_b32_e32 v120, 15, v120
	s_delay_alu instid0(VALU_DEP_4) | instskip(NEXT) | instid1(VALU_DEP_4)
	v_cvt_f16_u16_e32 v117, v119
	v_and_b32_e32 v121, 15, v121
	s_delay_alu instid0(VALU_DEP_4) | instskip(NEXT) | instid1(VALU_DEP_4)
	v_cvt_f16_u16_e32 v118, v118
	v_cvt_f16_u16_e32 v119, v120
	s_delay_alu instid0(VALU_DEP_1) | instskip(NEXT) | instid1(VALU_DEP_4)
	v_pack_b32_f16 v117, v117, v119
	v_cvt_f16_u16_e32 v119, v121
	s_delay_alu instid0(VALU_DEP_2) | instskip(NEXT) | instid1(VALU_DEP_2)
	v_pk_fma_f16 v117, v116, v117, v116 op_sel:[0,0,1] op_sel_hi:[0,1,1]
	v_pack_b32_f16 v118, v119, v118
	s_delay_alu instid0(VALU_DEP_2) | instskip(NEXT) | instid1(VALU_DEP_2)
	v_pk_fma_f16 v46, v117, v32, v46 op_sel_hi:[1,0,1]
	v_pk_fma_f16 v116, v116, v118, v116 op_sel:[0,0,1] op_sel_hi:[0,1,1]
	v_pk_fma_f16 v42, v117, v36, v42 op_sel_hi:[1,0,1]
	s_delay_alu instid0(VALU_DEP_2)
	v_pk_fma_f16 v47, v116, v32, v47 op_sel_hi:[1,0,1]
	v_pk_fma_f16 v43, v116, v36, v43 op_sel_hi:[1,0,1]
	v_add_co_u32 v116, vcc_lo, v51, s4
	v_add_co_ci_u32_e32 v117, vcc_lo, 0, v59, vcc_lo
	v_add_co_u32 v203, vcc_lo, v13, s4
	v_add_co_ci_u32_e32 v204, vcc_lo, 0, v60, vcc_lo
	global_load_b32 v116, v[116:117], off
	global_load_b32 v118, v[203:204], off
	s_waitcnt vmcnt(0)
	v_ashrrev_i32_e32 v118, v202, v118
	s_delay_alu instid0(VALU_DEP_1) | instskip(SKIP_3) | instid1(VALU_DEP_4)
	v_lshrrev_b32_e32 v120, 8, v118
	v_and_b32_e32 v119, 15, v118
	v_lshrrev_b32_e32 v121, 16, v118
	v_bfe_u32 v118, v118, 24, 4
	v_and_b32_e32 v120, 15, v120
	s_delay_alu instid0(VALU_DEP_4) | instskip(NEXT) | instid1(VALU_DEP_4)
	v_cvt_f16_u16_e32 v117, v119
	v_and_b32_e32 v121, 15, v121
	s_delay_alu instid0(VALU_DEP_4) | instskip(NEXT) | instid1(VALU_DEP_4)
	v_cvt_f16_u16_e32 v118, v118
	v_cvt_f16_u16_e32 v119, v120
	s_delay_alu instid0(VALU_DEP_1) | instskip(NEXT) | instid1(VALU_DEP_4)
	v_pack_b32_f16 v117, v117, v119
	v_cvt_f16_u16_e32 v119, v121
	s_delay_alu instid0(VALU_DEP_2) | instskip(NEXT) | instid1(VALU_DEP_2)
	v_pk_fma_f16 v117, v116, v117, v116 op_sel:[0,0,1] op_sel_hi:[0,1,1]
	v_pack_b32_f16 v118, v119, v118
	s_delay_alu instid0(VALU_DEP_2) | instskip(NEXT) | instid1(VALU_DEP_2)
	v_pk_fma_f16 v44, v117, v32, v44 op_sel:[0,1,0]
	v_pk_fma_f16 v116, v116, v118, v116 op_sel:[0,0,1] op_sel_hi:[0,1,1]
	v_pk_fma_f16 v40, v117, v36, v40 op_sel:[0,1,0]
	s_delay_alu instid0(VALU_DEP_2)
	v_pk_fma_f16 v45, v116, v32, v45 op_sel:[0,1,0]
	v_pk_fma_f16 v41, v116, v36, v41 op_sel:[0,1,0]
	v_add_co_u32 v116, vcc_lo, v55, s4
	v_add_co_ci_u32_e32 v117, vcc_lo, 0, v56, vcc_lo
	v_add_co_u32 v203, vcc_lo, v50, s4
	v_add_co_ci_u32_e32 v204, vcc_lo, 0, v53, vcc_lo
	global_load_b32 v116, v[116:117], off
	ds_store_b128 v124, v[44:47]
	ds_store_b128 v124, v[40:43] offset:16
	global_load_b32 v118, v[203:204], off
	s_waitcnt vmcnt(0)
	v_ashrrev_i32_e32 v118, v202, v118
	s_delay_alu instid0(VALU_DEP_1) | instskip(SKIP_3) | instid1(VALU_DEP_4)
	v_lshrrev_b32_e32 v120, 8, v118
	v_and_b32_e32 v119, 15, v118
	v_lshrrev_b32_e32 v121, 16, v118
	v_bfe_u32 v118, v118, 24, 4
	v_and_b32_e32 v120, 15, v120
	s_delay_alu instid0(VALU_DEP_4) | instskip(NEXT) | instid1(VALU_DEP_4)
	v_cvt_f16_u16_e32 v117, v119
	v_and_b32_e32 v121, 15, v121
	s_delay_alu instid0(VALU_DEP_4) | instskip(NEXT) | instid1(VALU_DEP_4)
	v_cvt_f16_u16_e32 v118, v118
	v_cvt_f16_u16_e32 v119, v120
	s_delay_alu instid0(VALU_DEP_1) | instskip(NEXT) | instid1(VALU_DEP_4)
	v_pack_b32_f16 v117, v117, v119
	v_cvt_f16_u16_e32 v119, v121
	s_delay_alu instid0(VALU_DEP_2) | instskip(NEXT) | instid1(VALU_DEP_2)
	v_pk_fma_f16 v117, v116, v117, v116 op_sel:[0,0,1] op_sel_hi:[0,1,1]
	v_pack_b32_f16 v118, v119, v118
	s_delay_alu instid0(VALU_DEP_2) | instskip(NEXT) | instid1(VALU_DEP_2)
	v_pk_fma_f16 v46, v117, v32, v46 op_sel:[0,1,0]
	v_pk_fma_f16 v116, v116, v118, v116 op_sel:[0,0,1] op_sel_hi:[0,1,1]
	v_pk_fma_f16 v42, v117, v36, v42 op_sel:[0,1,0]
	s_delay_alu instid0(VALU_DEP_2)
	v_pk_fma_f16 v47, v116, v32, v47 op_sel:[0,1,0]
	v_pk_fma_f16 v43, v116, v36, v43 op_sel:[0,1,0]
	v_add_co_u32 v116, vcc_lo, v113, s4
	v_add_co_ci_u32_e32 v117, vcc_lo, 0, v49, vcc_lo
	v_add_co_u32 v203, vcc_lo, v233, s4
	v_add_co_ci_u32_e32 v204, vcc_lo, 0, v235, vcc_lo
	global_load_b32 v116, v[116:117], off
	global_load_b32 v32, v[203:204], off
	s_waitcnt vmcnt(0)
	v_ashrrev_i32_e32 v32, v202, v32
	s_delay_alu instid0(VALU_DEP_1) | instskip(SKIP_3) | instid1(VALU_DEP_4)
	v_lshrrev_b32_e32 v118, 8, v32
	v_and_b32_e32 v36, 15, v32
	v_lshrrev_b32_e32 v119, 16, v32
	v_bfe_u32 v32, v32, 24, 4
	v_and_b32_e32 v118, 15, v118
	s_delay_alu instid0(VALU_DEP_4) | instskip(NEXT) | instid1(VALU_DEP_4)
	v_cvt_f16_u16_e32 v36, v36
	v_and_b32_e32 v119, 15, v119
	s_delay_alu instid0(VALU_DEP_4) | instskip(NEXT) | instid1(VALU_DEP_4)
	v_cvt_f16_u16_e32 v32, v32
	v_cvt_f16_u16_e32 v117, v118
	s_delay_alu instid0(VALU_DEP_1) | instskip(NEXT) | instid1(VALU_DEP_4)
	v_pack_b32_f16 v36, v36, v117
	v_cvt_f16_u16_e32 v117, v119
	s_delay_alu instid0(VALU_DEP_2) | instskip(NEXT) | instid1(VALU_DEP_2)
	v_pk_fma_f16 v36, v116, v36, v116 op_sel:[0,0,1] op_sel_hi:[0,1,1]
	v_pack_b32_f16 v32, v117, v32
	s_delay_alu instid0(VALU_DEP_2) | instskip(NEXT) | instid1(VALU_DEP_2)
	v_pk_fma_f16 v44, v36, v33, v44 op_sel_hi:[1,0,1]
	v_pk_fma_f16 v32, v116, v32, v116 op_sel:[0,0,1] op_sel_hi:[0,1,1]
	v_add_co_u32 v116, vcc_lo, v231, s4
	v_add_co_ci_u32_e32 v117, vcc_lo, 0, v232, vcc_lo
	v_add_co_u32 v203, vcc_lo, v229, s4
	v_add_co_ci_u32_e32 v204, vcc_lo, 0, v230, vcc_lo
	v_pk_fma_f16 v45, v32, v33, v45 op_sel_hi:[1,0,1]
	v_pk_fma_f16 v41, v32, v37, v41 op_sel_hi:[1,0,1]
	global_load_b32 v116, v[116:117], off
	global_load_b32 v32, v[203:204], off
	v_pk_fma_f16 v40, v36, v37, v40 op_sel_hi:[1,0,1]
	ds_store_b128 v124, v[44:47]
	ds_store_b128 v124, v[40:43] offset:16
	s_waitcnt vmcnt(0)
	v_ashrrev_i32_e32 v32, v202, v32
	s_delay_alu instid0(VALU_DEP_1) | instskip(SKIP_3) | instid1(VALU_DEP_4)
	v_lshrrev_b32_e32 v118, 8, v32
	v_and_b32_e32 v36, 15, v32
	v_lshrrev_b32_e32 v119, 16, v32
	v_bfe_u32 v32, v32, 24, 4
	v_and_b32_e32 v118, 15, v118
	s_delay_alu instid0(VALU_DEP_4) | instskip(NEXT) | instid1(VALU_DEP_4)
	v_cvt_f16_u16_e32 v36, v36
	v_and_b32_e32 v119, 15, v119
	s_delay_alu instid0(VALU_DEP_4) | instskip(NEXT) | instid1(VALU_DEP_4)
	v_cvt_f16_u16_e32 v32, v32
	v_cvt_f16_u16_e32 v117, v118
	s_delay_alu instid0(VALU_DEP_1) | instskip(NEXT) | instid1(VALU_DEP_4)
	v_pack_b32_f16 v36, v36, v117
	v_cvt_f16_u16_e32 v117, v119
	s_delay_alu instid0(VALU_DEP_2) | instskip(NEXT) | instid1(VALU_DEP_2)
	v_pk_fma_f16 v36, v116, v36, v116 op_sel:[0,0,1] op_sel_hi:[0,1,1]
	v_pack_b32_f16 v32, v117, v32
	s_delay_alu instid0(VALU_DEP_2) | instskip(NEXT) | instid1(VALU_DEP_2)
	v_pk_fma_f16 v46, v36, v33, v46 op_sel_hi:[1,0,1]
	v_pk_fma_f16 v32, v116, v32, v116 op_sel:[0,0,1] op_sel_hi:[0,1,1]
	v_add_co_u32 v116, vcc_lo, v227, s4
	v_add_co_ci_u32_e32 v117, vcc_lo, 0, v228, vcc_lo
	v_add_co_u32 v203, vcc_lo, v224, s4
	v_add_co_ci_u32_e32 v204, vcc_lo, 0, v226, vcc_lo
	v_pk_fma_f16 v47, v32, v33, v47 op_sel_hi:[1,0,1]
	v_pk_fma_f16 v43, v32, v37, v43 op_sel_hi:[1,0,1]
	global_load_b32 v116, v[116:117], off
	global_load_b32 v32, v[203:204], off
	v_pk_fma_f16 v42, v36, v37, v42 op_sel_hi:[1,0,1]
	s_waitcnt vmcnt(0)
	v_ashrrev_i32_e32 v32, v202, v32
	s_delay_alu instid0(VALU_DEP_1) | instskip(SKIP_3) | instid1(VALU_DEP_4)
	v_lshrrev_b32_e32 v118, 8, v32
	v_and_b32_e32 v36, 15, v32
	v_lshrrev_b32_e32 v119, 16, v32
	v_bfe_u32 v32, v32, 24, 4
	v_and_b32_e32 v118, 15, v118
	s_delay_alu instid0(VALU_DEP_4) | instskip(NEXT) | instid1(VALU_DEP_4)
	v_cvt_f16_u16_e32 v36, v36
	v_and_b32_e32 v119, 15, v119
	s_delay_alu instid0(VALU_DEP_4) | instskip(NEXT) | instid1(VALU_DEP_4)
	v_cvt_f16_u16_e32 v32, v32
	v_cvt_f16_u16_e32 v117, v118
	s_delay_alu instid0(VALU_DEP_1) | instskip(NEXT) | instid1(VALU_DEP_4)
	v_pack_b32_f16 v36, v36, v117
	v_cvt_f16_u16_e32 v117, v119
	s_delay_alu instid0(VALU_DEP_2) | instskip(NEXT) | instid1(VALU_DEP_2)
	v_pk_fma_f16 v36, v116, v36, v116 op_sel:[0,0,1] op_sel_hi:[0,1,1]
	v_pack_b32_f16 v32, v117, v32
	s_delay_alu instid0(VALU_DEP_2) | instskip(NEXT) | instid1(VALU_DEP_2)
	v_pk_fma_f16 v44, v36, v33, v44 op_sel:[0,1,0]
	v_pk_fma_f16 v32, v116, v32, v116 op_sel:[0,0,1] op_sel_hi:[0,1,1]
	v_add_co_u32 v116, vcc_lo, v222, s4
	v_add_co_ci_u32_e32 v117, vcc_lo, 0, v223, vcc_lo
	v_add_co_u32 v203, vcc_lo, v220, s4
	v_add_co_ci_u32_e32 v204, vcc_lo, 0, v221, vcc_lo
	v_pk_fma_f16 v45, v32, v33, v45 op_sel:[0,1,0]
	v_pk_fma_f16 v41, v32, v37, v41 op_sel:[0,1,0]
	global_load_b32 v116, v[116:117], off
	global_load_b32 v32, v[203:204], off
	v_pk_fma_f16 v40, v36, v37, v40 op_sel:[0,1,0]
	ds_store_b128 v124, v[44:47]
	ds_store_b128 v124, v[40:43] offset:16
	s_waitcnt vmcnt(0)
	v_ashrrev_i32_e32 v32, v202, v32
	s_delay_alu instid0(VALU_DEP_1) | instskip(SKIP_3) | instid1(VALU_DEP_4)
	v_lshrrev_b32_e32 v118, 8, v32
	v_and_b32_e32 v36, 15, v32
	v_lshrrev_b32_e32 v119, 16, v32
	v_bfe_u32 v32, v32, 24, 4
	v_and_b32_e32 v118, 15, v118
	s_delay_alu instid0(VALU_DEP_4) | instskip(NEXT) | instid1(VALU_DEP_4)
	v_cvt_f16_u16_e32 v36, v36
	v_and_b32_e32 v119, 15, v119
	s_delay_alu instid0(VALU_DEP_4) | instskip(NEXT) | instid1(VALU_DEP_4)
	v_cvt_f16_u16_e32 v32, v32
	v_cvt_f16_u16_e32 v117, v118
	s_delay_alu instid0(VALU_DEP_1) | instskip(NEXT) | instid1(VALU_DEP_4)
	v_pack_b32_f16 v36, v36, v117
	v_cvt_f16_u16_e32 v117, v119
	s_delay_alu instid0(VALU_DEP_2) | instskip(NEXT) | instid1(VALU_DEP_2)
	v_pk_fma_f16 v36, v116, v36, v116 op_sel:[0,0,1] op_sel_hi:[0,1,1]
	v_pack_b32_f16 v32, v117, v32
	s_delay_alu instid0(VALU_DEP_2) | instskip(NEXT) | instid1(VALU_DEP_2)
	v_pk_fma_f16 v46, v36, v33, v46 op_sel:[0,1,0]
	v_pk_fma_f16 v32, v116, v32, v116 op_sel:[0,0,1] op_sel_hi:[0,1,1]
	v_pk_fma_f16 v42, v36, v37, v42 op_sel:[0,1,0]
	s_delay_alu instid0(VALU_DEP_2)
	v_pk_fma_f16 v47, v32, v33, v47 op_sel:[0,1,0]
	v_pk_fma_f16 v43, v32, v37, v43 op_sel:[0,1,0]
	v_add_co_u32 v32, vcc_lo, v218, s4
	v_add_co_ci_u32_e32 v33, vcc_lo, 0, v219, vcc_lo
	v_add_co_u32 v36, vcc_lo, v216, s4
	v_add_co_ci_u32_e32 v37, vcc_lo, 0, v217, vcc_lo
	global_load_b32 v32, v[32:33], off
	global_load_b32 v36, v[36:37], off
	s_waitcnt vmcnt(0)
	v_ashrrev_i32_e32 v36, v202, v36
	s_delay_alu instid0(VALU_DEP_1) | instskip(SKIP_3) | instid1(VALU_DEP_4)
	v_lshrrev_b32_e32 v116, 8, v36
	v_and_b32_e32 v37, 15, v36
	v_lshrrev_b32_e32 v117, 16, v36
	v_bfe_u32 v36, v36, 24, 4
	v_and_b32_e32 v116, 15, v116
	s_delay_alu instid0(VALU_DEP_4) | instskip(NEXT) | instid1(VALU_DEP_4)
	v_cvt_f16_u16_e32 v33, v37
	v_and_b32_e32 v117, 15, v117
	s_delay_alu instid0(VALU_DEP_4) | instskip(NEXT) | instid1(VALU_DEP_4)
	v_cvt_f16_u16_e32 v36, v36
	v_cvt_f16_u16_e32 v37, v116
	s_delay_alu instid0(VALU_DEP_1) | instskip(NEXT) | instid1(VALU_DEP_4)
	v_pack_b32_f16 v33, v33, v37
	v_cvt_f16_u16_e32 v37, v117
	s_delay_alu instid0(VALU_DEP_2) | instskip(NEXT) | instid1(VALU_DEP_2)
	v_pk_fma_f16 v33, v32, v33, v32 op_sel:[0,0,1] op_sel_hi:[0,1,1]
	v_pack_b32_f16 v36, v37, v36
	s_delay_alu instid0(VALU_DEP_2) | instskip(NEXT) | instid1(VALU_DEP_2)
	v_pk_fma_f16 v44, v33, v34, v44 op_sel_hi:[1,0,1]
	v_pk_fma_f16 v32, v32, v36, v32 op_sel:[0,0,1] op_sel_hi:[0,1,1]
	v_pk_fma_f16 v40, v33, v38, v40 op_sel_hi:[1,0,1]
	s_delay_alu instid0(VALU_DEP_2)
	v_pk_fma_f16 v45, v32, v34, v45 op_sel_hi:[1,0,1]
	v_pk_fma_f16 v41, v32, v38, v41 op_sel_hi:[1,0,1]
	v_add_co_u32 v32, vcc_lo, v214, s4
	v_add_co_ci_u32_e32 v33, vcc_lo, 0, v215, vcc_lo
	v_add_co_u32 v36, vcc_lo, v212, s4
	v_add_co_ci_u32_e32 v37, vcc_lo, 0, v213, vcc_lo
	global_load_b32 v32, v[32:33], off
	ds_store_b128 v124, v[44:47]
	ds_store_b128 v124, v[40:43] offset:16
	global_load_b32 v36, v[36:37], off
	s_waitcnt vmcnt(0)
	v_ashrrev_i32_e32 v36, v202, v36
	s_delay_alu instid0(VALU_DEP_1) | instskip(SKIP_3) | instid1(VALU_DEP_4)
	v_lshrrev_b32_e32 v116, 8, v36
	v_and_b32_e32 v37, 15, v36
	v_lshrrev_b32_e32 v117, 16, v36
	v_bfe_u32 v36, v36, 24, 4
	v_and_b32_e32 v116, 15, v116
	s_delay_alu instid0(VALU_DEP_4) | instskip(NEXT) | instid1(VALU_DEP_4)
	v_cvt_f16_u16_e32 v33, v37
	v_and_b32_e32 v117, 15, v117
	s_delay_alu instid0(VALU_DEP_4) | instskip(NEXT) | instid1(VALU_DEP_4)
	v_cvt_f16_u16_e32 v36, v36
	v_cvt_f16_u16_e32 v37, v116
	s_delay_alu instid0(VALU_DEP_1) | instskip(NEXT) | instid1(VALU_DEP_4)
	v_pack_b32_f16 v33, v33, v37
	v_cvt_f16_u16_e32 v37, v117
	s_delay_alu instid0(VALU_DEP_2) | instskip(NEXT) | instid1(VALU_DEP_2)
	v_pk_fma_f16 v33, v32, v33, v32 op_sel:[0,0,1] op_sel_hi:[0,1,1]
	v_pack_b32_f16 v36, v37, v36
	s_delay_alu instid0(VALU_DEP_2) | instskip(NEXT) | instid1(VALU_DEP_2)
	v_pk_fma_f16 v46, v33, v34, v46 op_sel_hi:[1,0,1]
	v_pk_fma_f16 v32, v32, v36, v32 op_sel:[0,0,1] op_sel_hi:[0,1,1]
	v_pk_fma_f16 v42, v33, v38, v42 op_sel_hi:[1,0,1]
	s_delay_alu instid0(VALU_DEP_2)
	v_pk_fma_f16 v47, v32, v34, v47 op_sel_hi:[1,0,1]
	v_pk_fma_f16 v43, v32, v38, v43 op_sel_hi:[1,0,1]
	v_add_co_u32 v32, vcc_lo, v210, s4
	v_add_co_ci_u32_e32 v33, vcc_lo, 0, v211, vcc_lo
	v_add_co_u32 v36, vcc_lo, v208, s4
	v_add_co_ci_u32_e32 v37, vcc_lo, 0, v209, vcc_lo
	global_load_b32 v32, v[32:33], off
	global_load_b32 v36, v[36:37], off
	s_waitcnt vmcnt(0)
	v_ashrrev_i32_e32 v36, v202, v36
	s_delay_alu instid0(VALU_DEP_1) | instskip(SKIP_3) | instid1(VALU_DEP_4)
	v_lshrrev_b32_e32 v116, 8, v36
	v_and_b32_e32 v37, 15, v36
	v_lshrrev_b32_e32 v117, 16, v36
	v_bfe_u32 v36, v36, 24, 4
	v_and_b32_e32 v116, 15, v116
	s_delay_alu instid0(VALU_DEP_4) | instskip(NEXT) | instid1(VALU_DEP_4)
	v_cvt_f16_u16_e32 v33, v37
	v_and_b32_e32 v117, 15, v117
	s_delay_alu instid0(VALU_DEP_4) | instskip(NEXT) | instid1(VALU_DEP_4)
	v_cvt_f16_u16_e32 v36, v36
	v_cvt_f16_u16_e32 v37, v116
	s_delay_alu instid0(VALU_DEP_1) | instskip(NEXT) | instid1(VALU_DEP_4)
	v_pack_b32_f16 v33, v33, v37
	v_cvt_f16_u16_e32 v37, v117
	s_delay_alu instid0(VALU_DEP_2) | instskip(NEXT) | instid1(VALU_DEP_2)
	v_pk_fma_f16 v33, v32, v33, v32 op_sel:[0,0,1] op_sel_hi:[0,1,1]
	v_pack_b32_f16 v36, v37, v36
	s_delay_alu instid0(VALU_DEP_2) | instskip(NEXT) | instid1(VALU_DEP_2)
	v_pk_fma_f16 v44, v33, v34, v44 op_sel:[0,1,0]
	v_pk_fma_f16 v32, v32, v36, v32 op_sel:[0,0,1] op_sel_hi:[0,1,1]
	v_pk_fma_f16 v40, v33, v38, v40 op_sel:[0,1,0]
	s_delay_alu instid0(VALU_DEP_2)
	v_pk_fma_f16 v45, v32, v34, v45 op_sel:[0,1,0]
	v_pk_fma_f16 v41, v32, v38, v41 op_sel:[0,1,0]
	v_add_co_u32 v32, vcc_lo, v200, s4
	v_add_co_ci_u32_e32 v33, vcc_lo, 0, v201, vcc_lo
	v_add_co_u32 v36, vcc_lo, v198, s4
	v_add_co_ci_u32_e32 v37, vcc_lo, 0, v199, vcc_lo
	global_load_b32 v32, v[32:33], off
	ds_store_b128 v124, v[44:47]
	ds_store_b128 v124, v[40:43] offset:16
	global_load_b32 v36, v[36:37], off
	s_waitcnt vmcnt(0)
	v_ashrrev_i32_e32 v36, v202, v36
	s_delay_alu instid0(VALU_DEP_1) | instskip(SKIP_3) | instid1(VALU_DEP_4)
	v_lshrrev_b32_e32 v116, 8, v36
	v_and_b32_e32 v37, 15, v36
	v_lshrrev_b32_e32 v117, 16, v36
	v_bfe_u32 v36, v36, 24, 4
	v_and_b32_e32 v116, 15, v116
	s_delay_alu instid0(VALU_DEP_4) | instskip(NEXT) | instid1(VALU_DEP_4)
	v_cvt_f16_u16_e32 v33, v37
	v_and_b32_e32 v117, 15, v117
	s_delay_alu instid0(VALU_DEP_4) | instskip(NEXT) | instid1(VALU_DEP_4)
	v_cvt_f16_u16_e32 v36, v36
	v_cvt_f16_u16_e32 v37, v116
	s_delay_alu instid0(VALU_DEP_1) | instskip(NEXT) | instid1(VALU_DEP_4)
	v_pack_b32_f16 v33, v33, v37
	v_cvt_f16_u16_e32 v37, v117
	s_delay_alu instid0(VALU_DEP_2) | instskip(NEXT) | instid1(VALU_DEP_2)
	v_pk_fma_f16 v33, v32, v33, v32 op_sel:[0,0,1] op_sel_hi:[0,1,1]
	v_pack_b32_f16 v36, v37, v36
	s_delay_alu instid0(VALU_DEP_2) | instskip(NEXT) | instid1(VALU_DEP_2)
	v_pk_fma_f16 v46, v33, v34, v46 op_sel:[0,1,0]
	v_pk_fma_f16 v32, v32, v36, v32 op_sel:[0,0,1] op_sel_hi:[0,1,1]
	v_pk_fma_f16 v42, v33, v38, v42 op_sel:[0,1,0]
	s_delay_alu instid0(VALU_DEP_2)
	v_pk_fma_f16 v47, v32, v34, v47 op_sel:[0,1,0]
	v_pk_fma_f16 v43, v32, v38, v43 op_sel:[0,1,0]
	v_add_co_u32 v32, vcc_lo, v196, s4
	v_add_co_ci_u32_e32 v33, vcc_lo, 0, v197, vcc_lo
	v_add_co_u32 v36, vcc_lo, v194, s4
	v_add_co_ci_u32_e32 v37, vcc_lo, 0, v195, vcc_lo
	global_load_b32 v32, v[32:33], off
	global_load_b32 v34, v[36:37], off
	s_waitcnt vmcnt(0)
	v_ashrrev_i32_e32 v34, v202, v34
	s_delay_alu instid0(VALU_DEP_1) | instskip(SKIP_3) | instid1(VALU_DEP_4)
	v_lshrrev_b32_e32 v37, 8, v34
	v_and_b32_e32 v36, 15, v34
	v_lshrrev_b32_e32 v38, 16, v34
	v_bfe_u32 v34, v34, 24, 4
	v_and_b32_e32 v37, 15, v37
	s_delay_alu instid0(VALU_DEP_4) | instskip(NEXT) | instid1(VALU_DEP_4)
	v_cvt_f16_u16_e32 v33, v36
	v_and_b32_e32 v38, 15, v38
	s_delay_alu instid0(VALU_DEP_4) | instskip(NEXT) | instid1(VALU_DEP_4)
	v_cvt_f16_u16_e32 v34, v34
	v_cvt_f16_u16_e32 v36, v37
	s_delay_alu instid0(VALU_DEP_1) | instskip(NEXT) | instid1(VALU_DEP_4)
	v_pack_b32_f16 v33, v33, v36
	v_cvt_f16_u16_e32 v36, v38
	s_delay_alu instid0(VALU_DEP_2) | instskip(NEXT) | instid1(VALU_DEP_2)
	v_pk_fma_f16 v33, v32, v33, v32 op_sel:[0,0,1] op_sel_hi:[0,1,1]
	v_pack_b32_f16 v34, v36, v34
	s_delay_alu instid0(VALU_DEP_2) | instskip(NEXT) | instid1(VALU_DEP_2)
	v_pk_fma_f16 v44, v33, v35, v44 op_sel_hi:[1,0,1]
	v_pk_fma_f16 v32, v32, v34, v32 op_sel:[0,0,1] op_sel_hi:[0,1,1]
	v_pk_fma_f16 v40, v33, v39, v40 op_sel_hi:[1,0,1]
	s_delay_alu instid0(VALU_DEP_2)
	v_pk_fma_f16 v45, v32, v35, v45 op_sel_hi:[1,0,1]
	v_pk_fma_f16 v41, v32, v39, v41 op_sel_hi:[1,0,1]
	v_add_co_u32 v32, vcc_lo, v192, s4
	v_add_co_ci_u32_e32 v33, vcc_lo, 0, v193, vcc_lo
	v_add_co_u32 v36, vcc_lo, v190, s4
	v_add_co_ci_u32_e32 v37, vcc_lo, 0, v191, vcc_lo
	global_load_b32 v32, v[32:33], off
	ds_store_b128 v124, v[44:47]
	ds_store_b128 v124, v[40:43] offset:16
	global_load_b32 v34, v[36:37], off
	s_waitcnt vmcnt(0)
	v_ashrrev_i32_e32 v34, v202, v34
	s_delay_alu instid0(VALU_DEP_1) | instskip(SKIP_3) | instid1(VALU_DEP_4)
	v_lshrrev_b32_e32 v37, 8, v34
	v_and_b32_e32 v36, 15, v34
	v_lshrrev_b32_e32 v38, 16, v34
	v_bfe_u32 v34, v34, 24, 4
	v_and_b32_e32 v37, 15, v37
	s_delay_alu instid0(VALU_DEP_4) | instskip(NEXT) | instid1(VALU_DEP_4)
	v_cvt_f16_u16_e32 v33, v36
	v_and_b32_e32 v38, 15, v38
	s_delay_alu instid0(VALU_DEP_4) | instskip(NEXT) | instid1(VALU_DEP_4)
	v_cvt_f16_u16_e32 v34, v34
	v_cvt_f16_u16_e32 v36, v37
	s_delay_alu instid0(VALU_DEP_1) | instskip(NEXT) | instid1(VALU_DEP_4)
	v_pack_b32_f16 v33, v33, v36
	v_cvt_f16_u16_e32 v36, v38
	s_delay_alu instid0(VALU_DEP_2) | instskip(NEXT) | instid1(VALU_DEP_2)
	v_pk_fma_f16 v33, v32, v33, v32 op_sel:[0,0,1] op_sel_hi:[0,1,1]
	v_pack_b32_f16 v34, v36, v34
	s_delay_alu instid0(VALU_DEP_2) | instskip(NEXT) | instid1(VALU_DEP_2)
	v_pk_fma_f16 v46, v33, v35, v46 op_sel_hi:[1,0,1]
	v_pk_fma_f16 v32, v32, v34, v32 op_sel:[0,0,1] op_sel_hi:[0,1,1]
	v_pk_fma_f16 v42, v33, v39, v42 op_sel_hi:[1,0,1]
	s_delay_alu instid0(VALU_DEP_2)
	v_pk_fma_f16 v47, v32, v35, v47 op_sel_hi:[1,0,1]
	v_pk_fma_f16 v43, v32, v39, v43 op_sel_hi:[1,0,1]
	v_add_co_u32 v32, vcc_lo, v188, s4
	v_add_co_ci_u32_e32 v33, vcc_lo, 0, v189, vcc_lo
	v_add_co_u32 v36, vcc_lo, v186, s4
	v_add_co_ci_u32_e32 v37, vcc_lo, 0, v187, vcc_lo
	global_load_b32 v32, v[32:33], off
	global_load_b32 v34, v[36:37], off
	s_waitcnt vmcnt(0)
	v_ashrrev_i32_e32 v34, v202, v34
	s_delay_alu instid0(VALU_DEP_1) | instskip(SKIP_3) | instid1(VALU_DEP_4)
	v_lshrrev_b32_e32 v37, 8, v34
	v_and_b32_e32 v36, 15, v34
	v_lshrrev_b32_e32 v38, 16, v34
	v_bfe_u32 v34, v34, 24, 4
	v_and_b32_e32 v37, 15, v37
	s_delay_alu instid0(VALU_DEP_4) | instskip(NEXT) | instid1(VALU_DEP_4)
	v_cvt_f16_u16_e32 v33, v36
	v_and_b32_e32 v38, 15, v38
	s_delay_alu instid0(VALU_DEP_4) | instskip(NEXT) | instid1(VALU_DEP_4)
	v_cvt_f16_u16_e32 v34, v34
	v_cvt_f16_u16_e32 v36, v37
	s_delay_alu instid0(VALU_DEP_1) | instskip(NEXT) | instid1(VALU_DEP_4)
	v_pack_b32_f16 v33, v33, v36
	v_cvt_f16_u16_e32 v36, v38
	s_delay_alu instid0(VALU_DEP_2) | instskip(NEXT) | instid1(VALU_DEP_2)
	v_pk_fma_f16 v33, v32, v33, v32 op_sel:[0,0,1] op_sel_hi:[0,1,1]
	v_pack_b32_f16 v34, v36, v34
	s_delay_alu instid0(VALU_DEP_2) | instskip(NEXT) | instid1(VALU_DEP_2)
	v_pk_fma_f16 v44, v33, v35, v44 op_sel:[0,1,0]
	v_pk_fma_f16 v32, v32, v34, v32 op_sel:[0,0,1] op_sel_hi:[0,1,1]
	v_pk_fma_f16 v40, v33, v39, v40 op_sel:[0,1,0]
	s_delay_alu instid0(VALU_DEP_2)
	v_pk_fma_f16 v45, v32, v35, v45 op_sel:[0,1,0]
	v_pk_fma_f16 v41, v32, v39, v41 op_sel:[0,1,0]
	v_add_co_u32 v32, vcc_lo, v184, s4
	v_add_co_ci_u32_e32 v33, vcc_lo, 0, v185, vcc_lo
	v_add_co_u32 v36, vcc_lo, v182, s4
	v_add_co_ci_u32_e32 v37, vcc_lo, 0, v183, vcc_lo
	global_load_b32 v32, v[32:33], off
	v_add_co_u32 v116, vcc_lo, v180, s4
	global_load_b32 v34, v[36:37], off
	v_add_co_ci_u32_e32 v117, vcc_lo, 0, v181, vcc_lo
	v_add_co_u32 v203, vcc_lo, v178, s4
	v_add_co_ci_u32_e32 v204, vcc_lo, 0, v179, vcc_lo
	ds_store_b128 v124, v[44:47]
	ds_store_b128 v124, v[40:43] offset:16
	s_waitcnt vmcnt(0)
	v_ashrrev_i32_e32 v34, v202, v34
	s_delay_alu instid0(VALU_DEP_1) | instskip(SKIP_3) | instid1(VALU_DEP_4)
	v_lshrrev_b32_e32 v37, 8, v34
	v_and_b32_e32 v36, 15, v34
	v_lshrrev_b32_e32 v38, 16, v34
	v_bfe_u32 v34, v34, 24, 4
	v_and_b32_e32 v37, 15, v37
	s_delay_alu instid0(VALU_DEP_4) | instskip(NEXT) | instid1(VALU_DEP_4)
	v_cvt_f16_u16_e32 v33, v36
	v_and_b32_e32 v38, 15, v38
	s_delay_alu instid0(VALU_DEP_4) | instskip(NEXT) | instid1(VALU_DEP_4)
	v_cvt_f16_u16_e32 v34, v34
	v_cvt_f16_u16_e32 v36, v37
	s_delay_alu instid0(VALU_DEP_1) | instskip(NEXT) | instid1(VALU_DEP_4)
	v_pack_b32_f16 v33, v33, v36
	v_cvt_f16_u16_e32 v36, v38
	s_delay_alu instid0(VALU_DEP_2) | instskip(NEXT) | instid1(VALU_DEP_2)
	v_pk_fma_f16 v33, v32, v33, v32 op_sel:[0,0,1] op_sel_hi:[0,1,1]
	v_pack_b32_f16 v34, v36, v34
	s_delay_alu instid0(VALU_DEP_2) | instskip(NEXT) | instid1(VALU_DEP_2)
	v_pk_fma_f16 v46, v33, v35, v46 op_sel:[0,1,0]
	v_pk_fma_f16 v32, v32, v34, v32 op_sel:[0,0,1] op_sel_hi:[0,1,1]
	v_pk_fma_f16 v42, v33, v39, v42 op_sel:[0,1,0]
	s_delay_alu instid0(VALU_DEP_2)
	v_pk_fma_f16 v47, v32, v35, v47 op_sel:[0,1,0]
	v_pk_fma_f16 v43, v32, v39, v43 op_sel:[0,1,0]
	ds_load_b128 v[32:35], v48 offset:32
	ds_load_b128 v[36:39], v48 offset:288
	global_load_b32 v118, v[203:204], off
	global_load_b32 v116, v[116:117], off
	s_clause 0x4
	scratch_load_b32 v142, off, off offset:580
	scratch_load_b32 v133, off, off offset:1028
	;; [unrolled: 1-line block ×5, first 2 shown]
	s_waitcnt vmcnt(6)
	v_ashrrev_i32_e32 v118, v202, v118
	s_delay_alu instid0(VALU_DEP_1) | instskip(SKIP_3) | instid1(VALU_DEP_4)
	v_lshrrev_b32_e32 v120, 8, v118
	v_and_b32_e32 v119, 15, v118
	v_lshrrev_b32_e32 v121, 16, v118
	v_bfe_u32 v118, v118, 24, 4
	v_and_b32_e32 v120, 15, v120
	s_delay_alu instid0(VALU_DEP_4) | instskip(NEXT) | instid1(VALU_DEP_4)
	v_cvt_f16_u16_e32 v117, v119
	v_and_b32_e32 v121, 15, v121
	s_delay_alu instid0(VALU_DEP_4) | instskip(NEXT) | instid1(VALU_DEP_4)
	v_cvt_f16_u16_e32 v118, v118
	v_cvt_f16_u16_e32 v119, v120
	s_delay_alu instid0(VALU_DEP_1) | instskip(NEXT) | instid1(VALU_DEP_4)
	v_pack_b32_f16 v117, v117, v119
	v_cvt_f16_u16_e32 v119, v121
	s_waitcnt vmcnt(5)
	s_delay_alu instid0(VALU_DEP_2) | instskip(NEXT) | instid1(VALU_DEP_2)
	v_pk_fma_f16 v117, v116, v117, v116 op_sel:[0,0,1] op_sel_hi:[0,1,1]
	v_pack_b32_f16 v118, v119, v118
	s_waitcnt lgkmcnt(1)
	s_delay_alu instid0(VALU_DEP_2) | instskip(NEXT) | instid1(VALU_DEP_2)
	v_pk_fma_f16 v44, v117, v32, v44 op_sel_hi:[1,0,1]
	v_pk_fma_f16 v116, v116, v118, v116 op_sel:[0,0,1] op_sel_hi:[0,1,1]
	s_waitcnt lgkmcnt(0)
	v_pk_fma_f16 v40, v117, v36, v40 op_sel_hi:[1,0,1]
	s_delay_alu instid0(VALU_DEP_2)
	v_pk_fma_f16 v45, v116, v32, v45 op_sel_hi:[1,0,1]
	v_pk_fma_f16 v41, v116, v36, v41 op_sel_hi:[1,0,1]
	v_add_co_u32 v116, vcc_lo, v176, s4
	v_add_co_ci_u32_e32 v117, vcc_lo, 0, v177, vcc_lo
	v_add_co_u32 v203, vcc_lo, v174, s4
	v_add_co_ci_u32_e32 v204, vcc_lo, 0, v175, vcc_lo
	global_load_b32 v116, v[116:117], off
	ds_store_b128 v124, v[44:47]
	ds_store_b128 v124, v[40:43] offset:16
	global_load_b32 v118, v[203:204], off
	s_waitcnt vmcnt(0)
	v_ashrrev_i32_e32 v118, v202, v118
	s_delay_alu instid0(VALU_DEP_1) | instskip(SKIP_3) | instid1(VALU_DEP_4)
	v_lshrrev_b32_e32 v120, 8, v118
	v_and_b32_e32 v119, 15, v118
	v_lshrrev_b32_e32 v121, 16, v118
	v_bfe_u32 v118, v118, 24, 4
	v_and_b32_e32 v120, 15, v120
	s_delay_alu instid0(VALU_DEP_4) | instskip(NEXT) | instid1(VALU_DEP_4)
	v_cvt_f16_u16_e32 v117, v119
	v_and_b32_e32 v121, 15, v121
	s_delay_alu instid0(VALU_DEP_4) | instskip(NEXT) | instid1(VALU_DEP_4)
	v_cvt_f16_u16_e32 v118, v118
	v_cvt_f16_u16_e32 v119, v120
	s_delay_alu instid0(VALU_DEP_1) | instskip(NEXT) | instid1(VALU_DEP_4)
	v_pack_b32_f16 v117, v117, v119
	v_cvt_f16_u16_e32 v119, v121
	s_delay_alu instid0(VALU_DEP_2) | instskip(NEXT) | instid1(VALU_DEP_2)
	v_pk_fma_f16 v117, v116, v117, v116 op_sel:[0,0,1] op_sel_hi:[0,1,1]
	v_pack_b32_f16 v118, v119, v118
	s_delay_alu instid0(VALU_DEP_2) | instskip(NEXT) | instid1(VALU_DEP_2)
	v_pk_fma_f16 v46, v117, v32, v46 op_sel_hi:[1,0,1]
	v_pk_fma_f16 v116, v116, v118, v116 op_sel:[0,0,1] op_sel_hi:[0,1,1]
	v_pk_fma_f16 v42, v117, v36, v42 op_sel_hi:[1,0,1]
	s_delay_alu instid0(VALU_DEP_2)
	v_pk_fma_f16 v47, v116, v32, v47 op_sel_hi:[1,0,1]
	v_pk_fma_f16 v43, v116, v36, v43 op_sel_hi:[1,0,1]
	v_add_co_u32 v116, vcc_lo, v172, s4
	v_add_co_ci_u32_e32 v117, vcc_lo, 0, v173, vcc_lo
	v_add_co_u32 v203, vcc_lo, v170, s4
	v_add_co_ci_u32_e32 v204, vcc_lo, 0, v171, vcc_lo
	global_load_b32 v116, v[116:117], off
	global_load_b32 v118, v[203:204], off
	s_waitcnt vmcnt(0)
	v_ashrrev_i32_e32 v118, v202, v118
	s_delay_alu instid0(VALU_DEP_1) | instskip(SKIP_3) | instid1(VALU_DEP_4)
	v_lshrrev_b32_e32 v120, 8, v118
	v_and_b32_e32 v119, 15, v118
	v_lshrrev_b32_e32 v121, 16, v118
	v_bfe_u32 v118, v118, 24, 4
	v_and_b32_e32 v120, 15, v120
	s_delay_alu instid0(VALU_DEP_4) | instskip(NEXT) | instid1(VALU_DEP_4)
	v_cvt_f16_u16_e32 v117, v119
	v_and_b32_e32 v121, 15, v121
	s_delay_alu instid0(VALU_DEP_4) | instskip(NEXT) | instid1(VALU_DEP_4)
	v_cvt_f16_u16_e32 v118, v118
	v_cvt_f16_u16_e32 v119, v120
	s_delay_alu instid0(VALU_DEP_1) | instskip(NEXT) | instid1(VALU_DEP_4)
	v_pack_b32_f16 v117, v117, v119
	v_cvt_f16_u16_e32 v119, v121
	s_delay_alu instid0(VALU_DEP_2) | instskip(NEXT) | instid1(VALU_DEP_2)
	v_pk_fma_f16 v117, v116, v117, v116 op_sel:[0,0,1] op_sel_hi:[0,1,1]
	v_pack_b32_f16 v118, v119, v118
	s_delay_alu instid0(VALU_DEP_2) | instskip(NEXT) | instid1(VALU_DEP_2)
	v_pk_fma_f16 v44, v117, v32, v44 op_sel:[0,1,0]
	v_pk_fma_f16 v116, v116, v118, v116 op_sel:[0,0,1] op_sel_hi:[0,1,1]
	v_pk_fma_f16 v40, v117, v36, v40 op_sel:[0,1,0]
	s_delay_alu instid0(VALU_DEP_2)
	v_pk_fma_f16 v45, v116, v32, v45 op_sel:[0,1,0]
	v_pk_fma_f16 v41, v116, v36, v41 op_sel:[0,1,0]
	v_add_co_u32 v116, vcc_lo, v168, s4
	v_add_co_ci_u32_e32 v117, vcc_lo, 0, v169, vcc_lo
	v_add_co_u32 v203, vcc_lo, v166, s4
	v_add_co_ci_u32_e32 v204, vcc_lo, 0, v167, vcc_lo
	global_load_b32 v116, v[116:117], off
	ds_store_b128 v124, v[44:47]
	ds_store_b128 v124, v[40:43] offset:16
	global_load_b32 v118, v[203:204], off
	s_waitcnt vmcnt(0)
	v_ashrrev_i32_e32 v118, v202, v118
	s_delay_alu instid0(VALU_DEP_1) | instskip(SKIP_3) | instid1(VALU_DEP_4)
	v_lshrrev_b32_e32 v120, 8, v118
	v_and_b32_e32 v119, 15, v118
	v_lshrrev_b32_e32 v121, 16, v118
	v_bfe_u32 v118, v118, 24, 4
	v_and_b32_e32 v120, 15, v120
	s_delay_alu instid0(VALU_DEP_4) | instskip(NEXT) | instid1(VALU_DEP_4)
	v_cvt_f16_u16_e32 v117, v119
	v_and_b32_e32 v121, 15, v121
	s_delay_alu instid0(VALU_DEP_4) | instskip(NEXT) | instid1(VALU_DEP_4)
	v_cvt_f16_u16_e32 v118, v118
	v_cvt_f16_u16_e32 v119, v120
	s_delay_alu instid0(VALU_DEP_1) | instskip(NEXT) | instid1(VALU_DEP_4)
	v_pack_b32_f16 v117, v117, v119
	v_cvt_f16_u16_e32 v119, v121
	s_delay_alu instid0(VALU_DEP_2) | instskip(NEXT) | instid1(VALU_DEP_2)
	v_pk_fma_f16 v117, v116, v117, v116 op_sel:[0,0,1] op_sel_hi:[0,1,1]
	v_pack_b32_f16 v118, v119, v118
	s_delay_alu instid0(VALU_DEP_2) | instskip(NEXT) | instid1(VALU_DEP_2)
	v_pk_fma_f16 v46, v117, v32, v46 op_sel:[0,1,0]
	v_pk_fma_f16 v116, v116, v118, v116 op_sel:[0,0,1] op_sel_hi:[0,1,1]
	v_pk_fma_f16 v42, v117, v36, v42 op_sel:[0,1,0]
	s_delay_alu instid0(VALU_DEP_2)
	v_pk_fma_f16 v47, v116, v32, v47 op_sel:[0,1,0]
	v_pk_fma_f16 v43, v116, v36, v43 op_sel:[0,1,0]
	v_add_co_u32 v116, vcc_lo, v164, s4
	v_add_co_ci_u32_e32 v117, vcc_lo, 0, v165, vcc_lo
	v_add_co_u32 v203, vcc_lo, v162, s4
	v_add_co_ci_u32_e32 v204, vcc_lo, 0, v163, vcc_lo
	global_load_b32 v116, v[116:117], off
	global_load_b32 v32, v[203:204], off
	s_waitcnt vmcnt(0)
	v_ashrrev_i32_e32 v32, v202, v32
	s_delay_alu instid0(VALU_DEP_1) | instskip(SKIP_3) | instid1(VALU_DEP_4)
	v_lshrrev_b32_e32 v118, 8, v32
	v_and_b32_e32 v36, 15, v32
	v_lshrrev_b32_e32 v119, 16, v32
	v_bfe_u32 v32, v32, 24, 4
	v_and_b32_e32 v118, 15, v118
	s_delay_alu instid0(VALU_DEP_4) | instskip(NEXT) | instid1(VALU_DEP_4)
	v_cvt_f16_u16_e32 v36, v36
	v_and_b32_e32 v119, 15, v119
	s_delay_alu instid0(VALU_DEP_4) | instskip(NEXT) | instid1(VALU_DEP_4)
	v_cvt_f16_u16_e32 v32, v32
	v_cvt_f16_u16_e32 v117, v118
	s_delay_alu instid0(VALU_DEP_1) | instskip(NEXT) | instid1(VALU_DEP_4)
	v_pack_b32_f16 v36, v36, v117
	v_cvt_f16_u16_e32 v117, v119
	s_delay_alu instid0(VALU_DEP_2) | instskip(NEXT) | instid1(VALU_DEP_2)
	v_pk_fma_f16 v36, v116, v36, v116 op_sel:[0,0,1] op_sel_hi:[0,1,1]
	v_pack_b32_f16 v32, v117, v32
	s_delay_alu instid0(VALU_DEP_2) | instskip(NEXT) | instid1(VALU_DEP_2)
	v_pk_fma_f16 v44, v36, v33, v44 op_sel_hi:[1,0,1]
	v_pk_fma_f16 v32, v116, v32, v116 op_sel:[0,0,1] op_sel_hi:[0,1,1]
	v_add_co_u32 v116, vcc_lo, v160, s4
	v_add_co_ci_u32_e32 v117, vcc_lo, 0, v161, vcc_lo
	v_add_co_u32 v203, vcc_lo, v158, s4
	v_add_co_ci_u32_e32 v204, vcc_lo, 0, v159, vcc_lo
	v_pk_fma_f16 v45, v32, v33, v45 op_sel_hi:[1,0,1]
	v_pk_fma_f16 v41, v32, v37, v41 op_sel_hi:[1,0,1]
	global_load_b32 v116, v[116:117], off
	global_load_b32 v32, v[203:204], off
	v_pk_fma_f16 v40, v36, v37, v40 op_sel_hi:[1,0,1]
	ds_store_b128 v124, v[44:47]
	ds_store_b128 v124, v[40:43] offset:16
	s_waitcnt vmcnt(0)
	v_ashrrev_i32_e32 v32, v202, v32
	s_delay_alu instid0(VALU_DEP_1) | instskip(SKIP_3) | instid1(VALU_DEP_4)
	v_lshrrev_b32_e32 v118, 8, v32
	v_and_b32_e32 v36, 15, v32
	v_lshrrev_b32_e32 v119, 16, v32
	v_bfe_u32 v32, v32, 24, 4
	v_and_b32_e32 v118, 15, v118
	s_delay_alu instid0(VALU_DEP_4) | instskip(NEXT) | instid1(VALU_DEP_4)
	v_cvt_f16_u16_e32 v36, v36
	v_and_b32_e32 v119, 15, v119
	s_delay_alu instid0(VALU_DEP_4) | instskip(NEXT) | instid1(VALU_DEP_4)
	v_cvt_f16_u16_e32 v32, v32
	v_cvt_f16_u16_e32 v117, v118
	s_delay_alu instid0(VALU_DEP_1) | instskip(NEXT) | instid1(VALU_DEP_4)
	v_pack_b32_f16 v36, v36, v117
	v_cvt_f16_u16_e32 v117, v119
	s_delay_alu instid0(VALU_DEP_2) | instskip(NEXT) | instid1(VALU_DEP_2)
	v_pk_fma_f16 v36, v116, v36, v116 op_sel:[0,0,1] op_sel_hi:[0,1,1]
	v_pack_b32_f16 v32, v117, v32
	s_delay_alu instid0(VALU_DEP_2) | instskip(NEXT) | instid1(VALU_DEP_2)
	v_pk_fma_f16 v46, v36, v33, v46 op_sel_hi:[1,0,1]
	v_pk_fma_f16 v32, v116, v32, v116 op_sel:[0,0,1] op_sel_hi:[0,1,1]
	v_add_co_u32 v116, vcc_lo, v156, s4
	v_add_co_ci_u32_e32 v117, vcc_lo, 0, v157, vcc_lo
	v_add_co_u32 v203, vcc_lo, v225, s4
	v_add_co_ci_u32_e32 v204, vcc_lo, 0, v155, vcc_lo
	v_pk_fma_f16 v47, v32, v33, v47 op_sel_hi:[1,0,1]
	v_pk_fma_f16 v43, v32, v37, v43 op_sel_hi:[1,0,1]
	global_load_b32 v116, v[116:117], off
	global_load_b32 v32, v[203:204], off
	v_pk_fma_f16 v42, v36, v37, v42 op_sel_hi:[1,0,1]
	s_waitcnt vmcnt(0)
	v_ashrrev_i32_e32 v32, v202, v32
	s_delay_alu instid0(VALU_DEP_1) | instskip(SKIP_3) | instid1(VALU_DEP_4)
	v_lshrrev_b32_e32 v118, 8, v32
	v_and_b32_e32 v36, 15, v32
	v_lshrrev_b32_e32 v119, 16, v32
	v_bfe_u32 v32, v32, 24, 4
	v_and_b32_e32 v118, 15, v118
	s_delay_alu instid0(VALU_DEP_4) | instskip(NEXT) | instid1(VALU_DEP_4)
	v_cvt_f16_u16_e32 v36, v36
	v_and_b32_e32 v119, 15, v119
	s_delay_alu instid0(VALU_DEP_4) | instskip(NEXT) | instid1(VALU_DEP_4)
	v_cvt_f16_u16_e32 v32, v32
	v_cvt_f16_u16_e32 v117, v118
	s_delay_alu instid0(VALU_DEP_1) | instskip(NEXT) | instid1(VALU_DEP_4)
	v_pack_b32_f16 v36, v36, v117
	v_cvt_f16_u16_e32 v117, v119
	s_delay_alu instid0(VALU_DEP_2) | instskip(NEXT) | instid1(VALU_DEP_2)
	v_pk_fma_f16 v36, v116, v36, v116 op_sel:[0,0,1] op_sel_hi:[0,1,1]
	v_pack_b32_f16 v32, v117, v32
	s_delay_alu instid0(VALU_DEP_2) | instskip(NEXT) | instid1(VALU_DEP_2)
	v_pk_fma_f16 v44, v36, v33, v44 op_sel:[0,1,0]
	v_pk_fma_f16 v32, v116, v32, v116 op_sel:[0,0,1] op_sel_hi:[0,1,1]
	v_add_co_u32 v116, vcc_lo, v154, s4
	v_add_co_ci_u32_e32 v117, vcc_lo, 0, v153, vcc_lo
	v_add_co_u32 v203, vcc_lo, v152, s4
	v_add_co_ci_u32_e32 v204, vcc_lo, 0, v151, vcc_lo
	v_pk_fma_f16 v45, v32, v33, v45 op_sel:[0,1,0]
	v_pk_fma_f16 v41, v32, v37, v41 op_sel:[0,1,0]
	global_load_b32 v116, v[116:117], off
	global_load_b32 v32, v[203:204], off
	v_pk_fma_f16 v40, v36, v37, v40 op_sel:[0,1,0]
	ds_store_b128 v124, v[44:47]
	ds_store_b128 v124, v[40:43] offset:16
	s_waitcnt vmcnt(0)
	v_ashrrev_i32_e32 v32, v202, v32
	s_delay_alu instid0(VALU_DEP_1) | instskip(SKIP_3) | instid1(VALU_DEP_4)
	v_lshrrev_b32_e32 v118, 8, v32
	v_and_b32_e32 v36, 15, v32
	v_lshrrev_b32_e32 v119, 16, v32
	v_bfe_u32 v32, v32, 24, 4
	v_and_b32_e32 v118, 15, v118
	s_delay_alu instid0(VALU_DEP_4) | instskip(NEXT) | instid1(VALU_DEP_4)
	v_cvt_f16_u16_e32 v36, v36
	v_and_b32_e32 v119, 15, v119
	s_delay_alu instid0(VALU_DEP_4) | instskip(NEXT) | instid1(VALU_DEP_4)
	v_cvt_f16_u16_e32 v32, v32
	v_cvt_f16_u16_e32 v117, v118
	s_delay_alu instid0(VALU_DEP_1) | instskip(NEXT) | instid1(VALU_DEP_4)
	v_pack_b32_f16 v36, v36, v117
	v_cvt_f16_u16_e32 v117, v119
	s_delay_alu instid0(VALU_DEP_2) | instskip(NEXT) | instid1(VALU_DEP_2)
	v_pk_fma_f16 v36, v116, v36, v116 op_sel:[0,0,1] op_sel_hi:[0,1,1]
	v_pack_b32_f16 v32, v117, v32
	s_delay_alu instid0(VALU_DEP_2) | instskip(NEXT) | instid1(VALU_DEP_2)
	v_pk_fma_f16 v46, v36, v33, v46 op_sel:[0,1,0]
	v_pk_fma_f16 v32, v116, v32, v116 op_sel:[0,0,1] op_sel_hi:[0,1,1]
	v_pk_fma_f16 v42, v36, v37, v42 op_sel:[0,1,0]
	s_delay_alu instid0(VALU_DEP_2)
	v_pk_fma_f16 v47, v32, v33, v47 op_sel:[0,1,0]
	v_pk_fma_f16 v43, v32, v37, v43 op_sel:[0,1,0]
	v_add_co_u32 v32, vcc_lo, v150, s4
	v_add_co_ci_u32_e32 v33, vcc_lo, 0, v149, vcc_lo
	v_add_co_u32 v36, vcc_lo, v64, s4
	v_add_co_ci_u32_e32 v37, vcc_lo, 0, v147, vcc_lo
	global_load_b32 v32, v[32:33], off
	v_mov_b32_e32 v150, v152
	v_mov_b32_e32 v152, v154
	global_load_b32 v36, v[36:37], off
	v_mov_b32_e32 v154, v225
	s_waitcnt vmcnt(0)
	v_ashrrev_i32_e32 v36, v202, v36
	s_delay_alu instid0(VALU_DEP_1) | instskip(SKIP_3) | instid1(VALU_DEP_4)
	v_lshrrev_b32_e32 v116, 8, v36
	v_and_b32_e32 v37, 15, v36
	v_lshrrev_b32_e32 v117, 16, v36
	v_bfe_u32 v36, v36, 24, 4
	v_and_b32_e32 v116, 15, v116
	s_delay_alu instid0(VALU_DEP_4) | instskip(NEXT) | instid1(VALU_DEP_4)
	v_cvt_f16_u16_e32 v33, v37
	v_and_b32_e32 v117, 15, v117
	s_delay_alu instid0(VALU_DEP_4) | instskip(NEXT) | instid1(VALU_DEP_4)
	v_cvt_f16_u16_e32 v36, v36
	v_cvt_f16_u16_e32 v37, v116
	s_delay_alu instid0(VALU_DEP_1) | instskip(NEXT) | instid1(VALU_DEP_4)
	v_pack_b32_f16 v33, v33, v37
	v_cvt_f16_u16_e32 v37, v117
	s_delay_alu instid0(VALU_DEP_2) | instskip(NEXT) | instid1(VALU_DEP_2)
	v_pk_fma_f16 v33, v32, v33, v32 op_sel:[0,0,1] op_sel_hi:[0,1,1]
	v_pack_b32_f16 v36, v37, v36
	s_delay_alu instid0(VALU_DEP_2) | instskip(NEXT) | instid1(VALU_DEP_2)
	v_pk_fma_f16 v44, v33, v34, v44 op_sel_hi:[1,0,1]
	v_pk_fma_f16 v32, v32, v36, v32 op_sel:[0,0,1] op_sel_hi:[0,1,1]
	v_pk_fma_f16 v40, v33, v38, v40 op_sel_hi:[1,0,1]
	s_delay_alu instid0(VALU_DEP_2)
	v_pk_fma_f16 v45, v32, v34, v45 op_sel_hi:[1,0,1]
	v_pk_fma_f16 v41, v32, v38, v41 op_sel_hi:[1,0,1]
	v_add_co_u32 v32, vcc_lo, v144, s4
	v_add_co_ci_u32_e32 v33, vcc_lo, 0, v145, vcc_lo
	v_add_co_u32 v36, vcc_lo, v142, s4
	v_add_co_ci_u32_e32 v37, vcc_lo, 0, v143, vcc_lo
	global_load_b32 v32, v[32:33], off
	ds_store_b128 v124, v[44:47]
	ds_store_b128 v124, v[40:43] offset:16
	global_load_b32 v36, v[36:37], off
	s_waitcnt vmcnt(0)
	v_ashrrev_i32_e32 v36, v202, v36
	s_delay_alu instid0(VALU_DEP_1) | instskip(SKIP_3) | instid1(VALU_DEP_4)
	v_lshrrev_b32_e32 v116, 8, v36
	v_and_b32_e32 v37, 15, v36
	v_lshrrev_b32_e32 v117, 16, v36
	v_bfe_u32 v36, v36, 24, 4
	v_and_b32_e32 v116, 15, v116
	s_delay_alu instid0(VALU_DEP_4) | instskip(NEXT) | instid1(VALU_DEP_4)
	v_cvt_f16_u16_e32 v33, v37
	v_and_b32_e32 v117, 15, v117
	s_delay_alu instid0(VALU_DEP_4) | instskip(NEXT) | instid1(VALU_DEP_4)
	v_cvt_f16_u16_e32 v36, v36
	v_cvt_f16_u16_e32 v37, v116
	s_delay_alu instid0(VALU_DEP_1) | instskip(NEXT) | instid1(VALU_DEP_4)
	v_pack_b32_f16 v33, v33, v37
	v_cvt_f16_u16_e32 v37, v117
	s_delay_alu instid0(VALU_DEP_2) | instskip(NEXT) | instid1(VALU_DEP_2)
	v_pk_fma_f16 v33, v32, v33, v32 op_sel:[0,0,1] op_sel_hi:[0,1,1]
	v_pack_b32_f16 v36, v37, v36
	s_delay_alu instid0(VALU_DEP_2) | instskip(NEXT) | instid1(VALU_DEP_2)
	v_pk_fma_f16 v46, v33, v34, v46 op_sel_hi:[1,0,1]
	v_pk_fma_f16 v32, v32, v36, v32 op_sel:[0,0,1] op_sel_hi:[0,1,1]
	v_pk_fma_f16 v42, v33, v38, v42 op_sel_hi:[1,0,1]
	s_delay_alu instid0(VALU_DEP_2)
	v_pk_fma_f16 v47, v32, v34, v47 op_sel_hi:[1,0,1]
	v_pk_fma_f16 v43, v32, v38, v43 op_sel_hi:[1,0,1]
	v_add_co_u32 v32, vcc_lo, v16, s4
	v_add_co_ci_u32_e32 v33, vcc_lo, 0, v141, vcc_lo
	v_add_co_u32 v36, vcc_lo, v12, s4
	v_add_co_ci_u32_e32 v37, vcc_lo, 0, v139, vcc_lo
	global_load_b32 v32, v[32:33], off
	global_load_b32 v36, v[36:37], off
	s_waitcnt vmcnt(0)
	v_ashrrev_i32_e32 v36, v202, v36
	s_delay_alu instid0(VALU_DEP_1) | instskip(SKIP_3) | instid1(VALU_DEP_4)
	v_lshrrev_b32_e32 v116, 8, v36
	v_and_b32_e32 v37, 15, v36
	v_lshrrev_b32_e32 v117, 16, v36
	v_bfe_u32 v36, v36, 24, 4
	v_and_b32_e32 v116, 15, v116
	s_delay_alu instid0(VALU_DEP_4) | instskip(NEXT) | instid1(VALU_DEP_4)
	v_cvt_f16_u16_e32 v33, v37
	v_and_b32_e32 v117, 15, v117
	s_delay_alu instid0(VALU_DEP_4) | instskip(NEXT) | instid1(VALU_DEP_4)
	v_cvt_f16_u16_e32 v36, v36
	v_cvt_f16_u16_e32 v37, v116
	s_delay_alu instid0(VALU_DEP_1) | instskip(NEXT) | instid1(VALU_DEP_4)
	v_pack_b32_f16 v33, v33, v37
	v_cvt_f16_u16_e32 v37, v117
	s_delay_alu instid0(VALU_DEP_2) | instskip(NEXT) | instid1(VALU_DEP_2)
	v_pk_fma_f16 v33, v32, v33, v32 op_sel:[0,0,1] op_sel_hi:[0,1,1]
	v_pack_b32_f16 v36, v37, v36
	s_delay_alu instid0(VALU_DEP_2) | instskip(NEXT) | instid1(VALU_DEP_2)
	v_pk_fma_f16 v44, v33, v34, v44 op_sel:[0,1,0]
	v_pk_fma_f16 v32, v32, v36, v32 op_sel:[0,0,1] op_sel_hi:[0,1,1]
	v_pk_fma_f16 v40, v33, v38, v40 op_sel:[0,1,0]
	s_delay_alu instid0(VALU_DEP_2)
	v_pk_fma_f16 v45, v32, v34, v45 op_sel:[0,1,0]
	v_pk_fma_f16 v41, v32, v38, v41 op_sel:[0,1,0]
	v_add_co_u32 v32, vcc_lo, v7, s4
	v_add_co_ci_u32_e32 v33, vcc_lo, 0, v137, vcc_lo
	v_add_co_u32 v36, vcc_lo, v5, s4
	v_add_co_ci_u32_e32 v37, vcc_lo, 0, v135, vcc_lo
	global_load_b32 v32, v[32:33], off
	ds_store_b128 v124, v[44:47]
	ds_store_b128 v124, v[40:43] offset:16
	global_load_b32 v36, v[36:37], off
	s_waitcnt vmcnt(0)
	v_ashrrev_i32_e32 v36, v202, v36
	s_delay_alu instid0(VALU_DEP_1) | instskip(SKIP_3) | instid1(VALU_DEP_4)
	v_lshrrev_b32_e32 v116, 8, v36
	v_and_b32_e32 v37, 15, v36
	v_lshrrev_b32_e32 v117, 16, v36
	v_bfe_u32 v36, v36, 24, 4
	v_and_b32_e32 v116, 15, v116
	s_delay_alu instid0(VALU_DEP_4) | instskip(NEXT) | instid1(VALU_DEP_4)
	v_cvt_f16_u16_e32 v33, v37
	v_and_b32_e32 v117, 15, v117
	s_delay_alu instid0(VALU_DEP_4) | instskip(NEXT) | instid1(VALU_DEP_4)
	v_cvt_f16_u16_e32 v36, v36
	v_cvt_f16_u16_e32 v37, v116
	s_delay_alu instid0(VALU_DEP_1) | instskip(NEXT) | instid1(VALU_DEP_4)
	v_pack_b32_f16 v33, v33, v37
	v_cvt_f16_u16_e32 v37, v117
	s_delay_alu instid0(VALU_DEP_2) | instskip(NEXT) | instid1(VALU_DEP_2)
	v_pk_fma_f16 v33, v32, v33, v32 op_sel:[0,0,1] op_sel_hi:[0,1,1]
	v_pack_b32_f16 v36, v37, v36
	s_delay_alu instid0(VALU_DEP_2) | instskip(NEXT) | instid1(VALU_DEP_2)
	v_pk_fma_f16 v46, v33, v34, v46 op_sel:[0,1,0]
	v_pk_fma_f16 v32, v32, v36, v32 op_sel:[0,0,1] op_sel_hi:[0,1,1]
	v_pk_fma_f16 v42, v33, v38, v42 op_sel:[0,1,0]
	s_delay_alu instid0(VALU_DEP_2)
	v_pk_fma_f16 v47, v32, v34, v47 op_sel:[0,1,0]
	v_pk_fma_f16 v43, v32, v38, v43 op_sel:[0,1,0]
	v_add_co_u32 v32, vcc_lo, v133, s4
	v_add_co_ci_u32_e32 v33, vcc_lo, 0, v207, vcc_lo
	v_add_co_u32 v36, vcc_lo, v128, s4
	v_add_co_ci_u32_e32 v37, vcc_lo, 0, v131, vcc_lo
	global_load_b32 v32, v[32:33], off
	global_load_b32 v34, v[36:37], off
	s_waitcnt vmcnt(0)
	v_ashrrev_i32_e32 v34, v202, v34
	s_delay_alu instid0(VALU_DEP_1) | instskip(SKIP_3) | instid1(VALU_DEP_4)
	v_lshrrev_b32_e32 v37, 8, v34
	v_and_b32_e32 v36, 15, v34
	v_lshrrev_b32_e32 v38, 16, v34
	v_bfe_u32 v34, v34, 24, 4
	v_and_b32_e32 v37, 15, v37
	s_delay_alu instid0(VALU_DEP_4) | instskip(NEXT) | instid1(VALU_DEP_4)
	v_cvt_f16_u16_e32 v33, v36
	v_and_b32_e32 v38, 15, v38
	s_delay_alu instid0(VALU_DEP_4) | instskip(NEXT) | instid1(VALU_DEP_4)
	v_cvt_f16_u16_e32 v34, v34
	v_cvt_f16_u16_e32 v36, v37
	s_delay_alu instid0(VALU_DEP_1) | instskip(NEXT) | instid1(VALU_DEP_4)
	v_pack_b32_f16 v33, v33, v36
	v_cvt_f16_u16_e32 v36, v38
	s_delay_alu instid0(VALU_DEP_2) | instskip(NEXT) | instid1(VALU_DEP_2)
	v_pk_fma_f16 v33, v32, v33, v32 op_sel:[0,0,1] op_sel_hi:[0,1,1]
	v_pack_b32_f16 v34, v36, v34
	s_delay_alu instid0(VALU_DEP_2) | instskip(NEXT) | instid1(VALU_DEP_2)
	v_pk_fma_f16 v44, v33, v35, v44 op_sel_hi:[1,0,1]
	v_pk_fma_f16 v32, v32, v34, v32 op_sel:[0,0,1] op_sel_hi:[0,1,1]
	v_pk_fma_f16 v40, v33, v39, v40 op_sel_hi:[1,0,1]
	s_delay_alu instid0(VALU_DEP_2)
	v_pk_fma_f16 v45, v32, v35, v45 op_sel_hi:[1,0,1]
	v_pk_fma_f16 v41, v32, v39, v41 op_sel_hi:[1,0,1]
	v_add_co_u32 v32, vcc_lo, v130, s4
	v_add_co_ci_u32_e32 v33, vcc_lo, 0, v127, vcc_lo
	v_add_co_u32 v36, vcc_lo, v110, s4
	v_add_co_ci_u32_e32 v37, vcc_lo, 0, v111, vcc_lo
	global_load_b32 v32, v[32:33], off
	ds_store_b128 v124, v[44:47]
	ds_store_b128 v124, v[40:43] offset:16
	global_load_b32 v34, v[36:37], off
	s_waitcnt vmcnt(0)
	v_ashrrev_i32_e32 v34, v202, v34
	s_delay_alu instid0(VALU_DEP_1) | instskip(SKIP_3) | instid1(VALU_DEP_4)
	v_lshrrev_b32_e32 v37, 8, v34
	v_and_b32_e32 v36, 15, v34
	v_lshrrev_b32_e32 v38, 16, v34
	v_bfe_u32 v34, v34, 24, 4
	v_and_b32_e32 v37, 15, v37
	s_delay_alu instid0(VALU_DEP_4) | instskip(NEXT) | instid1(VALU_DEP_4)
	v_cvt_f16_u16_e32 v33, v36
	v_and_b32_e32 v38, 15, v38
	s_delay_alu instid0(VALU_DEP_4) | instskip(NEXT) | instid1(VALU_DEP_4)
	v_cvt_f16_u16_e32 v34, v34
	v_cvt_f16_u16_e32 v36, v37
	s_delay_alu instid0(VALU_DEP_1) | instskip(NEXT) | instid1(VALU_DEP_4)
	v_pack_b32_f16 v33, v33, v36
	v_cvt_f16_u16_e32 v36, v38
	s_delay_alu instid0(VALU_DEP_2) | instskip(NEXT) | instid1(VALU_DEP_2)
	v_pk_fma_f16 v33, v32, v33, v32 op_sel:[0,0,1] op_sel_hi:[0,1,1]
	v_pack_b32_f16 v34, v36, v34
	s_delay_alu instid0(VALU_DEP_2) | instskip(NEXT) | instid1(VALU_DEP_2)
	v_pk_fma_f16 v46, v33, v35, v46 op_sel_hi:[1,0,1]
	v_pk_fma_f16 v32, v32, v34, v32 op_sel:[0,0,1] op_sel_hi:[0,1,1]
	v_pk_fma_f16 v42, v33, v39, v42 op_sel_hi:[1,0,1]
	s_delay_alu instid0(VALU_DEP_2)
	v_pk_fma_f16 v47, v32, v35, v47 op_sel_hi:[1,0,1]
	v_pk_fma_f16 v43, v32, v39, v43 op_sel_hi:[1,0,1]
	v_add_co_u32 v32, vcc_lo, v108, s4
	v_add_co_ci_u32_e32 v33, vcc_lo, 0, v109, vcc_lo
	v_add_co_u32 v36, vcc_lo, v106, s4
	v_add_co_ci_u32_e32 v37, vcc_lo, 0, v107, vcc_lo
	global_load_b32 v32, v[32:33], off
	global_load_b32 v34, v[36:37], off
	s_waitcnt vmcnt(0)
	v_ashrrev_i32_e32 v34, v202, v34
	s_delay_alu instid0(VALU_DEP_1) | instskip(SKIP_3) | instid1(VALU_DEP_4)
	v_lshrrev_b32_e32 v37, 8, v34
	v_and_b32_e32 v36, 15, v34
	v_lshrrev_b32_e32 v38, 16, v34
	v_bfe_u32 v34, v34, 24, 4
	v_and_b32_e32 v37, 15, v37
	s_delay_alu instid0(VALU_DEP_4) | instskip(NEXT) | instid1(VALU_DEP_4)
	v_cvt_f16_u16_e32 v33, v36
	v_and_b32_e32 v38, 15, v38
	s_delay_alu instid0(VALU_DEP_4) | instskip(NEXT) | instid1(VALU_DEP_4)
	v_cvt_f16_u16_e32 v34, v34
	v_cvt_f16_u16_e32 v36, v37
	s_delay_alu instid0(VALU_DEP_1) | instskip(NEXT) | instid1(VALU_DEP_4)
	v_pack_b32_f16 v33, v33, v36
	v_cvt_f16_u16_e32 v36, v38
	s_delay_alu instid0(VALU_DEP_2) | instskip(NEXT) | instid1(VALU_DEP_2)
	v_pk_fma_f16 v33, v32, v33, v32 op_sel:[0,0,1] op_sel_hi:[0,1,1]
	v_pack_b32_f16 v34, v36, v34
	s_delay_alu instid0(VALU_DEP_2) | instskip(NEXT) | instid1(VALU_DEP_2)
	v_pk_fma_f16 v44, v33, v35, v44 op_sel:[0,1,0]
	v_pk_fma_f16 v32, v32, v34, v32 op_sel:[0,0,1] op_sel_hi:[0,1,1]
	v_pk_fma_f16 v40, v33, v39, v40 op_sel:[0,1,0]
	s_delay_alu instid0(VALU_DEP_2)
	v_pk_fma_f16 v45, v32, v35, v45 op_sel:[0,1,0]
	v_pk_fma_f16 v41, v32, v39, v41 op_sel:[0,1,0]
	v_add_co_u32 v32, vcc_lo, v104, s4
	v_add_co_ci_u32_e32 v33, vcc_lo, 0, v105, vcc_lo
	v_add_co_u32 v36, vcc_lo, v102, s4
	v_add_co_ci_u32_e32 v37, vcc_lo, 0, v103, vcc_lo
	global_load_b32 v32, v[32:33], off
	v_add_co_u32 v116, vcc_lo, v100, s4
	global_load_b32 v34, v[36:37], off
	v_add_co_ci_u32_e32 v117, vcc_lo, 0, v101, vcc_lo
	v_add_co_u32 v203, vcc_lo, v99, s4
	v_add_co_ci_u32_e32 v204, vcc_lo, 0, v96, vcc_lo
	ds_store_b128 v124, v[44:47]
	ds_store_b128 v124, v[40:43] offset:16
	s_waitcnt vmcnt(0)
	v_ashrrev_i32_e32 v34, v202, v34
	s_delay_alu instid0(VALU_DEP_1) | instskip(SKIP_3) | instid1(VALU_DEP_4)
	v_lshrrev_b32_e32 v37, 8, v34
	v_and_b32_e32 v36, 15, v34
	v_lshrrev_b32_e32 v38, 16, v34
	v_bfe_u32 v34, v34, 24, 4
	v_and_b32_e32 v37, 15, v37
	s_delay_alu instid0(VALU_DEP_4) | instskip(NEXT) | instid1(VALU_DEP_4)
	v_cvt_f16_u16_e32 v33, v36
	v_and_b32_e32 v38, 15, v38
	s_delay_alu instid0(VALU_DEP_4) | instskip(NEXT) | instid1(VALU_DEP_4)
	v_cvt_f16_u16_e32 v34, v34
	v_cvt_f16_u16_e32 v36, v37
	s_delay_alu instid0(VALU_DEP_1) | instskip(NEXT) | instid1(VALU_DEP_4)
	v_pack_b32_f16 v33, v33, v36
	v_cvt_f16_u16_e32 v36, v38
	s_delay_alu instid0(VALU_DEP_2) | instskip(NEXT) | instid1(VALU_DEP_2)
	v_pk_fma_f16 v33, v32, v33, v32 op_sel:[0,0,1] op_sel_hi:[0,1,1]
	v_pack_b32_f16 v34, v36, v34
	s_delay_alu instid0(VALU_DEP_2) | instskip(NEXT) | instid1(VALU_DEP_2)
	v_pk_fma_f16 v46, v33, v35, v46 op_sel:[0,1,0]
	v_pk_fma_f16 v32, v32, v34, v32 op_sel:[0,0,1] op_sel_hi:[0,1,1]
	v_pk_fma_f16 v42, v33, v39, v42 op_sel:[0,1,0]
	s_delay_alu instid0(VALU_DEP_2)
	v_pk_fma_f16 v47, v32, v35, v47 op_sel:[0,1,0]
	v_pk_fma_f16 v43, v32, v39, v43 op_sel:[0,1,0]
	ds_load_b128 v[36:39], v48 offset:48
	ds_load_b128 v[32:35], v48 offset:304
	global_load_b32 v118, v[203:204], off
	global_load_b32 v116, v[116:117], off
	s_clause 0x11
	scratch_load_b32 v20, off, off offset:936
	scratch_load_b32 v19, off, off offset:932
	;; [unrolled: 1-line block ×14, first 2 shown]
	scratch_load_b32 v11, off, off
	scratch_load_b32 v225, off, off offset:4
	scratch_load_b32 v71, off, off offset:520
	;; [unrolled: 1-line block ×3, first 2 shown]
	s_waitcnt vmcnt(19)
	v_ashrrev_i32_e32 v118, v202, v118
	s_delay_alu instid0(VALU_DEP_1) | instskip(SKIP_3) | instid1(VALU_DEP_4)
	v_lshrrev_b32_e32 v120, 8, v118
	v_and_b32_e32 v119, 15, v118
	v_lshrrev_b32_e32 v121, 16, v118
	v_bfe_u32 v118, v118, 24, 4
	v_and_b32_e32 v120, 15, v120
	s_delay_alu instid0(VALU_DEP_4) | instskip(NEXT) | instid1(VALU_DEP_4)
	v_cvt_f16_u16_e32 v117, v119
	v_and_b32_e32 v121, 15, v121
	s_delay_alu instid0(VALU_DEP_4) | instskip(NEXT) | instid1(VALU_DEP_4)
	v_cvt_f16_u16_e32 v118, v118
	v_cvt_f16_u16_e32 v119, v120
	s_delay_alu instid0(VALU_DEP_1) | instskip(NEXT) | instid1(VALU_DEP_4)
	v_pack_b32_f16 v117, v117, v119
	v_cvt_f16_u16_e32 v119, v121
	s_waitcnt vmcnt(18)
	s_delay_alu instid0(VALU_DEP_2) | instskip(NEXT) | instid1(VALU_DEP_2)
	v_pk_fma_f16 v117, v116, v117, v116 op_sel:[0,0,1] op_sel_hi:[0,1,1]
	v_pack_b32_f16 v118, v119, v118
	s_waitcnt lgkmcnt(1)
	s_delay_alu instid0(VALU_DEP_2) | instskip(NEXT) | instid1(VALU_DEP_2)
	v_pk_fma_f16 v44, v117, v36, v44 op_sel_hi:[1,0,1]
	v_pk_fma_f16 v116, v116, v118, v116 op_sel:[0,0,1] op_sel_hi:[0,1,1]
	s_waitcnt lgkmcnt(0)
	v_pk_fma_f16 v40, v117, v32, v40 op_sel_hi:[1,0,1]
	s_delay_alu instid0(VALU_DEP_2)
	v_pk_fma_f16 v45, v116, v36, v45 op_sel_hi:[1,0,1]
	v_pk_fma_f16 v41, v116, v32, v41 op_sel_hi:[1,0,1]
	v_add_co_u32 v116, vcc_lo, v97, s4
	v_add_co_ci_u32_e32 v117, vcc_lo, 0, v98, vcc_lo
	v_add_co_u32 v203, vcc_lo, v126, s4
	v_add_co_ci_u32_e32 v204, vcc_lo, 0, v238, vcc_lo
	global_load_b32 v116, v[116:117], off
	ds_store_b128 v124, v[44:47]
	ds_store_b128 v124, v[40:43] offset:16
	global_load_b32 v118, v[203:204], off
	s_waitcnt vmcnt(0)
	v_ashrrev_i32_e32 v118, v202, v118
	s_delay_alu instid0(VALU_DEP_1) | instskip(SKIP_3) | instid1(VALU_DEP_4)
	v_lshrrev_b32_e32 v120, 8, v118
	v_and_b32_e32 v119, 15, v118
	v_lshrrev_b32_e32 v121, 16, v118
	v_bfe_u32 v118, v118, 24, 4
	v_and_b32_e32 v120, 15, v120
	s_delay_alu instid0(VALU_DEP_4) | instskip(NEXT) | instid1(VALU_DEP_4)
	v_cvt_f16_u16_e32 v117, v119
	v_and_b32_e32 v121, 15, v121
	s_delay_alu instid0(VALU_DEP_4) | instskip(NEXT) | instid1(VALU_DEP_4)
	v_cvt_f16_u16_e32 v118, v118
	v_cvt_f16_u16_e32 v119, v120
	s_delay_alu instid0(VALU_DEP_1) | instskip(NEXT) | instid1(VALU_DEP_4)
	v_pack_b32_f16 v117, v117, v119
	v_cvt_f16_u16_e32 v119, v121
	s_delay_alu instid0(VALU_DEP_2) | instskip(NEXT) | instid1(VALU_DEP_2)
	v_pk_fma_f16 v117, v116, v117, v116 op_sel:[0,0,1] op_sel_hi:[0,1,1]
	v_pack_b32_f16 v118, v119, v118
	s_delay_alu instid0(VALU_DEP_2) | instskip(NEXT) | instid1(VALU_DEP_2)
	v_pk_fma_f16 v46, v117, v36, v46 op_sel_hi:[1,0,1]
	v_pk_fma_f16 v116, v116, v118, v116 op_sel:[0,0,1] op_sel_hi:[0,1,1]
	v_pk_fma_f16 v42, v117, v32, v42 op_sel_hi:[1,0,1]
	s_delay_alu instid0(VALU_DEP_2)
	v_pk_fma_f16 v47, v116, v36, v47 op_sel_hi:[1,0,1]
	v_pk_fma_f16 v43, v116, v32, v43 op_sel_hi:[1,0,1]
	v_add_co_u32 v116, vcc_lo, v237, s4
	v_add_co_ci_u32_e32 v117, vcc_lo, 0, v123, vcc_lo
	v_add_co_u32 v203, vcc_lo, v129, s4
	v_add_co_ci_u32_e32 v204, vcc_lo, 0, v125, vcc_lo
	global_load_b32 v116, v[116:117], off
	global_load_b32 v118, v[203:204], off
	s_waitcnt vmcnt(0)
	v_ashrrev_i32_e32 v118, v202, v118
	s_delay_alu instid0(VALU_DEP_1) | instskip(SKIP_3) | instid1(VALU_DEP_4)
	v_lshrrev_b32_e32 v120, 8, v118
	v_and_b32_e32 v119, 15, v118
	v_lshrrev_b32_e32 v121, 16, v118
	v_bfe_u32 v118, v118, 24, 4
	v_and_b32_e32 v120, 15, v120
	s_delay_alu instid0(VALU_DEP_4) | instskip(NEXT) | instid1(VALU_DEP_4)
	v_cvt_f16_u16_e32 v117, v119
	v_and_b32_e32 v121, 15, v121
	s_delay_alu instid0(VALU_DEP_4) | instskip(NEXT) | instid1(VALU_DEP_4)
	v_cvt_f16_u16_e32 v118, v118
	v_cvt_f16_u16_e32 v119, v120
	s_delay_alu instid0(VALU_DEP_1) | instskip(NEXT) | instid1(VALU_DEP_4)
	v_pack_b32_f16 v117, v117, v119
	v_cvt_f16_u16_e32 v119, v121
	s_delay_alu instid0(VALU_DEP_2) | instskip(NEXT) | instid1(VALU_DEP_2)
	v_pk_fma_f16 v117, v116, v117, v116 op_sel:[0,0,1] op_sel_hi:[0,1,1]
	v_pack_b32_f16 v118, v119, v118
	s_delay_alu instid0(VALU_DEP_2) | instskip(NEXT) | instid1(VALU_DEP_2)
	v_pk_fma_f16 v44, v117, v36, v44 op_sel:[0,1,0]
	v_pk_fma_f16 v116, v116, v118, v116 op_sel:[0,0,1] op_sel_hi:[0,1,1]
	v_pk_fma_f16 v40, v117, v32, v40 op_sel:[0,1,0]
	s_delay_alu instid0(VALU_DEP_2)
	v_pk_fma_f16 v45, v116, v36, v45 op_sel:[0,1,0]
	v_pk_fma_f16 v41, v116, v32, v41 op_sel:[0,1,0]
	v_add_co_u32 v116, vcc_lo, v255, s4
	v_add_co_ci_u32_e32 v117, vcc_lo, 0, v236, vcc_lo
	v_add_co_u32 v203, vcc_lo, v76, s4
	v_add_co_ci_u32_e32 v204, vcc_lo, 0, v241, vcc_lo
	global_load_b32 v116, v[116:117], off
	ds_store_b128 v124, v[44:47]
	ds_store_b128 v124, v[40:43] offset:16
	global_load_b32 v118, v[203:204], off
	s_waitcnt vmcnt(0)
	v_ashrrev_i32_e32 v118, v202, v118
	s_delay_alu instid0(VALU_DEP_1) | instskip(SKIP_3) | instid1(VALU_DEP_4)
	v_lshrrev_b32_e32 v120, 8, v118
	v_and_b32_e32 v119, 15, v118
	v_lshrrev_b32_e32 v121, 16, v118
	v_bfe_u32 v118, v118, 24, 4
	v_and_b32_e32 v120, 15, v120
	s_delay_alu instid0(VALU_DEP_4) | instskip(NEXT) | instid1(VALU_DEP_4)
	v_cvt_f16_u16_e32 v117, v119
	v_and_b32_e32 v121, 15, v121
	s_delay_alu instid0(VALU_DEP_4) | instskip(NEXT) | instid1(VALU_DEP_4)
	v_cvt_f16_u16_e32 v118, v118
	v_cvt_f16_u16_e32 v119, v120
	scratch_load_b32 v120, off, off offset:540 ; 4-byte Folded Reload
	v_pack_b32_f16 v117, v117, v119
	v_cvt_f16_u16_e32 v119, v121
	scratch_load_b32 v121, off, off offset:544 ; 4-byte Folded Reload
	v_pk_fma_f16 v117, v116, v117, v116 op_sel:[0,0,1] op_sel_hi:[0,1,1]
	v_pack_b32_f16 v118, v119, v118
	s_delay_alu instid0(VALU_DEP_2) | instskip(NEXT) | instid1(VALU_DEP_2)
	v_pk_fma_f16 v46, v117, v36, v46 op_sel:[0,1,0]
	v_pk_fma_f16 v116, v116, v118, v116 op_sel:[0,0,1] op_sel_hi:[0,1,1]
	v_pk_fma_f16 v42, v117, v32, v42 op_sel:[0,1,0]
	s_delay_alu instid0(VALU_DEP_2)
	v_pk_fma_f16 v47, v116, v36, v47 op_sel:[0,1,0]
	v_pk_fma_f16 v43, v116, v32, v43 op_sel:[0,1,0]
	v_add_co_u32 v116, vcc_lo, v251, s4
	v_add_co_ci_u32_e32 v117, vcc_lo, 0, v239, vcc_lo
	v_add_co_u32 v203, vcc_lo, v254, s4
	v_add_co_ci_u32_e32 v204, vcc_lo, 0, v247, vcc_lo
	global_load_b32 v116, v[116:117], off
	global_load_b32 v32, v[203:204], off
	s_waitcnt vmcnt(0)
	v_ashrrev_i32_e32 v32, v202, v32
	s_delay_alu instid0(VALU_DEP_1) | instskip(SKIP_3) | instid1(VALU_DEP_4)
	v_lshrrev_b32_e32 v118, 8, v32
	v_and_b32_e32 v36, 15, v32
	v_lshrrev_b32_e32 v119, 16, v32
	v_bfe_u32 v32, v32, 24, 4
	v_and_b32_e32 v118, 15, v118
	s_delay_alu instid0(VALU_DEP_4) | instskip(NEXT) | instid1(VALU_DEP_4)
	v_cvt_f16_u16_e32 v36, v36
	v_and_b32_e32 v119, 15, v119
	s_delay_alu instid0(VALU_DEP_4) | instskip(NEXT) | instid1(VALU_DEP_4)
	v_cvt_f16_u16_e32 v32, v32
	v_cvt_f16_u16_e32 v117, v118
	s_delay_alu instid0(VALU_DEP_1) | instskip(NEXT) | instid1(VALU_DEP_4)
	v_pack_b32_f16 v36, v36, v117
	v_cvt_f16_u16_e32 v117, v119
	s_delay_alu instid0(VALU_DEP_2) | instskip(NEXT) | instid1(VALU_DEP_2)
	v_pk_fma_f16 v36, v116, v36, v116 op_sel:[0,0,1] op_sel_hi:[0,1,1]
	v_pack_b32_f16 v32, v117, v32
	s_delay_alu instid0(VALU_DEP_2) | instskip(NEXT) | instid1(VALU_DEP_2)
	v_pk_fma_f16 v44, v36, v37, v44 op_sel_hi:[1,0,1]
	v_pk_fma_f16 v32, v116, v32, v116 op_sel:[0,0,1] op_sel_hi:[0,1,1]
	v_add_co_u32 v116, vcc_lo, v252, s4
	v_add_co_ci_u32_e32 v117, vcc_lo, 0, v253, vcc_lo
	v_add_co_u32 v203, vcc_lo, v245, s4
	v_add_co_ci_u32_e32 v204, vcc_lo, 0, v248, vcc_lo
	v_pk_fma_f16 v45, v32, v37, v45 op_sel_hi:[1,0,1]
	v_pk_fma_f16 v41, v32, v33, v41 op_sel_hi:[1,0,1]
	global_load_b32 v116, v[116:117], off
	global_load_b32 v32, v[203:204], off
	v_pk_fma_f16 v40, v36, v33, v40 op_sel_hi:[1,0,1]
	ds_store_b128 v124, v[44:47]
	ds_store_b128 v124, v[40:43] offset:16
	s_waitcnt vmcnt(0)
	v_ashrrev_i32_e32 v32, v202, v32
	s_delay_alu instid0(VALU_DEP_1) | instskip(SKIP_3) | instid1(VALU_DEP_4)
	v_lshrrev_b32_e32 v118, 8, v32
	v_and_b32_e32 v36, 15, v32
	v_lshrrev_b32_e32 v119, 16, v32
	v_bfe_u32 v32, v32, 24, 4
	v_and_b32_e32 v118, 15, v118
	s_delay_alu instid0(VALU_DEP_4) | instskip(NEXT) | instid1(VALU_DEP_4)
	v_cvt_f16_u16_e32 v36, v36
	v_and_b32_e32 v119, 15, v119
	s_delay_alu instid0(VALU_DEP_4) | instskip(NEXT) | instid1(VALU_DEP_4)
	v_cvt_f16_u16_e32 v32, v32
	v_cvt_f16_u16_e32 v117, v118
	s_delay_alu instid0(VALU_DEP_1) | instskip(NEXT) | instid1(VALU_DEP_4)
	v_pack_b32_f16 v36, v36, v117
	v_cvt_f16_u16_e32 v117, v119
	s_delay_alu instid0(VALU_DEP_2) | instskip(NEXT) | instid1(VALU_DEP_2)
	v_pk_fma_f16 v36, v116, v36, v116 op_sel:[0,0,1] op_sel_hi:[0,1,1]
	v_pack_b32_f16 v32, v117, v32
	s_delay_alu instid0(VALU_DEP_2) | instskip(NEXT) | instid1(VALU_DEP_2)
	v_pk_fma_f16 v46, v36, v37, v46 op_sel_hi:[1,0,1]
	v_pk_fma_f16 v32, v116, v32, v116 op_sel:[0,0,1] op_sel_hi:[0,1,1]
	v_add_co_u32 v116, vcc_lo, v244, s4
	v_add_co_ci_u32_e32 v117, vcc_lo, 0, v250, vcc_lo
	v_add_co_u32 v203, vcc_lo, v83, s4
	v_add_co_ci_u32_e32 v204, vcc_lo, 0, v249, vcc_lo
	v_pk_fma_f16 v47, v32, v37, v47 op_sel_hi:[1,0,1]
	v_pk_fma_f16 v43, v32, v33, v43 op_sel_hi:[1,0,1]
	global_load_b32 v116, v[116:117], off
	global_load_b32 v32, v[203:204], off
	v_pk_fma_f16 v42, v36, v33, v42 op_sel_hi:[1,0,1]
	s_waitcnt vmcnt(0)
	v_ashrrev_i32_e32 v32, v202, v32
	s_delay_alu instid0(VALU_DEP_1) | instskip(SKIP_3) | instid1(VALU_DEP_4)
	v_lshrrev_b32_e32 v118, 8, v32
	v_and_b32_e32 v36, 15, v32
	v_lshrrev_b32_e32 v119, 16, v32
	v_bfe_u32 v32, v32, 24, 4
	v_and_b32_e32 v118, 15, v118
	s_delay_alu instid0(VALU_DEP_4) | instskip(NEXT) | instid1(VALU_DEP_4)
	v_cvt_f16_u16_e32 v36, v36
	v_and_b32_e32 v119, 15, v119
	s_delay_alu instid0(VALU_DEP_4) | instskip(NEXT) | instid1(VALU_DEP_4)
	v_cvt_f16_u16_e32 v32, v32
	v_cvt_f16_u16_e32 v117, v118
	s_delay_alu instid0(VALU_DEP_1) | instskip(NEXT) | instid1(VALU_DEP_4)
	v_pack_b32_f16 v36, v36, v117
	v_cvt_f16_u16_e32 v117, v119
	s_delay_alu instid0(VALU_DEP_2) | instskip(NEXT) | instid1(VALU_DEP_2)
	v_pk_fma_f16 v36, v116, v36, v116 op_sel:[0,0,1] op_sel_hi:[0,1,1]
	v_pack_b32_f16 v32, v117, v32
	s_delay_alu instid0(VALU_DEP_2) | instskip(NEXT) | instid1(VALU_DEP_2)
	v_pk_fma_f16 v44, v36, v37, v44 op_sel:[0,1,0]
	v_pk_fma_f16 v32, v116, v32, v116 op_sel:[0,0,1] op_sel_hi:[0,1,1]
	v_add_co_u32 v116, vcc_lo, v240, s4
	v_add_co_ci_u32_e32 v117, vcc_lo, 0, v246, vcc_lo
	v_add_co_u32 v203, vcc_lo, v20, s4
	v_add_co_ci_u32_e32 v204, vcc_lo, 0, v78, vcc_lo
	v_pk_fma_f16 v45, v32, v37, v45 op_sel:[0,1,0]
	v_pk_fma_f16 v41, v32, v33, v41 op_sel:[0,1,0]
	global_load_b32 v116, v[116:117], off
	global_load_b32 v32, v[203:204], off
	v_pk_fma_f16 v40, v36, v33, v40 op_sel:[0,1,0]
	ds_store_b128 v124, v[44:47]
	ds_store_b128 v124, v[40:43] offset:16
	s_waitcnt vmcnt(0)
	v_ashrrev_i32_e32 v32, v202, v32
	s_delay_alu instid0(VALU_DEP_1) | instskip(SKIP_3) | instid1(VALU_DEP_4)
	v_lshrrev_b32_e32 v118, 8, v32
	v_and_b32_e32 v36, 15, v32
	v_lshrrev_b32_e32 v119, 16, v32
	v_bfe_u32 v32, v32, 24, 4
	v_and_b32_e32 v118, 15, v118
	s_delay_alu instid0(VALU_DEP_4) | instskip(NEXT) | instid1(VALU_DEP_4)
	v_cvt_f16_u16_e32 v36, v36
	v_and_b32_e32 v119, 15, v119
	s_delay_alu instid0(VALU_DEP_4) | instskip(NEXT) | instid1(VALU_DEP_4)
	v_cvt_f16_u16_e32 v32, v32
	v_cvt_f16_u16_e32 v117, v118
	scratch_load_b32 v118, off, off offset:532 ; 4-byte Folded Reload
	v_pack_b32_f16 v36, v36, v117
	v_cvt_f16_u16_e32 v117, v119
	scratch_load_b32 v119, off, off offset:536 ; 4-byte Folded Reload
	v_pk_fma_f16 v36, v116, v36, v116 op_sel:[0,0,1] op_sel_hi:[0,1,1]
	v_pack_b32_f16 v32, v117, v32
	s_delay_alu instid0(VALU_DEP_2) | instskip(NEXT) | instid1(VALU_DEP_2)
	v_pk_fma_f16 v42, v36, v33, v42 op_sel:[0,1,0]
	v_pk_fma_f16 v32, v116, v32, v116 op_sel:[0,0,1] op_sel_hi:[0,1,1]
	v_pk_fma_f16 v46, v36, v37, v46 op_sel:[0,1,0]
	s_delay_alu instid0(VALU_DEP_2)
	v_pk_fma_f16 v47, v32, v37, v47 op_sel:[0,1,0]
	v_pk_fma_f16 v43, v32, v33, v43 op_sel:[0,1,0]
	v_add_co_u32 v32, vcc_lo, v18, s4
	v_add_co_ci_u32_e32 v33, vcc_lo, 0, v19, vcc_lo
	v_add_co_u32 v36, vcc_lo, v12, s4
	v_add_co_ci_u32_e32 v37, vcc_lo, 0, v16, vcc_lo
	global_load_b32 v32, v[32:33], off
	global_load_b32 v36, v[36:37], off
	s_waitcnt vmcnt(0)
	v_ashrrev_i32_e32 v36, v202, v36
	s_delay_alu instid0(VALU_DEP_1) | instskip(SKIP_3) | instid1(VALU_DEP_4)
	v_lshrrev_b32_e32 v116, 8, v36
	v_and_b32_e32 v37, 15, v36
	v_lshrrev_b32_e32 v117, 16, v36
	v_bfe_u32 v36, v36, 24, 4
	v_and_b32_e32 v116, 15, v116
	s_delay_alu instid0(VALU_DEP_4) | instskip(NEXT) | instid1(VALU_DEP_4)
	v_cvt_f16_u16_e32 v33, v37
	v_and_b32_e32 v117, 15, v117
	s_delay_alu instid0(VALU_DEP_4) | instskip(NEXT) | instid1(VALU_DEP_4)
	v_cvt_f16_u16_e32 v36, v36
	v_cvt_f16_u16_e32 v37, v116
	s_delay_alu instid0(VALU_DEP_1) | instskip(NEXT) | instid1(VALU_DEP_4)
	v_pack_b32_f16 v33, v33, v37
	v_cvt_f16_u16_e32 v37, v117
	s_delay_alu instid0(VALU_DEP_2) | instskip(NEXT) | instid1(VALU_DEP_2)
	v_pk_fma_f16 v33, v32, v33, v32 op_sel:[0,0,1] op_sel_hi:[0,1,1]
	v_pack_b32_f16 v36, v37, v36
	s_delay_alu instid0(VALU_DEP_2) | instskip(NEXT) | instid1(VALU_DEP_2)
	v_pk_fma_f16 v44, v33, v38, v44 op_sel_hi:[1,0,1]
	v_pk_fma_f16 v32, v32, v36, v32 op_sel:[0,0,1] op_sel_hi:[0,1,1]
	v_pk_fma_f16 v40, v33, v34, v40 op_sel_hi:[1,0,1]
	s_delay_alu instid0(VALU_DEP_2)
	v_pk_fma_f16 v45, v32, v38, v45 op_sel_hi:[1,0,1]
	v_pk_fma_f16 v41, v32, v34, v41 op_sel_hi:[1,0,1]
	v_add_co_u32 v32, vcc_lo, v5, s4
	v_add_co_ci_u32_e32 v33, vcc_lo, 0, v7, vcc_lo
	v_add_co_u32 v36, vcc_lo, v79, s4
	v_add_co_ci_u32_e32 v37, vcc_lo, 0, v243, vcc_lo
	global_load_b32 v32, v[32:33], off
	ds_store_b128 v124, v[44:47]
	ds_store_b128 v124, v[40:43] offset:16
	global_load_b32 v36, v[36:37], off
	s_waitcnt vmcnt(0)
	v_ashrrev_i32_e32 v36, v202, v36
	s_delay_alu instid0(VALU_DEP_1) | instskip(SKIP_3) | instid1(VALU_DEP_4)
	v_lshrrev_b32_e32 v116, 8, v36
	v_and_b32_e32 v37, 15, v36
	v_lshrrev_b32_e32 v117, 16, v36
	v_bfe_u32 v36, v36, 24, 4
	v_and_b32_e32 v116, 15, v116
	s_delay_alu instid0(VALU_DEP_4) | instskip(NEXT) | instid1(VALU_DEP_4)
	v_cvt_f16_u16_e32 v33, v37
	v_and_b32_e32 v117, 15, v117
	s_delay_alu instid0(VALU_DEP_4) | instskip(NEXT) | instid1(VALU_DEP_4)
	v_cvt_f16_u16_e32 v36, v36
	v_cvt_f16_u16_e32 v37, v116
	s_delay_alu instid0(VALU_DEP_1) | instskip(NEXT) | instid1(VALU_DEP_4)
	v_pack_b32_f16 v33, v33, v37
	v_cvt_f16_u16_e32 v37, v117
	s_delay_alu instid0(VALU_DEP_2) | instskip(NEXT) | instid1(VALU_DEP_2)
	v_pk_fma_f16 v33, v32, v33, v32 op_sel:[0,0,1] op_sel_hi:[0,1,1]
	v_pack_b32_f16 v36, v37, v36
	s_delay_alu instid0(VALU_DEP_2) | instskip(NEXT) | instid1(VALU_DEP_2)
	v_pk_fma_f16 v46, v33, v38, v46 op_sel_hi:[1,0,1]
	v_pk_fma_f16 v32, v32, v36, v32 op_sel:[0,0,1] op_sel_hi:[0,1,1]
	v_pk_fma_f16 v42, v33, v34, v42 op_sel_hi:[1,0,1]
	s_delay_alu instid0(VALU_DEP_2)
	v_pk_fma_f16 v47, v32, v38, v47 op_sel_hi:[1,0,1]
	v_pk_fma_f16 v43, v32, v34, v43 op_sel_hi:[1,0,1]
	v_add_co_u32 v32, vcc_lo, v77, s4
	v_add_co_ci_u32_e32 v33, vcc_lo, 0, v82, vcc_lo
	v_add_co_u32 v36, vcc_lo, v242, s4
	v_add_co_ci_u32_e32 v37, vcc_lo, 0, v234, vcc_lo
	global_load_b32 v32, v[32:33], off
	global_load_b32 v36, v[36:37], off
	s_waitcnt vmcnt(0)
	v_ashrrev_i32_e32 v36, v202, v36
	s_delay_alu instid0(VALU_DEP_1) | instskip(SKIP_3) | instid1(VALU_DEP_4)
	v_lshrrev_b32_e32 v116, 8, v36
	v_and_b32_e32 v37, 15, v36
	v_lshrrev_b32_e32 v117, 16, v36
	v_bfe_u32 v36, v36, 24, 4
	v_and_b32_e32 v116, 15, v116
	s_delay_alu instid0(VALU_DEP_4) | instskip(NEXT) | instid1(VALU_DEP_4)
	v_cvt_f16_u16_e32 v33, v37
	v_and_b32_e32 v117, 15, v117
	s_delay_alu instid0(VALU_DEP_4) | instskip(NEXT) | instid1(VALU_DEP_4)
	v_cvt_f16_u16_e32 v36, v36
	v_cvt_f16_u16_e32 v37, v116
	s_delay_alu instid0(VALU_DEP_1) | instskip(NEXT) | instid1(VALU_DEP_4)
	v_pack_b32_f16 v33, v33, v37
	v_cvt_f16_u16_e32 v37, v117
	s_delay_alu instid0(VALU_DEP_2) | instskip(NEXT) | instid1(VALU_DEP_2)
	v_pk_fma_f16 v33, v32, v33, v32 op_sel:[0,0,1] op_sel_hi:[0,1,1]
	v_pack_b32_f16 v36, v37, v36
	s_delay_alu instid0(VALU_DEP_2) | instskip(NEXT) | instid1(VALU_DEP_2)
	v_pk_fma_f16 v44, v33, v38, v44 op_sel:[0,1,0]
	v_pk_fma_f16 v32, v32, v36, v32 op_sel:[0,0,1] op_sel_hi:[0,1,1]
	v_pk_fma_f16 v40, v33, v34, v40 op_sel:[0,1,0]
	s_delay_alu instid0(VALU_DEP_2)
	v_pk_fma_f16 v45, v32, v38, v45 op_sel:[0,1,0]
	v_pk_fma_f16 v41, v32, v34, v41 op_sel:[0,1,0]
	v_add_co_u32 v32, vcc_lo, v80, s4
	v_add_co_ci_u32_e32 v33, vcc_lo, 0, v81, vcc_lo
	v_add_co_u32 v36, vcc_lo, v10, s4
	v_add_co_ci_u32_e32 v37, vcc_lo, 0, v112, vcc_lo
	global_load_b32 v32, v[32:33], off
	ds_store_b128 v124, v[44:47]
	ds_store_b128 v124, v[40:43] offset:16
	global_load_b32 v36, v[36:37], off
	s_waitcnt vmcnt(0)
	v_ashrrev_i32_e32 v36, v202, v36
	s_delay_alu instid0(VALU_DEP_1) | instskip(SKIP_3) | instid1(VALU_DEP_4)
	v_lshrrev_b32_e32 v116, 8, v36
	v_and_b32_e32 v37, 15, v36
	v_lshrrev_b32_e32 v117, 16, v36
	v_bfe_u32 v36, v36, 24, 4
	v_and_b32_e32 v116, 15, v116
	s_delay_alu instid0(VALU_DEP_4) | instskip(NEXT) | instid1(VALU_DEP_4)
	v_cvt_f16_u16_e32 v33, v37
	v_and_b32_e32 v117, 15, v117
	s_delay_alu instid0(VALU_DEP_4) | instskip(NEXT) | instid1(VALU_DEP_4)
	v_cvt_f16_u16_e32 v36, v36
	v_cvt_f16_u16_e32 v37, v116
	scratch_load_b32 v116, off, off offset:524 ; 4-byte Folded Reload
	v_pack_b32_f16 v33, v33, v37
	v_cvt_f16_u16_e32 v37, v117
	scratch_load_b32 v117, off, off offset:528 ; 4-byte Folded Reload
	v_pk_fma_f16 v33, v32, v33, v32 op_sel:[0,0,1] op_sel_hi:[0,1,1]
	v_pack_b32_f16 v36, v37, v36
	s_delay_alu instid0(VALU_DEP_2) | instskip(NEXT) | instid1(VALU_DEP_2)
	v_pk_fma_f16 v46, v33, v38, v46 op_sel:[0,1,0]
	v_pk_fma_f16 v32, v32, v36, v32 op_sel:[0,0,1] op_sel_hi:[0,1,1]
	v_pk_fma_f16 v205, v33, v34, v42 op_sel:[0,1,0]
	s_delay_alu instid0(VALU_DEP_2)
	v_pk_fma_f16 v47, v32, v38, v47 op_sel:[0,1,0]
	v_pk_fma_f16 v206, v32, v34, v43 op_sel:[0,1,0]
	v_add_co_u32 v32, vcc_lo, v121, s4
	v_add_co_ci_u32_e32 v33, vcc_lo, 0, v122, vcc_lo
	v_add_co_u32 v36, vcc_lo, v119, s4
	v_add_co_ci_u32_e32 v37, vcc_lo, 0, v120, vcc_lo
	global_load_b32 v32, v[32:33], off
	global_load_b32 v34, v[36:37], off
	s_waitcnt vmcnt(0)
	v_ashrrev_i32_e32 v34, v202, v34
	s_delay_alu instid0(VALU_DEP_1) | instskip(SKIP_3) | instid1(VALU_DEP_4)
	v_lshrrev_b32_e32 v37, 8, v34
	v_and_b32_e32 v36, 15, v34
	v_lshrrev_b32_e32 v38, 16, v34
	v_bfe_u32 v34, v34, 24, 4
	v_and_b32_e32 v37, 15, v37
	s_delay_alu instid0(VALU_DEP_4) | instskip(NEXT) | instid1(VALU_DEP_4)
	v_cvt_f16_u16_e32 v33, v36
	v_and_b32_e32 v38, 15, v38
	s_delay_alu instid0(VALU_DEP_4) | instskip(NEXT) | instid1(VALU_DEP_4)
	v_cvt_f16_u16_e32 v34, v34
	v_cvt_f16_u16_e32 v36, v37
	s_delay_alu instid0(VALU_DEP_1) | instskip(NEXT) | instid1(VALU_DEP_4)
	v_pack_b32_f16 v33, v33, v36
	v_cvt_f16_u16_e32 v36, v38
	s_delay_alu instid0(VALU_DEP_2) | instskip(NEXT) | instid1(VALU_DEP_2)
	v_pk_fma_f16 v33, v32, v33, v32 op_sel:[0,0,1] op_sel_hi:[0,1,1]
	v_pack_b32_f16 v34, v36, v34
	s_delay_alu instid0(VALU_DEP_2) | instskip(NEXT) | instid1(VALU_DEP_2)
	v_pk_fma_f16 v44, v33, v39, v44 op_sel_hi:[1,0,1]
	v_pk_fma_f16 v32, v32, v34, v32 op_sel:[0,0,1] op_sel_hi:[0,1,1]
	v_pk_fma_f16 v203, v33, v35, v40 op_sel_hi:[1,0,1]
	s_delay_alu instid0(VALU_DEP_2)
	v_pk_fma_f16 v45, v32, v39, v45 op_sel_hi:[1,0,1]
	v_pk_fma_f16 v204, v32, v35, v41 op_sel_hi:[1,0,1]
	v_add_co_u32 v32, vcc_lo, v117, s4
	v_add_co_ci_u32_e32 v33, vcc_lo, 0, v118, vcc_lo
	v_add_co_u32 v36, vcc_lo, v71, s4
	v_add_co_ci_u32_e32 v37, vcc_lo, 0, v116, vcc_lo
	global_load_b32 v32, v[32:33], off
	ds_store_b128 v124, v[44:47]
	ds_store_b128 v124, v[203:206] offset:16
	global_load_b32 v34, v[36:37], off
	s_waitcnt vmcnt(0)
	v_ashrrev_i32_e32 v34, v202, v34
	s_delay_alu instid0(VALU_DEP_1) | instskip(SKIP_3) | instid1(VALU_DEP_4)
	v_lshrrev_b32_e32 v37, 8, v34
	v_and_b32_e32 v36, 15, v34
	v_lshrrev_b32_e32 v38, 16, v34
	v_bfe_u32 v34, v34, 24, 4
	v_and_b32_e32 v37, 15, v37
	s_delay_alu instid0(VALU_DEP_4) | instskip(NEXT) | instid1(VALU_DEP_4)
	v_cvt_f16_u16_e32 v33, v36
	v_and_b32_e32 v38, 15, v38
	s_delay_alu instid0(VALU_DEP_4) | instskip(NEXT) | instid1(VALU_DEP_4)
	v_cvt_f16_u16_e32 v34, v34
	v_cvt_f16_u16_e32 v36, v37
	s_delay_alu instid0(VALU_DEP_1) | instskip(NEXT) | instid1(VALU_DEP_4)
	v_pack_b32_f16 v33, v33, v36
	v_cvt_f16_u16_e32 v36, v38
	s_delay_alu instid0(VALU_DEP_2) | instskip(NEXT) | instid1(VALU_DEP_2)
	v_pk_fma_f16 v33, v32, v33, v32 op_sel:[0,0,1] op_sel_hi:[0,1,1]
	v_pack_b32_f16 v34, v36, v34
	s_delay_alu instid0(VALU_DEP_2) | instskip(NEXT) | instid1(VALU_DEP_2)
	v_pk_fma_f16 v42, v33, v39, v46 op_sel_hi:[1,0,1]
	v_pk_fma_f16 v32, v32, v34, v32 op_sel:[0,0,1] op_sel_hi:[0,1,1]
	v_pk_fma_f16 v40, v33, v35, v205 op_sel_hi:[1,0,1]
	scratch_load_b32 v205, off, off offset:1336 ; 4-byte Folded Reload
	v_pk_fma_f16 v43, v32, v39, v47 op_sel_hi:[1,0,1]
	v_pk_fma_f16 v41, v32, v35, v206 op_sel_hi:[1,0,1]
	v_add_co_u32 v32, vcc_lo, v69, s4
	v_add_co_ci_u32_e32 v33, vcc_lo, 0, v70, vcc_lo
	v_add_co_u32 v36, vcc_lo, v48, s4
	v_add_co_ci_u32_e32 v37, vcc_lo, 0, v68, vcc_lo
	global_load_b32 v32, v[32:33], off
	ds_store_2addr_b64 v124, v[42:43], v[40:41] offset0:1 offset1:3
	scratch_load_b32 v206, off, off offset:1340 ; 4-byte Folded Reload
	global_load_b32 v34, v[36:37], off
	s_waitcnt vmcnt(0)
	v_ashrrev_i32_e32 v34, v202, v34
	s_delay_alu instid0(VALU_DEP_1) | instskip(SKIP_3) | instid1(VALU_DEP_4)
	v_lshrrev_b32_e32 v37, 8, v34
	v_and_b32_e32 v36, 15, v34
	v_lshrrev_b32_e32 v38, 16, v34
	v_bfe_u32 v34, v34, 24, 4
	v_and_b32_e32 v37, 15, v37
	s_delay_alu instid0(VALU_DEP_4) | instskip(NEXT) | instid1(VALU_DEP_4)
	v_cvt_f16_u16_e32 v33, v36
	v_and_b32_e32 v38, 15, v38
	s_delay_alu instid0(VALU_DEP_4) | instskip(NEXT) | instid1(VALU_DEP_4)
	v_cvt_f16_u16_e32 v34, v34
	v_cvt_f16_u16_e32 v36, v37
	s_delay_alu instid0(VALU_DEP_1) | instskip(NEXT) | instid1(VALU_DEP_4)
	v_pack_b32_f16 v33, v33, v36
	v_cvt_f16_u16_e32 v36, v38
	s_delay_alu instid0(VALU_DEP_2) | instskip(NEXT) | instid1(VALU_DEP_2)
	v_pk_fma_f16 v33, v32, v33, v32 op_sel:[0,0,1] op_sel_hi:[0,1,1]
	v_pack_b32_f16 v34, v36, v34
	s_delay_alu instid0(VALU_DEP_2) | instskip(NEXT) | instid1(VALU_DEP_2)
	v_pk_fma_f16 v36, v33, v39, v44 op_sel:[0,1,0]
	v_pk_fma_f16 v34, v32, v34, v32 op_sel:[0,0,1] op_sel_hi:[0,1,1]
	v_pk_fma_f16 v32, v33, v35, v203 op_sel:[0,1,0]
	v_mov_b32_e32 v203, v3
	scratch_load_b32 v3, off, off offset:496 ; 4-byte Folded Reload
	v_pk_fma_f16 v33, v34, v35, v204 op_sel:[0,1,0]
	v_mov_b32_e32 v204, v30
	v_dual_mov_b32 v30, v75 :: v_dual_mov_b32 v75, v6
	v_dual_mov_b32 v6, v57 :: v_dual_mov_b32 v57, v72
	;; [unrolled: 1-line block ×3, first 2 shown]
	v_mov_b32_e32 v74, v8
	v_mov_b32_e32 v8, v9
	scratch_load_b32 v9, off, off offset:1400 ; 4-byte Folded Reload
	v_pk_fma_f16 v37, v34, v39, v45 op_sel:[0,1,0]
	s_waitcnt vmcnt(1)
	v_add_co_u32 v44, vcc_lo, v3, s4
	v_add_co_ci_u32_e32 v45, vcc_lo, 0, v4, vcc_lo
	v_add_co_u32 v46, vcc_lo, v11, s4
	v_add_co_ci_u32_e32 v47, vcc_lo, 0, v225, vcc_lo
	global_load_b32 v44, v[44:45], off
	global_load_b32 v34, v[46:47], off
	s_waitcnt vmcnt(0)
	v_ashrrev_i32_e32 v34, v202, v34
	s_delay_alu instid0(VALU_DEP_1) | instskip(SKIP_3) | instid1(VALU_DEP_4)
	v_lshrrev_b32_e32 v46, 8, v34
	v_and_b32_e32 v38, 15, v34
	v_lshrrev_b32_e32 v47, 16, v34
	v_bfe_u32 v34, v34, 24, 4
	v_and_b32_e32 v46, 15, v46
	s_delay_alu instid0(VALU_DEP_4) | instskip(NEXT) | instid1(VALU_DEP_4)
	v_cvt_f16_u16_e32 v38, v38
	v_and_b32_e32 v47, 15, v47
	s_delay_alu instid0(VALU_DEP_4) | instskip(NEXT) | instid1(VALU_DEP_4)
	v_cvt_f16_u16_e32 v34, v34
	v_cvt_f16_u16_e32 v45, v46
	v_mov_b32_e32 v46, v63
	s_delay_alu instid0(VALU_DEP_2) | instskip(NEXT) | instid1(VALU_DEP_1)
	v_pack_b32_f16 v38, v38, v45
	v_pk_fma_f16 v45, v44, v38, v44 op_sel:[0,0,1] op_sel_hi:[0,1,1]
	v_cvt_f16_u16_e32 v38, v47
	v_mov_b32_e32 v47, v1
	s_delay_alu instid0(VALU_DEP_2) | instskip(NEXT) | instid1(VALU_DEP_4)
	v_pack_b32_f16 v34, v38, v34
	v_pk_fma_f16 v38, v45, v39, v42 op_sel:[0,1,0]
	v_mov_b32_e32 v42, v20
	s_delay_alu instid0(VALU_DEP_3)
	v_pk_fma_f16 v44, v44, v34, v44 op_sel:[0,0,1] op_sel_hi:[0,1,1]
	v_pk_fma_f16 v34, v45, v35, v40 op_sel:[0,1,0]
	v_dual_mov_b32 v40, v18 :: v_dual_mov_b32 v45, v25
	scratch_load_b32 v25, off, off offset:1352 ; 4-byte Folded Reload
	v_pk_fma_f16 v39, v44, v39, v43 op_sel:[0,1,0]
	v_pk_fma_f16 v35, v44, v35, v41 op_sel:[0,1,0]
	v_mov_b32_e32 v41, v19
	s_clause 0x1
	scratch_load_b32 v19, off, off offset:1384
	scratch_load_b32 v18, off, off offset:40
	ds_store_b128 v124, v[36:39]
	ds_store_b128 v124, v[32:35] offset:16
	scratch_load_b32 v32, off, off offset:16 ; 4-byte Folded Reload
	v_mov_b32_e32 v36, v5
	s_clause 0x1
	scratch_load_b32 v5, off, off offset:12
	scratch_load_b32 v33, off, off offset:896
	v_mov_b32_e32 v39, v16
	s_clause 0x1
	scratch_load_b32 v16, off, off offset:56
	scratch_load_b32 v34, off, off offset:904
	;; [unrolled: 4-line block ×3, first 2 shown]
	v_mov_b32_e32 v44, v23
	scratch_load_b32 v23, off, off offset:1372 ; 4-byte Folded Reload
	v_mov_b32_e32 v43, v22
	v_mov_b32_e32 v37, v7
	s_clause 0x1
	scratch_load_b32 v7, off, off offset:72
	scratch_load_b32 v22, off, off offset:1380
	s_waitcnt vmcnt(9)
	v_add_co_u32 v32, vcc_lo, v32, s6
	scratch_store_b32 off, v32, off offset:16 ; 4-byte Folded Spill
	scratch_load_b32 v32, off, off offset:20 ; 4-byte Folded Reload
	s_waitcnt vmcnt(0)
	v_add_co_ci_u32_e32 v32, vcc_lo, 0, v32, vcc_lo
	v_add_co_u32 v5, vcc_lo, v5, s82
	scratch_store_b32 off, v32, off offset:20 ; 4-byte Folded Spill
	scratch_load_b32 v32, off, off offset:76 ; 4-byte Folded Reload
	scratch_store_b32 off, v5, off offset:12 ; 4-byte Folded Spill
	scratch_load_b32 v5, off, off offset:64 ; 4-byte Folded Reload
	s_waitcnt vmcnt(1)
	v_add_co_ci_u32_e32 v32, vcc_lo, s83, v32, vcc_lo
	scratch_store_b32 off, v32, off offset:76 ; 4-byte Folded Spill
	scratch_load_b32 v32, off, off offset:24 ; 4-byte Folded Reload
	s_waitcnt vmcnt(0)
	v_add_co_u32 v32, vcc_lo, v32, s82
	scratch_store_b32 off, v32, off offset:24 ; 4-byte Folded Spill
	scratch_load_b32 v32, off, off offset:28 ; 4-byte Folded Reload
	s_waitcnt vmcnt(0)
	v_add_co_ci_u32_e32 v32, vcc_lo, s83, v32, vcc_lo
	v_add_co_u32 v205, vcc_lo, v205, s82
	v_add_co_ci_u32_e32 v206, vcc_lo, s83, v206, vcc_lo
	scratch_store_b32 off, v32, off offset:28 ; 4-byte Folded Spill
	scratch_load_b32 v32, off, off offset:32 ; 4-byte Folded Reload
	v_add_co_u32 v65, vcc_lo, v65, s7
	v_add_co_ci_u32_e32 v66, vcc_lo, 0, v66, vcc_lo
	v_add_co_u32 v63, vcc_lo, v14, s7
	scratch_load_b32 v14, off, off offset:68 ; 4-byte Folded Reload
	v_add_co_ci_u32_e32 v61, vcc_lo, 0, v61, vcc_lo
	v_add_co_u32 v62, vcc_lo, v62, s7
	v_add_co_ci_u32_e32 v64, vcc_lo, 0, v17, vcc_lo
	scratch_load_b32 v17, off, off offset:1396 ; 4-byte Folded Reload
	s_waitcnt vmcnt(2)
	v_add_co_u32 v32, vcc_lo, v32, s6
	scratch_store_b32 off, v32, off offset:32 ; 4-byte Folded Spill
	scratch_load_b32 v32, off, off offset:36 ; 4-byte Folded Reload
	s_waitcnt vmcnt(0)
	v_add_co_ci_u32_e32 v32, vcc_lo, 0, v32, vcc_lo
	scratch_store_b32 off, v32, off offset:36 ; 4-byte Folded Spill
	scratch_load_b32 v32, off, off offset:900 ; 4-byte Folded Reload
	s_waitcnt vmcnt(0)
	v_add_co_u32 v32, vcc_lo, v32, s6
	v_add_co_ci_u32_e32 v33, vcc_lo, 0, v33, vcc_lo
	v_add_co_u32 v67, vcc_lo, v67, s7
	v_add_co_ci_u32_e32 v54, vcc_lo, 0, v54, vcc_lo
	;; [unrolled: 2-line block ×3, first 2 shown]
	v_add_co_u32 v15, vcc_lo, v95, s7
	scratch_load_b32 v95, off, off offset:1392 ; 4-byte Folded Reload
	s_waitcnt vmcnt(0)
	v_add_co_ci_u32_e32 v95, vcc_lo, 0, v95, vcc_lo
	v_add_co_u32 v2, vcc_lo, v2, s7
	v_add_co_ci_u32_e32 v14, vcc_lo, 0, v14, vcc_lo
	v_add_co_u32 v5, vcc_lo, v5, s7
	;; [unrolled: 2-line block ×110, first 2 shown]
	s_clause 0x1
	scratch_store_b32 off, v85, off offset:472
	scratch_store_b32 off, v87, off offset:480
	scratch_load_b32 v87, off, off offset:1360 ; 4-byte Folded Reload
	scratch_store_b32 off, v18, off offset:40 ; 4-byte Folded Spill
	scratch_load_b32 v18, off, off offset:44 ; 4-byte Folded Reload
	s_waitcnt vmcnt(0)
	v_add_co_ci_u32_e32 v18, vcc_lo, 0, v18, vcc_lo
	scratch_store_b32 off, v86, off offset:476 ; 4-byte Folded Spill
	scratch_load_b32 v86, off, off offset:1368 ; 4-byte Folded Reload
	scratch_store_b32 off, v18, off offset:44 ; 4-byte Folded Spill
	scratch_load_b32 v18, off, off offset:48 ; 4-byte Folded Reload
	s_waitcnt vmcnt(0)
	v_add_co_u32 v18, vcc_lo, v18, s7
	v_add_co_ci_u32_e32 v89, vcc_lo, 0, v89, vcc_lo
	s_clause 0x1
	scratch_store_b32 off, v26, off offset:484
	scratch_store_b32 off, v18, off offset:48
	scratch_load_b32 v18, off, off offset:52 ; 4-byte Folded Reload
	scratch_store_b32 off, v89, off offset:492 ; 4-byte Folded Spill
	s_waitcnt vmcnt(0)
	v_add_co_u32 v18, vcc_lo, v18, s7
	s_clause 0x1
	scratch_store_b32 off, v27, off offset:488
	scratch_store_b32 off, v18, off offset:52
	scratch_load_b32 v18, off, off offset:1388 ; 4-byte Folded Reload
	s_waitcnt vmcnt(0)
	v_add_co_ci_u32_e32 v18, vcc_lo, 0, v18, vcc_lo
	v_add_co_u32 v19, vcc_lo, v19, s7
	v_add_co_ci_u32_e32 v20, vcc_lo, 0, v21, vcc_lo
	scratch_load_b32 v21, off, off offset:1376 ; 4-byte Folded Reload
	s_waitcnt vmcnt(0)
	v_add_co_u32 v21, vcc_lo, v21, s7
	v_add_co_ci_u32_e32 v22, vcc_lo, 0, v22, vcc_lo
	v_add_co_u32 v23, vcc_lo, v23, s7
	v_add_co_ci_u32_e32 v85, vcc_lo, 0, v84, vcc_lo
	scratch_load_b32 v84, off, off offset:1364 ; 4-byte Folded Reload
	s_waitcnt vmcnt(0)
	v_add_co_u32 v84, vcc_lo, v84, s7
	;; [unrolled: 6-line block ×3, first 2 shown]
	v_add_co_ci_u32_e32 v90, vcc_lo, 0, v90, vcc_lo
	v_add_co_u32 v25, vcc_lo, v25, s7
	v_add_co_ci_u32_e32 v26, vcc_lo, 0, v24, vcc_lo
	v_add_co_u32 v24, vcc_lo, v91, s7
	;; [unrolled: 2-line block ×3, first 2 shown]
	v_add_co_ci_u32_e32 v94, vcc_lo, 0, v28, vcc_lo
	scratch_load_b32 v28, off, off offset:1348 ; 4-byte Folded Reload
	s_waitcnt vmcnt(0)
	v_add_co_u32 v28, vcc_lo, v28, s7
	v_add_co_ci_u32_e32 v91, vcc_lo, 0, v31, vcc_lo
	scratch_load_b32 v31, off, off offset:1344 ; 4-byte Folded Reload
	s_waitcnt vmcnt(0)
	v_add_co_u32 v31, vcc_lo, v31, s7
	v_add_co_ci_u32_e32 v92, vcc_lo, 0, v92, vcc_lo
	s_cbranch_scc1 .LBB31_48
; %bb.47:                               ;   in Loop: Header=BB31_21 Depth=1
	s_clause 0x1f
	scratch_store_b32 off, v74, off offset:772
	scratch_store_b32 off, v73, off offset:764
	scratch_store_b32 off, v72, off offset:768
	scratch_store_b32 off, v57, off offset:756
	scratch_store_b32 off, v6, off offset:760
	scratch_store_b32 off, v75, off offset:748
	scratch_store_b32 off, v30, off offset:752
	scratch_store_b32 off, v52, off offset:740
	scratch_store_b32 off, v204, off offset:744
	scratch_store_b32 off, v29, off offset:728
	scratch_store_b32 off, v203, off offset:736
	scratch_store_b32 off, v47, off offset:724
	scratch_store_b32 off, v46, off offset:732
	scratch_store_b32 off, v45, off offset:716
	scratch_store_b32 off, v44, off offset:720
	scratch_store_b32 off, v43, off offset:712
	scratch_store_b32 off, v132, off offset:696
	scratch_store_b32 off, v8, off offset:776
	scratch_store_b32 off, v58, off offset:692
	scratch_store_b32 off, v59, off offset:688
	scratch_store_b32 off, v51, off offset:684
	scratch_store_b32 off, v60, off offset:680
	scratch_store_b32 off, v13, off offset:676
	scratch_store_b32 off, v56, off offset:672
	scratch_store_b32 off, v55, off offset:668
	scratch_store_b32 off, v53, off offset:664
	scratch_store_b32 off, v50, off offset:660
	scratch_store_b32 off, v49, off offset:656
	scratch_store_b32 off, v113, off offset:652
	scratch_store_b32 off, v235, off offset:648
	scratch_store_b32 off, v233, off offset:644
	scratch_store_b32 off, v232, off offset:640
	s_clause 0x1f
	scratch_store_b32 off, v231, off offset:636
	scratch_store_b32 off, v230, off offset:632
	scratch_store_b32 off, v229, off offset:628
	scratch_store_b32 off, v228, off offset:624
	scratch_store_b32 off, v227, off offset:620
	scratch_store_b32 off, v226, off offset:616
	scratch_store_b32 off, v224, off offset:612
	scratch_store_b32 off, v223, off offset:608
	scratch_store_b32 off, v222, off offset:604
	scratch_store_b32 off, v221, off offset:600
	scratch_store_b32 off, v220, off offset:596
	scratch_store_b32 off, v219, off offset:592
	scratch_store_b32 off, v218, off offset:588
	scratch_store_b32 off, v217, off offset:1320
	scratch_store_b32 off, v216, off offset:1324
	scratch_store_b32 off, v215, off offset:1312
	scratch_store_b32 off, v214, off offset:1316
	scratch_store_b32 off, v213, off offset:1304
	scratch_store_b32 off, v212, off offset:1308
	scratch_store_b32 off, v211, off offset:1296
	scratch_store_b32 off, v210, off offset:1300
	scratch_store_b32 off, v209, off offset:1288
	scratch_store_b32 off, v208, off offset:1292
	scratch_store_b32 off, v201, off offset:1280
	scratch_store_b32 off, v200, off offset:1284
	scratch_store_b32 off, v199, off offset:1272
	scratch_store_b32 off, v198, off offset:1276
	scratch_store_b32 off, v197, off offset:1264
	scratch_store_b32 off, v196, off offset:1268
	scratch_store_b32 off, v195, off offset:1256
	scratch_store_b32 off, v194, off offset:1260
	scratch_store_b32 off, v193, off offset:1248
	;; [unrolled: 33-line block ×5, first 2 shown]
	s_clause 0x1f
	scratch_store_b32 off, v247, off offset:808
	scratch_store_b32 off, v248, off offset:560
	;; [unrolled: 1-line block ×20, first 2 shown]
	scratch_store_b32 off, v11, off
	scratch_store_b32 off, v10, off offset:8
	scratch_store_b32 off, v122, off offset:548
	;; [unrolled: 1-line block ×11, first 2 shown]
	s_clause 0xb
	scratch_store_b32 off, v68, off offset:508
	scratch_store_b32 off, v48, off offset:504
	;; [unrolled: 1-line block ×12, first 2 shown]
	s_clause 0x1
	scratch_load_b32 v129, off, off offset:12
	scratch_load_b64 v[112:113], off, off offset:1328
	v_dual_mov_b32 v73, v42 :: v_dual_mov_b32 v72, v41
	v_dual_mov_b32 v57, v40 :: v_dual_mov_b32 v30, v38
	;; [unrolled: 1-line block ×3, first 2 shown]
	v_mov_b32_e32 v52, v36
	v_dual_mov_b32 v154, v17 :: v_dual_mov_b32 v37, v114
	v_mov_b32_e32 v152, v9
	v_dual_mov_b32 v148, v95 :: v_dual_mov_b32 v53, v205
	v_mov_b32_e32 v150, v0
	v_mov_b32_e32 v142, v54
	;; [unrolled: 1-line block ×4, first 2 shown]
	v_dual_mov_b32 v140, v63 :: v_dual_mov_b32 v67, v206
	v_mov_b32_e32 v36, v115
	s_branch .LBB31_21
.LBB31_48:
	s_clause 0x5
	scratch_load_b32 v36, off, off offset:1428
	scratch_load_b32 v37, off, off offset:1432
	;; [unrolled: 1-line block ×5, first 2 shown]
	scratch_load_b64 v[17:18], off, off offset:1328
.LBB31_49:
	s_cmp_eq_u64 s[64:65], 0
	s_cselect_b32 s1, -1, 0
	s_cmp_lg_u32 s14, 0
	s_cselect_b32 s4, -1, 0
	s_delay_alu instid0(SALU_CYCLE_1) | instskip(NEXT) | instid1(SALU_CYCLE_1)
	s_or_b32 s1, s4, s1
	s_or_b32 s0, s0, s1
	s_delay_alu instid0(SALU_CYCLE_1) | instskip(NEXT) | instid1(SALU_CYCLE_1)
	s_xor_b32 s0, s0, -1
	s_and_saveexec_b32 s1, s0
	s_cbranch_execz .LBB31_51
; %bb.50:
	s_ashr_i32 s79, s78, 31
	s_waitcnt vmcnt(4)
	v_cmp_eq_u32_e32 vcc_lo, 1, v37
	s_lshl_b64 s[4:5], s[78:79], 2
	v_lshl_add_u32 v9, v37, 4, v124
	s_add_u32 s4, s64, s4
	s_addc_u32 s5, s65, s5
	s_load_b32 s0, s[4:5], 0x0
	v_cndmask_b32_e32 v0, v114, v115, vcc_lo
	s_delay_alu instid0(VALU_DEP_1) | instskip(SKIP_2) | instid1(VALU_DEP_1)
	v_max_f32_e32 v1, v0, v0
	s_waitcnt lgkmcnt(0)
	v_max_f32_e64 v2, s0, s0
	v_max_f32_e32 v4, v2, v1
	s_delay_alu instid0(VALU_DEP_1) | instskip(SKIP_1) | instid1(VALU_DEP_1)
	v_sub_f32_e32 v5, s0, v4
	v_sub_f32_e32 v6, v0, v4
	v_dual_mul_f32 v0, 0x3fb8aa3b, v5 :: v_dual_mul_f32 v1, 0x3fb8aa3b, v6
	v_cmp_ngt_f32_e64 s0, 0xc2ce8ed0, v5
	v_cndmask_b32_e32 v115, v115, v4, vcc_lo
	s_delay_alu instid0(VALU_DEP_3) | instskip(SKIP_3) | instid1(VALU_DEP_4)
	v_fma_f32 v2, 0x3fb8aa3b, v5, -v0
	v_rndne_f32_e32 v3, v0
	v_fma_f32 v7, 0x3fb8aa3b, v6, -v1
	v_rndne_f32_e32 v8, v1
	v_fmac_f32_e32 v2, 0x32a5705f, v5
	s_delay_alu instid0(VALU_DEP_3) | instskip(NEXT) | instid1(VALU_DEP_3)
	v_dual_sub_f32 v0, v0, v3 :: v_dual_fmac_f32 v7, 0x32a5705f, v6
	v_sub_f32_e32 v1, v1, v8
	v_cvt_i32_f32_e32 v8, v8
	s_delay_alu instid0(VALU_DEP_2) | instskip(NEXT) | instid1(VALU_DEP_1)
	v_dual_add_f32 v0, v0, v2 :: v_dual_add_f32 v1, v1, v7
	v_exp_f32_e32 v0, v0
	s_delay_alu instid0(VALU_DEP_1)
	v_exp_f32_e32 v7, v1
	v_cvt_i32_f32_e32 v1, v3
	s_waitcnt_depctr 0xfff
	v_ldexp_f32 v10, v0, v1
	ds_load_b128 v[0:3], v9
	v_ldexp_f32 v7, v7, v8
	v_cndmask_b32_e64 v8, 0, v10, s0
	v_cmp_ngt_f32_e64 s0, 0xc2ce8ed0, v6
	s_delay_alu instid0(VALU_DEP_1) | instskip(SKIP_1) | instid1(VALU_DEP_1)
	v_cndmask_b32_e64 v7, 0, v7, s0
	v_cmp_nlt_f32_e64 s0, 0x42b17218, v5
	v_cndmask_b32_e64 v5, 0x7f800000, v8, s0
	v_cmp_nlt_f32_e64 s0, 0x42b17218, v6
	s_delay_alu instid0(VALU_DEP_1) | instskip(SKIP_3) | instid1(VALU_DEP_3)
	v_cndmask_b32_e64 v6, 0x7f800000, v7, s0
	v_cmp_eq_u32_e64 s0, 0, v36
	s_waitcnt vmcnt(0)
	v_cndmask_b32_e32 v7, v17, v18, vcc_lo
	v_cvt_f16_f32_e32 v8, v6
	s_delay_alu instid0(VALU_DEP_3) | instskip(SKIP_2) | instid1(VALU_DEP_3)
	v_cndmask_b32_e64 v5, 0, v5, s0
	v_cmp_eq_u32_e64 s0, 0, v37
	s_waitcnt lgkmcnt(0)
	v_pk_mul_f16 v0, v8, v0 op_sel_hi:[0,1]
	s_delay_alu instid0(VALU_DEP_3) | instskip(NEXT) | instid1(VALU_DEP_3)
	v_fmac_f32_e32 v5, v7, v6
	v_cndmask_b32_e64 v114, v114, v4, s0
	v_pk_mul_f16 v1, v8, v1 op_sel_hi:[0,1]
	v_pk_mul_f16 v2, v8, v2 op_sel_hi:[0,1]
	;; [unrolled: 1-line block ×3, first 2 shown]
	v_cndmask_b32_e32 v18, v18, v5, vcc_lo
	v_cndmask_b32_e64 v17, v17, v5, s0
	ds_store_b128 v9, v[0:3]
.LBB31_51:
	s_or_b32 exec_lo, exec_lo, s1
	s_delay_alu instid0(SALU_CYCLE_1)
	s_mov_b32 s0, exec_lo
	s_waitcnt vmcnt(4)
	v_cmpx_eq_u32_e32 0, v37
	s_cbranch_execz .LBB31_53
; %bb.52:
	v_mov_b32_e32 v0, 0xfeffffff
	s_waitcnt vmcnt(1)
	v_dual_mov_b32 v2, 0 :: v_dual_add_nc_u32 v1, 0x800, v39
	ds_store_2addr_b32 v1, v0, v0 offset1:32
	ds_store_2addr_b32 v1, v2, v2 offset0:64 offset1:96
.LBB31_53:
	s_or_b32 exec_lo, exec_lo, s0
	v_cmp_eq_u32_e64 s0, 0, v36
	s_waitcnt vmcnt(0) lgkmcnt(0)
	s_waitcnt_vscnt null, 0x0
	s_barrier
	buffer_gl0_inv
	s_and_saveexec_b32 s1, s0
	s_cbranch_execz .LBB31_55
; %bb.54:
	v_lshlrev_b32_e32 v0, 2, v37
	s_delay_alu instid0(VALU_DEP_1)
	v_add_nc_u32_e32 v0, 0x800, v0
	ds_store_2addr_b32 v0, v114, v115 offset1:32
.LBB31_55:
	s_or_b32 exec_lo, exec_lo, s1
	s_cmp_lt_i32 s80, s76
	s_waitcnt lgkmcnt(0)
	s_barrier
	buffer_gl0_inv
	s_cbranch_scc1 .LBB31_57
; %bb.56:
	s_load_b32 s4, s[2:3], 0xd4
	s_cbranch_execz .LBB31_58
	s_branch .LBB31_65
.LBB31_57:
                                        ; implicit-def: $sgpr4
.LBB31_58:
	v_mbcnt_lo_u32_b32 v7, -1, 0
	ds_load_b32 v0, v39 offset:2048
	s_waitcnt lgkmcnt(0)
	s_load_b32 s4, s[2:3], 0xd4
	v_lshlrev_b32_e32 v13, 3, v36
	v_xor_b32_e32 v1, 16, v7
	v_xor_b32_e32 v3, 8, v7
	;; [unrolled: 1-line block ×4, first 2 shown]
	s_delay_alu instid0(VALU_DEP_4) | instskip(SKIP_2) | instid1(VALU_DEP_2)
	v_cmp_gt_i32_e32 vcc_lo, 32, v1
	v_cndmask_b32_e32 v1, v7, v1, vcc_lo
	v_cmp_gt_i32_e32 vcc_lo, 32, v3
	v_dual_cndmask_b32 v3, v7, v3 :: v_dual_lshlrev_b32 v2, 2, v1
	v_cmp_gt_i32_e32 vcc_lo, 32, v4
	ds_bpermute_b32 v1, v2, v0
	v_max_f32_e32 v0, v0, v0
	v_cndmask_b32_e32 v4, v7, v4, vcc_lo
	v_cmp_gt_i32_e32 vcc_lo, 32, v5
	s_delay_alu instid0(VALU_DEP_2) | instskip(NEXT) | instid1(VALU_DEP_1)
	v_dual_cndmask_b32 v5, v7, v5 :: v_dual_lshlrev_b32 v4, 2, v4
	v_lshlrev_b32_e32 v6, 2, v5
	v_xor_b32_e32 v5, 1, v7
	s_delay_alu instid0(VALU_DEP_1) | instskip(SKIP_4) | instid1(VALU_DEP_3)
	v_cmp_gt_i32_e32 vcc_lo, 32, v5
	s_waitcnt lgkmcnt(0)
	v_max_f32_e32 v1, v1, v1
	v_lshlrev_b32_e32 v3, 2, v3
	v_cndmask_b32_e32 v5, v7, v5, vcc_lo
	v_max_f32_e32 v0, v0, v1
	s_delay_alu instid0(VALU_DEP_2) | instskip(SKIP_3) | instid1(VALU_DEP_1)
	v_lshlrev_b32_e32 v5, 2, v5
	ds_bpermute_b32 v1, v3, v0
	s_waitcnt lgkmcnt(0)
	v_max_f32_e32 v1, v1, v1
	v_max_f32_e32 v0, v0, v1
	ds_bpermute_b32 v1, v4, v0
	s_waitcnt lgkmcnt(0)
	v_max_f32_e32 v1, v1, v1
	s_delay_alu instid0(VALU_DEP_1) | instskip(SKIP_3) | instid1(VALU_DEP_1)
	v_max_f32_e32 v0, v0, v1
	ds_bpermute_b32 v1, v6, v0
	s_waitcnt lgkmcnt(0)
	v_max_f32_e32 v1, v1, v1
	v_max_f32_e32 v0, v0, v1
	ds_bpermute_b32 v1, v5, v0
	s_waitcnt lgkmcnt(0)
	v_max_f32_e32 v1, v1, v1
	s_delay_alu instid0(VALU_DEP_1) | instskip(NEXT) | instid1(VALU_DEP_1)
	v_max_f32_e32 v0, v0, v1
	v_sub_f32_e32 v1, v114, v0
	s_delay_alu instid0(VALU_DEP_1) | instskip(SKIP_1) | instid1(VALU_DEP_2)
	v_mul_f32_e32 v7, 0x3fb8aa3b, v1
	v_cmp_ngt_f32_e32 vcc_lo, 0xc2ce8ed0, v1
	v_fma_f32 v8, 0x3fb8aa3b, v1, -v7
	v_rndne_f32_e32 v9, v7
	s_delay_alu instid0(VALU_DEP_1) | instskip(NEXT) | instid1(VALU_DEP_1)
	v_dual_fmamk_f32 v8, v1, 0x32a5705f, v8 :: v_dual_sub_f32 v7, v7, v9
	v_add_f32_e32 v7, v7, v8
	v_cvt_i32_f32_e32 v8, v9
	ds_load_b128 v[9:12], v124
	v_exp_f32_e32 v7, v7
	s_waitcnt_depctr 0xfff
	v_ldexp_f32 v7, v7, v8
	s_delay_alu instid0(VALU_DEP_1) | instskip(SKIP_1) | instid1(VALU_DEP_2)
	v_cndmask_b32_e32 v7, 0, v7, vcc_lo
	v_cmp_nlt_f32_e32 vcc_lo, 0x42b17218, v1
	v_cndmask_b32_e32 v7, 0x7f800000, v7, vcc_lo
	s_delay_alu instid0(VALU_DEP_1)
	v_mul_f32_e32 v1, v17, v7
	ds_bpermute_b32 v1, v2, v1
	s_waitcnt lgkmcnt(0)
	v_fmac_f32_e32 v1, v17, v7
	v_cvt_f16_f32_e32 v7, v7
	ds_bpermute_b32 v8, v3, v1
	v_pk_mul_f16 v9, v7, v9 op_sel_hi:[0,1]
	v_pk_mul_f16 v10, v7, v10 op_sel_hi:[0,1]
	;; [unrolled: 1-line block ×4, first 2 shown]
	v_add_nc_u32_e32 v7, v38, v13
	ds_store_b128 v124, v[9:12]
	ds_store_2addr_b64 v7, v[9:10], v[11:12] offset1:32
	s_waitcnt lgkmcnt(2)
	v_add_f32_e32 v1, v1, v8
	ds_bpermute_b32 v8, v4, v1
	s_waitcnt lgkmcnt(0)
	v_add_f32_e32 v1, v1, v8
	ds_bpermute_b32 v8, v6, v1
	;; [unrolled: 3-line block ×3, first 2 shown]
	s_and_saveexec_b32 s1, s0
	s_cbranch_execz .LBB31_60
; %bb.59:
	s_waitcnt lgkmcnt(0)
	v_dual_add_f32 v1, v1, v8 :: v_dual_lshlrev_b32 v8, 2, v37
	ds_store_b32 v8, v1 offset:2304
.LBB31_60:
	s_or_b32 exec_lo, exec_lo, s1
	s_waitcnt lgkmcnt(0)
	s_barrier
	buffer_gl0_inv
	scratch_load_b32 v16, off, off offset:1404 ; 4-byte Folded Reload
	ds_load_b32 v1, v39 offset:2304
	s_cmp_eq_u32 s4, 1
	s_mul_i32 s3, s86, s76
	s_cselect_b32 s1, -1, 0
	s_add_i32 s3, s3, s80
	s_waitcnt vmcnt(0)
	ds_load_u16 v8, v16
	ds_load_u16 v9, v16 offset:1280
	ds_load_u16 v10, v16 offset:768
	;; [unrolled: 1-line block ×3, first 2 shown]
	s_waitcnt lgkmcnt(4)
	ds_bpermute_b32 v12, v2, v1
	ds_load_u16 v13, v16 offset:512
	ds_load_u16 v14, v16 offset:1024
	;; [unrolled: 1-line block ×3, first 2 shown]
	s_mul_i32 s3, s3, s77
	s_delay_alu instid0(SALU_CYCLE_1) | instskip(NEXT) | instid1(SALU_CYCLE_1)
	s_add_i32 s3, s3, s78
	s_mul_i32 s5, s4, s3
	s_delay_alu instid0(SALU_CYCLE_1)
	s_add_i32 s5, s5, s14
	s_waitcnt lgkmcnt(7)
	v_cvt_f32_f16_e32 v8, v8
	s_waitcnt lgkmcnt(6)
	v_cvt_f32_f16_e32 v9, v9
	;; [unrolled: 2-line block ×4, first 2 shown]
	v_add_f32_e32 v8, 0, v8
	v_add_f32_e32 v1, v1, v12
	s_waitcnt lgkmcnt(0)
	v_cvt_f32_f16_e32 v15, v15
	v_cvt_f32_f16_e32 v11, v11
	v_add_f32_e32 v8, v8, v13
	ds_bpermute_b32 v12, v3, v1
	ds_load_u16 v13, v16 offset:1792
	v_add_f32_e32 v8, v8, v14
	s_delay_alu instid0(VALU_DEP_1)
	v_add_f32_e32 v14, v8, v15
	s_waitcnt lgkmcnt(1)
	v_dual_add_f32 v8, 0, v11 :: v_dual_add_f32 v1, v1, v12
	s_waitcnt lgkmcnt(0)
	v_cvt_f32_f16_e32 v11, v13
	ds_bpermute_b32 v12, v4, v1
	s_waitcnt lgkmcnt(0)
	v_add_f32_e32 v1, v1, v12
	ds_bpermute_b32 v12, v6, v1
	s_waitcnt lgkmcnt(0)
	v_add_f32_e32 v1, v1, v12
	;; [unrolled: 3-line block ×3, first 2 shown]
	v_cvt_f32_f16_e32 v1, v10
	s_delay_alu instid0(VALU_DEP_2) | instskip(NEXT) | instid1(VALU_DEP_2)
	v_div_scale_f32 v10, null, v17, v17, v14
	v_add_f32_e32 v1, v8, v1
	v_div_scale_f32 v12, vcc_lo, v14, v17, v14
	s_delay_alu instid0(VALU_DEP_3) | instskip(NEXT) | instid1(VALU_DEP_2)
	v_rcp_f32_e32 v8, v10
	v_add_f32_e32 v1, v1, v9
	s_delay_alu instid0(VALU_DEP_1) | instskip(SKIP_3) | instid1(VALU_DEP_2)
	v_add_f32_e32 v1, v1, v11
	s_waitcnt_depctr 0xfff
	v_fma_f32 v9, -v10, v8, 1.0
	v_div_scale_f32 v11, null, v17, v17, v1
	v_fmac_f32_e32 v8, v9, v8
	s_delay_alu instid0(VALU_DEP_2) | instskip(NEXT) | instid1(VALU_DEP_1)
	v_rcp_f32_e32 v13, v11
	v_mul_f32_e32 v9, v12, v8
	s_delay_alu instid0(VALU_DEP_1) | instskip(SKIP_4) | instid1(VALU_DEP_3)
	v_fma_f32 v15, -v10, v9, v12
	s_waitcnt_depctr 0xfff
	v_fma_f32 v16, -v11, v13, 1.0
	v_fmac_f32_e32 v9, v15, v8
	v_div_scale_f32 v15, s2, v1, v17, v1
	v_fmac_f32_e32 v13, v16, v13
	s_delay_alu instid0(VALU_DEP_3) | instskip(NEXT) | instid1(VALU_DEP_2)
	v_fma_f32 v10, -v10, v9, v12
	v_mul_f32_e32 v12, v15, v13
	s_delay_alu instid0(VALU_DEP_2) | instskip(SKIP_2) | instid1(VALU_DEP_2)
	v_div_fmas_f32 v8, v10, v8, v9
	s_mov_b32 vcc_lo, s2
	s_or_b32 s2, s80, 1
	v_fma_f32 v9, -v11, v12, v15
	s_cmp_ge_i32 s2, s76
	v_div_fixup_f32 v10, v8, v17, v14
	v_lshl_or_b32 v8, s5, 8, v33
	s_delay_alu instid0(VALU_DEP_3) | instskip(NEXT) | instid1(VALU_DEP_3)
	v_dual_fmac_f32 v12, v9, v13 :: v_dual_mov_b32 v9, 0
	v_cndmask_b32_e64 v10, v14, v10, s1
	s_delay_alu instid0(VALU_DEP_2) | instskip(NEXT) | instid1(VALU_DEP_3)
	v_fma_f32 v11, -v11, v12, v15
	v_lshlrev_b64 v[8:9], 2, v[8:9]
	s_delay_alu instid0(VALU_DEP_2) | instskip(NEXT) | instid1(VALU_DEP_2)
	v_div_fmas_f32 v11, v11, v13, v12
	v_add_co_u32 v8, vcc_lo, s68, v8
	s_delay_alu instid0(VALU_DEP_3) | instskip(NEXT) | instid1(VALU_DEP_3)
	v_add_co_ci_u32_e32 v9, vcc_lo, s69, v9, vcc_lo
	v_div_fixup_f32 v11, v11, v17, v1
	s_delay_alu instid0(VALU_DEP_1)
	v_cndmask_b32_e64 v11, v1, v11, s1
	v_mov_b32_e32 v1, v115
	s_clause 0x1
	global_store_b32 v[8:9], v10, off
	global_store_b32 v[8:9], v11, off offset:512
	s_waitcnt_vscnt null, 0x0
	s_barrier
	buffer_gl0_inv
	s_cbranch_scc1 .LBB31_64
; %bb.61:
	v_or_b32_e32 v1, 0x800, v39
	ds_load_b32 v1, v1 offset:128
	s_waitcnt lgkmcnt(0)
	ds_bpermute_b32 v8, v2, v1
	s_waitcnt lgkmcnt(0)
	v_dual_max_f32 v1, v1, v1 :: v_dual_max_f32 v8, v8, v8
	s_delay_alu instid0(VALU_DEP_1) | instskip(SKIP_3) | instid1(VALU_DEP_1)
	v_max_f32_e32 v1, v1, v8
	ds_bpermute_b32 v8, v3, v1
	s_waitcnt lgkmcnt(0)
	v_max_f32_e32 v8, v8, v8
	v_max_f32_e32 v1, v1, v8
	ds_bpermute_b32 v8, v4, v1
	s_waitcnt lgkmcnt(0)
	v_max_f32_e32 v8, v8, v8
	s_delay_alu instid0(VALU_DEP_1) | instskip(SKIP_3) | instid1(VALU_DEP_1)
	v_max_f32_e32 v1, v1, v8
	ds_bpermute_b32 v8, v6, v1
	s_waitcnt lgkmcnt(0)
	v_max_f32_e32 v8, v8, v8
	v_max_f32_e32 v1, v1, v8
	ds_bpermute_b32 v8, v5, v1
	s_waitcnt lgkmcnt(0)
	v_max_f32_e32 v8, v8, v8
	s_delay_alu instid0(VALU_DEP_1) | instskip(NEXT) | instid1(VALU_DEP_1)
	v_max_f32_e32 v1, v1, v8
	v_sub_f32_e32 v8, v115, v1
	s_delay_alu instid0(VALU_DEP_1) | instskip(SKIP_1) | instid1(VALU_DEP_2)
	v_mul_f32_e32 v9, 0x3fb8aa3b, v8
	v_cmp_ngt_f32_e32 vcc_lo, 0xc2ce8ed0, v8
	v_fma_f32 v10, 0x3fb8aa3b, v8, -v9
	v_rndne_f32_e32 v11, v9
	s_delay_alu instid0(VALU_DEP_1) | instskip(NEXT) | instid1(VALU_DEP_1)
	v_dual_fmamk_f32 v10, v8, 0x32a5705f, v10 :: v_dual_sub_f32 v9, v9, v11
	v_add_f32_e32 v9, v9, v10
	v_cvt_i32_f32_e32 v10, v11
	ds_load_b128 v[11:14], v124 offset:16
	v_exp_f32_e32 v9, v9
	s_waitcnt_depctr 0xfff
	v_ldexp_f32 v9, v9, v10
	s_delay_alu instid0(VALU_DEP_1) | instskip(SKIP_1) | instid1(VALU_DEP_2)
	v_cndmask_b32_e32 v9, 0, v9, vcc_lo
	v_cmp_nlt_f32_e32 vcc_lo, 0x42b17218, v8
	v_cndmask_b32_e32 v8, 0x7f800000, v9, vcc_lo
	s_delay_alu instid0(VALU_DEP_1)
	v_mul_f32_e32 v9, v18, v8
	ds_bpermute_b32 v9, v2, v9
	s_waitcnt lgkmcnt(0)
	v_fmac_f32_e32 v9, v18, v8
	v_cvt_f16_f32_e32 v8, v8
	ds_bpermute_b32 v10, v3, v9
	v_pk_mul_f16 v11, v8, v11 op_sel_hi:[0,1]
	v_pk_mul_f16 v12, v8, v12 op_sel_hi:[0,1]
	;; [unrolled: 1-line block ×4, first 2 shown]
	v_add_nc_u32_e32 v8, 0x900, v39
	ds_store_b128 v124, v[11:14] offset:16
	ds_store_2addr_b64 v7, v[11:12], v[13:14] offset1:32
	s_waitcnt lgkmcnt(2)
	v_add_f32_e32 v9, v9, v10
	ds_bpermute_b32 v10, v4, v9
	s_waitcnt lgkmcnt(0)
	v_add_f32_e32 v9, v9, v10
	ds_bpermute_b32 v10, v6, v9
	;; [unrolled: 3-line block ×3, first 2 shown]
	s_and_saveexec_b32 s2, s0
	s_cbranch_execz .LBB31_63
; %bb.62:
	v_lshlrev_b32_e32 v7, 2, v37
	s_waitcnt lgkmcnt(0)
	v_add_f32_e32 v9, v9, v10
	ds_store_b32 v7, v9 offset:2432
.LBB31_63:
	s_or_b32 exec_lo, exec_lo, s2
	s_waitcnt lgkmcnt(0)
	s_barrier
	buffer_gl0_inv
	scratch_load_b32 v12, off, off offset:1404 ; 4-byte Folded Reload
	ds_load_b32 v7, v8 offset:128
	s_add_i32 s3, s3, s77
	s_waitcnt vmcnt(0)
	ds_load_u16 v8, v12
	ds_load_u16 v9, v12 offset:1280
	ds_load_u16 v10, v12 offset:768
	;; [unrolled: 1-line block ×3, first 2 shown]
	s_waitcnt lgkmcnt(4)
	ds_bpermute_b32 v2, v2, v7
	s_mul_i32 s2, s4, s3
	s_delay_alu instid0(SALU_CYCLE_1)
	s_add_i32 s2, s2, s14
	s_waitcnt lgkmcnt(4)
	v_cvt_f32_f16_e32 v8, v8
	s_waitcnt lgkmcnt(2)
	v_cvt_f32_f16_e32 v10, v10
	;; [unrolled: 2-line block ×3, first 2 shown]
	s_waitcnt lgkmcnt(0)
	s_delay_alu instid0(VALU_DEP_1)
	v_dual_add_f32 v2, v7, v2 :: v_dual_add_f32 v11, 0, v11
	ds_bpermute_b32 v3, v3, v2
	s_waitcnt lgkmcnt(0)
	v_add_f32_e32 v2, v2, v3
	ds_bpermute_b32 v3, v4, v2
	s_waitcnt lgkmcnt(0)
	v_add_f32_e32 v2, v2, v3
	ds_bpermute_b32 v3, v6, v2
	ds_load_u16 v4, v12 offset:512
	ds_load_u16 v6, v12 offset:1024
	;; [unrolled: 1-line block ×3, first 2 shown]
	s_waitcnt lgkmcnt(2)
	v_cvt_f32_f16_e32 v4, v4
	v_add_f32_e32 v2, v2, v3
	ds_load_u16 v3, v12 offset:1792
	s_waitcnt lgkmcnt(2)
	v_cvt_f32_f16_e32 v6, v6
	s_waitcnt lgkmcnt(1)
	v_cvt_f32_f16_e32 v7, v7
	ds_bpermute_b32 v5, v5, v2
	s_waitcnt lgkmcnt(1)
	v_cvt_f32_f16_e32 v3, v3
	v_add_f32_e32 v8, 0, v8
	s_waitcnt lgkmcnt(0)
	v_add_f32_e32 v18, v2, v5
	s_delay_alu instid0(VALU_DEP_2) | instskip(SKIP_2) | instid1(VALU_DEP_3)
	v_add_f32_e32 v4, v8, v4
	v_cvt_f32_f16_e32 v8, v9
	v_add_f32_e32 v9, v11, v10
	v_add_f32_e32 v4, v4, v6
	s_delay_alu instid0(VALU_DEP_2) | instskip(NEXT) | instid1(VALU_DEP_2)
	v_add_f32_e32 v6, v9, v8
	v_add_f32_e32 v4, v4, v7
	s_delay_alu instid0(VALU_DEP_2) | instskip(NEXT) | instid1(VALU_DEP_2)
	v_add_f32_e32 v5, v6, v3
	v_div_scale_f32 v2, null, v18, v18, v4
	s_delay_alu instid0(VALU_DEP_2) | instskip(SKIP_1) | instid1(VALU_DEP_3)
	v_div_scale_f32 v6, null, v18, v18, v5
	v_div_scale_f32 v10, vcc_lo, v4, v18, v4
	v_rcp_f32_e32 v7, v2
	s_delay_alu instid0(VALU_DEP_2) | instskip(SKIP_4) | instid1(VALU_DEP_1)
	v_rcp_f32_e32 v8, v6
	v_div_scale_f32 v11, s0, v5, v18, v5
	s_waitcnt_depctr 0xfff
	v_fma_f32 v3, -v2, v7, 1.0
	v_fma_f32 v9, -v6, v8, 1.0
	v_dual_fmac_f32 v7, v3, v7 :: v_dual_fmac_f32 v8, v9, v8
	s_delay_alu instid0(VALU_DEP_1) | instskip(NEXT) | instid1(VALU_DEP_1)
	v_dual_mul_f32 v9, v10, v7 :: v_dual_mul_f32 v12, v11, v8
	v_fma_f32 v3, -v2, v9, v10
	s_delay_alu instid0(VALU_DEP_2) | instskip(NEXT) | instid1(VALU_DEP_1)
	v_fma_f32 v13, -v6, v12, v11
	v_dual_fmac_f32 v9, v3, v7 :: v_dual_fmac_f32 v12, v13, v8
	v_mov_b32_e32 v3, 0
	s_delay_alu instid0(VALU_DEP_2) | instskip(NEXT) | instid1(VALU_DEP_3)
	v_fma_f32 v10, -v2, v9, v10
	v_fma_f32 v6, -v6, v12, v11
	v_lshl_or_b32 v2, s2, 8, v33
	s_delay_alu instid0(VALU_DEP_3) | instskip(SKIP_1) | instid1(VALU_DEP_2)
	v_div_fmas_f32 v7, v10, v7, v9
	s_mov_b32 vcc_lo, s0
	v_lshlrev_b64 v[2:3], 2, v[2:3]
	v_div_fmas_f32 v6, v6, v8, v12
	s_delay_alu instid0(VALU_DEP_3) | instskip(NEXT) | instid1(VALU_DEP_2)
	v_div_fixup_f32 v7, v7, v18, v4
	v_div_fixup_f32 v6, v6, v18, v5
	s_delay_alu instid0(VALU_DEP_4) | instskip(SKIP_1) | instid1(VALU_DEP_4)
	v_add_co_u32 v2, vcc_lo, s68, v2
	v_add_co_ci_u32_e32 v3, vcc_lo, s69, v3, vcc_lo
	v_cndmask_b32_e64 v4, v4, v7, s1
	s_delay_alu instid0(VALU_DEP_4)
	v_cndmask_b32_e64 v5, v5, v6, s1
	s_clause 0x1
	global_store_b32 v[2:3], v4, off
	global_store_b32 v[2:3], v5, off offset:512
.LBB31_64:
	v_dual_mov_b32 v115, v1 :: v_dual_mov_b32 v114, v0
.LBB31_65:
	v_or_b32_e32 v0, s80, v36
	v_cmp_gt_u32_e32 vcc_lo, 2, v33
	s_waitcnt lgkmcnt(0)
	s_cmp_lg_u32 s4, 1
	s_cselect_b32 s1, -1, 0
	v_cmp_gt_i32_e64 s0, s76, v0
	s_and_b32 s1, vcc_lo, s1
	s_delay_alu instid0(VALU_DEP_1) | instid1(SALU_CYCLE_1)
	s_and_b32 s0, s1, s0
	s_delay_alu instid0(SALU_CYCLE_1)
	s_and_saveexec_b32 s1, s0
	s_cbranch_execz .LBB31_67
; %bb.66:
	v_mad_u64_u32 v[1:2], null, s86, s76, v[0:1]
	v_cmp_eq_u32_e32 vcc_lo, 1, v33
	s_delay_alu instid0(VALU_DEP_2) | instskip(SKIP_1) | instid1(VALU_DEP_2)
	v_mad_u64_u32 v[2:3], null, v1, s77, s[78:79]
	v_cndmask_b32_e32 v3, v17, v18, vcc_lo
	v_mad_u64_u32 v[0:1], null, s4, v2, s[14:15]
	v_dual_mov_b32 v1, 0 :: v_dual_cndmask_b32 v2, v114, v115
	s_delay_alu instid0(VALU_DEP_1) | instskip(NEXT) | instid1(VALU_DEP_1)
	v_lshlrev_b64 v[0:1], 3, v[0:1]
	v_add_co_u32 v0, vcc_lo, s70, v0
	s_delay_alu instid0(VALU_DEP_2)
	v_add_co_ci_u32_e32 v1, vcc_lo, s71, v1, vcc_lo
	global_store_b64 v[0:1], v[2:3], off
.LBB31_67:
	s_nop 0
	s_sendmsg sendmsg(MSG_DEALLOC_VGPRS)
	s_endpgm
	.section	.rodata,"a",@progbits
	.p2align	6, 0x0
	.amdhsa_kernel _ZL18flash_attn_ext_vecILi256ELi2EL9ggml_type3ELS0_3ELb1EEvPKcS2_S2_S2_S2_PKiPfP15HIP_vector_typeIfLj2EEffffjfiS6_IjLj3EEiiiiiiiiiiiliiliiiiil
		.amdhsa_group_segment_fixed_size 6656
		.amdhsa_private_segment_fixed_size 1452
		.amdhsa_kernarg_size 464
		.amdhsa_user_sgpr_count 13
		.amdhsa_user_sgpr_dispatch_ptr 1
		.amdhsa_user_sgpr_queue_ptr 0
		.amdhsa_user_sgpr_kernarg_segment_ptr 1
		.amdhsa_user_sgpr_dispatch_id 0
		.amdhsa_user_sgpr_private_segment_size 0
		.amdhsa_wavefront_size32 1
		.amdhsa_uses_dynamic_stack 0
		.amdhsa_enable_private_segment 1
		.amdhsa_system_sgpr_workgroup_id_x 1
		.amdhsa_system_sgpr_workgroup_id_y 1
		.amdhsa_system_sgpr_workgroup_id_z 1
		.amdhsa_system_sgpr_workgroup_info 0
		.amdhsa_system_vgpr_workitem_id 2
		.amdhsa_next_free_vgpr 256
		.amdhsa_next_free_sgpr 95
		.amdhsa_reserve_vcc 1
		.amdhsa_float_round_mode_32 0
		.amdhsa_float_round_mode_16_64 0
		.amdhsa_float_denorm_mode_32 3
		.amdhsa_float_denorm_mode_16_64 3
		.amdhsa_dx10_clamp 1
		.amdhsa_ieee_mode 1
		.amdhsa_fp16_overflow 0
		.amdhsa_workgroup_processor_mode 1
		.amdhsa_memory_ordered 1
		.amdhsa_forward_progress 0
		.amdhsa_shared_vgpr_count 0
		.amdhsa_exception_fp_ieee_invalid_op 0
		.amdhsa_exception_fp_denorm_src 0
		.amdhsa_exception_fp_ieee_div_zero 0
		.amdhsa_exception_fp_ieee_overflow 0
		.amdhsa_exception_fp_ieee_underflow 0
		.amdhsa_exception_fp_ieee_inexact 0
		.amdhsa_exception_int_div_zero 0
	.end_amdhsa_kernel
	.section	.text._ZL18flash_attn_ext_vecILi256ELi2EL9ggml_type3ELS0_3ELb1EEvPKcS2_S2_S2_S2_PKiPfP15HIP_vector_typeIfLj2EEffffjfiS6_IjLj3EEiiiiiiiiiiiliiliiiiil,"axG",@progbits,_ZL18flash_attn_ext_vecILi256ELi2EL9ggml_type3ELS0_3ELb1EEvPKcS2_S2_S2_S2_PKiPfP15HIP_vector_typeIfLj2EEffffjfiS6_IjLj3EEiiiiiiiiiiiliiliiiiil,comdat
.Lfunc_end31:
	.size	_ZL18flash_attn_ext_vecILi256ELi2EL9ggml_type3ELS0_3ELb1EEvPKcS2_S2_S2_S2_PKiPfP15HIP_vector_typeIfLj2EEffffjfiS6_IjLj3EEiiiiiiiiiiiliiliiiiil, .Lfunc_end31-_ZL18flash_attn_ext_vecILi256ELi2EL9ggml_type3ELS0_3ELb1EEvPKcS2_S2_S2_S2_PKiPfP15HIP_vector_typeIfLj2EEffffjfiS6_IjLj3EEiiiiiiiiiiiliiliiiiil
                                        ; -- End function
	.section	.AMDGPU.csdata,"",@progbits
; Kernel info:
; codeLenInByte = 43584
; NumSgprs: 97
; NumVgprs: 256
; ScratchSize: 1452
; MemoryBound: 0
; FloatMode: 240
; IeeeMode: 1
; LDSByteSize: 6656 bytes/workgroup (compile time only)
; SGPRBlocks: 12
; VGPRBlocks: 31
; NumSGPRsForWavesPerEU: 97
; NumVGPRsForWavesPerEU: 256
; Occupancy: 5
; WaveLimiterHint : 0
; COMPUTE_PGM_RSRC2:SCRATCH_EN: 1
; COMPUTE_PGM_RSRC2:USER_SGPR: 13
; COMPUTE_PGM_RSRC2:TRAP_HANDLER: 0
; COMPUTE_PGM_RSRC2:TGID_X_EN: 1
; COMPUTE_PGM_RSRC2:TGID_Y_EN: 1
; COMPUTE_PGM_RSRC2:TGID_Z_EN: 1
; COMPUTE_PGM_RSRC2:TIDIG_COMP_CNT: 2
	.text
	.p2alignl 7, 3214868480
	.fill 96, 4, 3214868480
	.type	.str.1,@object                  ; @.str.1
	.section	.rodata.str1.1,"aMS",@progbits,1
.str.1:
	.asciz	"/root/src/amdgpu-assembly/repos/ggml-org__llama.cpp/ggml/src/ggml-cuda/template-instances/../fattn-vec.cuh"
	.size	.str.1, 107

	.type	__FUNCTION__._ZL18flash_attn_ext_vecILi64ELi1EL9ggml_type3ELS0_3ELb1EEvPKcS2_S2_S2_S2_PKiPfP15HIP_vector_typeIfLj2EEffffjfiS6_IjLj3EEiiiiiiiiiiiliiliiiiil,@object ; @__FUNCTION__._ZL18flash_attn_ext_vecILi64ELi1EL9ggml_type3ELS0_3ELb1EEvPKcS2_S2_S2_S2_PKiPfP15HIP_vector_typeIfLj2EEffffjfiS6_IjLj3EEiiiiiiiiiiiliiliiiiil
__FUNCTION__._ZL18flash_attn_ext_vecILi64ELi1EL9ggml_type3ELS0_3ELb1EEvPKcS2_S2_S2_S2_PKiPfP15HIP_vector_typeIfLj2EEffffjfiS6_IjLj3EEiiiiiiiiiiiliiliiiiil:
	.asciz	"flash_attn_ext_vec"
	.size	__FUNCTION__._ZL18flash_attn_ext_vecILi64ELi1EL9ggml_type3ELS0_3ELb1EEvPKcS2_S2_S2_S2_PKiPfP15HIP_vector_typeIfLj2EEffffjfiS6_IjLj3EEiiiiiiiiiiiliiliiiiil, 19

	.type	.str.3,@object                  ; @.str.3
.str.3:
	.asciz	"%s:%d: ERROR: HIP kernel %s has no device code compatible with HIP arch %d.\n"
	.size	.str.3, 77

	.type	__hip_cuid_fc49e34cdc85f69,@object ; @__hip_cuid_fc49e34cdc85f69
	.section	.bss,"aw",@nobits
	.globl	__hip_cuid_fc49e34cdc85f69
__hip_cuid_fc49e34cdc85f69:
	.byte	0                               ; 0x0
	.size	__hip_cuid_fc49e34cdc85f69, 1

	.ident	"AMD clang version 19.0.0git (https://github.com/RadeonOpenCompute/llvm-project roc-6.4.0 25133 c7fe45cf4b819c5991fe208aaa96edf142730f1d)"
	.section	".note.GNU-stack","",@progbits
	.addrsig
	.addrsig_sym __hip_cuid_fc49e34cdc85f69
	.amdgpu_metadata
---
amdhsa.kernels:
  - .args:
      - .address_space:  global
        .offset:         0
        .size:           8
        .value_kind:     global_buffer
      - .address_space:  global
        .offset:         8
        .size:           8
        .value_kind:     global_buffer
      - .address_space:  global
        .offset:         16
        .size:           8
        .value_kind:     global_buffer
      - .address_space:  global
        .offset:         24
        .size:           8
        .value_kind:     global_buffer
      - .address_space:  global
        .offset:         32
        .size:           8
        .value_kind:     global_buffer
      - .address_space:  global
        .offset:         40
        .size:           8
        .value_kind:     global_buffer
      - .address_space:  global
        .offset:         48
        .size:           8
        .value_kind:     global_buffer
      - .address_space:  global
        .offset:         56
        .size:           8
        .value_kind:     global_buffer
      - .offset:         64
        .size:           4
        .value_kind:     by_value
      - .offset:         68
        .size:           4
        .value_kind:     by_value
      - .offset:         72
        .size:           4
        .value_kind:     by_value
      - .offset:         76
        .size:           4
        .value_kind:     by_value
      - .offset:         80
        .size:           4
        .value_kind:     by_value
      - .offset:         84
        .size:           4
        .value_kind:     by_value
      - .offset:         88
        .size:           4
        .value_kind:     by_value
      - .offset:         92
        .size:           12
        .value_kind:     by_value
      - .offset:         104
        .size:           4
        .value_kind:     by_value
      - .offset:         108
        .size:           4
        .value_kind:     by_value
      - .offset:         112
        .size:           4
        .value_kind:     by_value
      - .offset:         116
        .size:           4
        .value_kind:     by_value
      - .offset:         120
        .size:           4
        .value_kind:     by_value
      - .offset:         124
        .size:           4
        .value_kind:     by_value
      - .offset:         128
        .size:           4
        .value_kind:     by_value
      - .offset:         132
        .size:           4
        .value_kind:     by_value
      - .offset:         136
        .size:           4
        .value_kind:     by_value
      - .offset:         140
        .size:           4
        .value_kind:     by_value
      - .offset:         144
        .size:           4
        .value_kind:     by_value
      - .offset:         152
        .size:           8
        .value_kind:     by_value
      - .offset:         160
        .size:           4
        .value_kind:     by_value
      - .offset:         164
        .size:           4
        .value_kind:     by_value
      - .offset:         168
        .size:           8
        .value_kind:     by_value
      - .offset:         176
        .size:           4
        .value_kind:     by_value
      - .offset:         180
        .size:           4
        .value_kind:     by_value
      - .offset:         184
        .size:           4
        .value_kind:     by_value
      - .offset:         188
        .size:           4
        .value_kind:     by_value
      - .offset:         192
        .size:           4
        .value_kind:     by_value
      - .offset:         200
        .size:           8
        .value_kind:     by_value
      - .offset:         208
        .size:           4
        .value_kind:     hidden_block_count_x
      - .offset:         212
        .size:           4
        .value_kind:     hidden_block_count_y
      - .offset:         216
        .size:           4
        .value_kind:     hidden_block_count_z
      - .offset:         220
        .size:           2
        .value_kind:     hidden_group_size_x
      - .offset:         222
        .size:           2
        .value_kind:     hidden_group_size_y
      - .offset:         224
        .size:           2
        .value_kind:     hidden_group_size_z
      - .offset:         226
        .size:           2
        .value_kind:     hidden_remainder_x
      - .offset:         228
        .size:           2
        .value_kind:     hidden_remainder_y
      - .offset:         230
        .size:           2
        .value_kind:     hidden_remainder_z
      - .offset:         248
        .size:           8
        .value_kind:     hidden_global_offset_x
      - .offset:         256
        .size:           8
        .value_kind:     hidden_global_offset_y
      - .offset:         264
        .size:           8
        .value_kind:     hidden_global_offset_z
      - .offset:         272
        .size:           2
        .value_kind:     hidden_grid_dims
    .group_segment_fixed_size: 1280
    .kernarg_segment_align: 8
    .kernarg_segment_size: 464
    .language:       OpenCL C
    .language_version:
      - 2
      - 0
    .max_flat_workgroup_size: 128
    .name:           _ZL18flash_attn_ext_vecILi64ELi1EL9ggml_type3ELS0_3ELb0EEvPKcS2_S2_S2_S2_PKiPfP15HIP_vector_typeIfLj2EEffffjfiS6_IjLj3EEiiiiiiiiiiiliiliiiiil
    .private_segment_fixed_size: 0
    .sgpr_count:     50
    .sgpr_spill_count: 0
    .symbol:         _ZL18flash_attn_ext_vecILi64ELi1EL9ggml_type3ELS0_3ELb0EEvPKcS2_S2_S2_S2_PKiPfP15HIP_vector_typeIfLj2EEffffjfiS6_IjLj3EEiiiiiiiiiiiliiliiiiil.kd
    .uniform_work_group_size: 1
    .uses_dynamic_stack: false
    .vgpr_count:     133
    .vgpr_spill_count: 0
    .wavefront_size: 32
    .workgroup_processor_mode: 1
  - .args:
      - .actual_access:  read_only
        .address_space:  global
        .offset:         0
        .size:           8
        .value_kind:     global_buffer
      - .actual_access:  write_only
        .address_space:  global
        .offset:         8
        .size:           8
        .value_kind:     global_buffer
      - .offset:         16
        .size:           4
        .value_kind:     by_value
      - .offset:         20
        .size:           4
        .value_kind:     by_value
      - .offset:         24
        .size:           4
        .value_kind:     by_value
      - .offset:         32
        .size:           4
        .value_kind:     hidden_block_count_x
      - .offset:         36
        .size:           4
        .value_kind:     hidden_block_count_y
      - .offset:         40
        .size:           4
        .value_kind:     hidden_block_count_z
      - .offset:         44
        .size:           2
        .value_kind:     hidden_group_size_x
      - .offset:         46
        .size:           2
        .value_kind:     hidden_group_size_y
      - .offset:         48
        .size:           2
        .value_kind:     hidden_group_size_z
      - .offset:         50
        .size:           2
        .value_kind:     hidden_remainder_x
      - .offset:         52
        .size:           2
        .value_kind:     hidden_remainder_y
      - .offset:         54
        .size:           2
        .value_kind:     hidden_remainder_z
      - .offset:         72
        .size:           8
        .value_kind:     hidden_global_offset_x
      - .offset:         80
        .size:           8
        .value_kind:     hidden_global_offset_y
      - .offset:         88
        .size:           8
        .value_kind:     hidden_global_offset_z
      - .offset:         96
        .size:           2
        .value_kind:     hidden_grid_dims
    .group_segment_fixed_size: 128
    .kernarg_segment_align: 8
    .kernarg_segment_size: 288
    .language:       OpenCL C
    .language_version:
      - 2
      - 0
    .max_flat_workgroup_size: 128
    .name:           _ZL25flash_attn_mask_to_KV_maxILi1EEvPK7__half2Piiii
    .private_segment_fixed_size: 0
    .sgpr_count:     18
    .sgpr_spill_count: 0
    .symbol:         _ZL25flash_attn_mask_to_KV_maxILi1EEvPK7__half2Piiii.kd
    .uniform_work_group_size: 1
    .uses_dynamic_stack: false
    .vgpr_count:     7
    .vgpr_spill_count: 0
    .wavefront_size: 32
    .workgroup_processor_mode: 1
  - .args:
      - .address_space:  global
        .offset:         0
        .size:           8
        .value_kind:     global_buffer
      - .address_space:  global
        .offset:         8
        .size:           8
        .value_kind:     global_buffer
      - .offset:         16
        .size:           4
        .value_kind:     by_value
      - .offset:         20
        .size:           4
        .value_kind:     by_value
      - .offset:         24
        .size:           4
        .value_kind:     by_value
      - .offset:         28
        .size:           4
        .value_kind:     by_value
      - .offset:         32
        .size:           4
        .value_kind:     by_value
      - .offset:         36
        .size:           4
        .value_kind:     by_value
      - .offset:         40
        .size:           12
        .value_kind:     by_value
      - .offset:         52
        .size:           12
        .value_kind:     by_value
      - .offset:         64
        .size:           12
        .value_kind:     by_value
    .group_segment_fixed_size: 0
    .kernarg_segment_align: 8
    .kernarg_segment_size: 76
    .language:       OpenCL C
    .language_version:
      - 2
      - 0
    .max_flat_workgroup_size: 64
    .name:           _ZL33flash_attn_stream_k_fixup_uniformILi64ELi1ELi1EEvPfPK15HIP_vector_typeIfLj2EEiiiiiiS1_IjLj3EES5_S5_
    .private_segment_fixed_size: 0
    .sgpr_count:     22
    .sgpr_spill_count: 0
    .symbol:         _ZL33flash_attn_stream_k_fixup_uniformILi64ELi1ELi1EEvPfPK15HIP_vector_typeIfLj2EEiiiiiiS1_IjLj3EES5_S5_.kd
    .uniform_work_group_size: 1
    .uses_dynamic_stack: false
    .vgpr_count:     15
    .vgpr_spill_count: 0
    .wavefront_size: 32
    .workgroup_processor_mode: 1
  - .args:
      - .address_space:  global
        .offset:         0
        .size:           8
        .value_kind:     global_buffer
      - .address_space:  global
        .offset:         8
        .size:           8
        .value_kind:     global_buffer
      - .offset:         16
        .size:           4
        .value_kind:     by_value
      - .offset:         20
        .size:           4
        .value_kind:     by_value
      - .offset:         24
        .size:           4
        .value_kind:     by_value
      - .offset:         28
        .size:           4
        .value_kind:     by_value
      - .offset:         32
        .size:           12
        .value_kind:     by_value
      - .offset:         44
        .size:           12
        .value_kind:     by_value
      - .offset:         56
        .size:           12
        .value_kind:     by_value
      - .offset:         68
        .size:           12
        .value_kind:     by_value
      - .offset:         80
        .size:           4
        .value_kind:     hidden_block_count_x
      - .offset:         84
        .size:           4
        .value_kind:     hidden_block_count_y
      - .offset:         88
        .size:           4
        .value_kind:     hidden_block_count_z
      - .offset:         92
        .size:           2
        .value_kind:     hidden_group_size_x
      - .offset:         94
        .size:           2
        .value_kind:     hidden_group_size_y
      - .offset:         96
        .size:           2
        .value_kind:     hidden_group_size_z
      - .offset:         98
        .size:           2
        .value_kind:     hidden_remainder_x
      - .offset:         100
        .size:           2
        .value_kind:     hidden_remainder_y
      - .offset:         102
        .size:           2
        .value_kind:     hidden_remainder_z
      - .offset:         120
        .size:           8
        .value_kind:     hidden_global_offset_x
      - .offset:         128
        .size:           8
        .value_kind:     hidden_global_offset_y
      - .offset:         136
        .size:           8
        .value_kind:     hidden_global_offset_z
      - .offset:         144
        .size:           2
        .value_kind:     hidden_grid_dims
    .group_segment_fixed_size: 0
    .kernarg_segment_align: 8
    .kernarg_segment_size: 336
    .language:       OpenCL C
    .language_version:
      - 2
      - 0
    .max_flat_workgroup_size: 64
    .name:           _ZL33flash_attn_stream_k_fixup_generalILi64ELi1ELi1EEvPfPK15HIP_vector_typeIfLj2EEiiiiS1_IjLj3EES5_S5_S5_
    .private_segment_fixed_size: 0
    .sgpr_count:     34
    .sgpr_spill_count: 0
    .symbol:         _ZL33flash_attn_stream_k_fixup_generalILi64ELi1ELi1EEvPfPK15HIP_vector_typeIfLj2EEiiiiS1_IjLj3EES5_S5_S5_.kd
    .uniform_work_group_size: 1
    .uses_dynamic_stack: false
    .vgpr_count:     19
    .vgpr_spill_count: 0
    .wavefront_size: 32
    .workgroup_processor_mode: 1
  - .args:
      - .address_space:  global
        .offset:         0
        .size:           8
        .value_kind:     global_buffer
      - .address_space:  global
        .offset:         8
        .size:           8
        .value_kind:     global_buffer
      - .address_space:  global
        .offset:         16
        .size:           8
        .value_kind:     global_buffer
      - .offset:         24
        .size:           4
        .value_kind:     by_value
      - .offset:         32
        .size:           4
        .value_kind:     hidden_block_count_x
      - .offset:         36
        .size:           4
        .value_kind:     hidden_block_count_y
      - .offset:         40
        .size:           4
        .value_kind:     hidden_block_count_z
      - .offset:         44
        .size:           2
        .value_kind:     hidden_group_size_x
      - .offset:         46
        .size:           2
        .value_kind:     hidden_group_size_y
      - .offset:         48
        .size:           2
        .value_kind:     hidden_group_size_z
      - .offset:         50
        .size:           2
        .value_kind:     hidden_remainder_x
      - .offset:         52
        .size:           2
        .value_kind:     hidden_remainder_y
      - .offset:         54
        .size:           2
        .value_kind:     hidden_remainder_z
      - .offset:         72
        .size:           8
        .value_kind:     hidden_global_offset_x
      - .offset:         80
        .size:           8
        .value_kind:     hidden_global_offset_y
      - .offset:         88
        .size:           8
        .value_kind:     hidden_global_offset_z
      - .offset:         96
        .size:           2
        .value_kind:     hidden_grid_dims
      - .offset:         152
        .size:           4
        .value_kind:     hidden_dynamic_lds_size
    .group_segment_fixed_size: 0
    .kernarg_segment_align: 8
    .kernarg_segment_size: 288
    .language:       OpenCL C
    .language_version:
      - 2
      - 0
    .max_flat_workgroup_size: 64
    .name:           _ZL26flash_attn_combine_resultsILi64EEvPKfPK15HIP_vector_typeIfLj2EEPfi
    .private_segment_fixed_size: 0
    .sgpr_count:     18
    .sgpr_spill_count: 0
    .symbol:         _ZL26flash_attn_combine_resultsILi64EEvPKfPK15HIP_vector_typeIfLj2EEPfi.kd
    .uniform_work_group_size: 1
    .uses_dynamic_stack: false
    .vgpr_count:     55
    .vgpr_spill_count: 0
    .wavefront_size: 32
    .workgroup_processor_mode: 1
  - .args:
      - .address_space:  global
        .offset:         0
        .size:           8
        .value_kind:     global_buffer
      - .address_space:  global
        .offset:         8
        .size:           8
        .value_kind:     global_buffer
      - .address_space:  global
        .offset:         16
        .size:           8
        .value_kind:     global_buffer
      - .address_space:  global
        .offset:         24
        .size:           8
        .value_kind:     global_buffer
      - .address_space:  global
        .offset:         32
        .size:           8
        .value_kind:     global_buffer
      - .address_space:  global
        .offset:         40
        .size:           8
        .value_kind:     global_buffer
      - .address_space:  global
        .offset:         48
        .size:           8
        .value_kind:     global_buffer
      - .address_space:  global
        .offset:         56
        .size:           8
        .value_kind:     global_buffer
      - .offset:         64
        .size:           4
        .value_kind:     by_value
      - .offset:         68
        .size:           4
        .value_kind:     by_value
      - .offset:         72
        .size:           4
        .value_kind:     by_value
      - .offset:         76
        .size:           4
        .value_kind:     by_value
      - .offset:         80
        .size:           4
        .value_kind:     by_value
      - .offset:         84
        .size:           4
        .value_kind:     by_value
      - .offset:         88
        .size:           4
        .value_kind:     by_value
      - .offset:         92
        .size:           12
        .value_kind:     by_value
      - .offset:         104
        .size:           4
        .value_kind:     by_value
      - .offset:         108
        .size:           4
        .value_kind:     by_value
      - .offset:         112
        .size:           4
        .value_kind:     by_value
      - .offset:         116
        .size:           4
        .value_kind:     by_value
      - .offset:         120
        .size:           4
        .value_kind:     by_value
      - .offset:         124
        .size:           4
        .value_kind:     by_value
      - .offset:         128
        .size:           4
        .value_kind:     by_value
      - .offset:         132
        .size:           4
        .value_kind:     by_value
      - .offset:         136
        .size:           4
        .value_kind:     by_value
      - .offset:         140
        .size:           4
        .value_kind:     by_value
      - .offset:         144
        .size:           4
        .value_kind:     by_value
      - .offset:         152
        .size:           8
        .value_kind:     by_value
      - .offset:         160
        .size:           4
        .value_kind:     by_value
      - .offset:         164
        .size:           4
        .value_kind:     by_value
      - .offset:         168
        .size:           8
        .value_kind:     by_value
      - .offset:         176
        .size:           4
        .value_kind:     by_value
      - .offset:         180
        .size:           4
        .value_kind:     by_value
      - .offset:         184
        .size:           4
        .value_kind:     by_value
      - .offset:         188
        .size:           4
        .value_kind:     by_value
      - .offset:         192
        .size:           4
        .value_kind:     by_value
      - .offset:         200
        .size:           8
        .value_kind:     by_value
      - .offset:         208
        .size:           4
        .value_kind:     hidden_block_count_x
      - .offset:         212
        .size:           4
        .value_kind:     hidden_block_count_y
      - .offset:         216
        .size:           4
        .value_kind:     hidden_block_count_z
      - .offset:         220
        .size:           2
        .value_kind:     hidden_group_size_x
      - .offset:         222
        .size:           2
        .value_kind:     hidden_group_size_y
      - .offset:         224
        .size:           2
        .value_kind:     hidden_group_size_z
      - .offset:         226
        .size:           2
        .value_kind:     hidden_remainder_x
      - .offset:         228
        .size:           2
        .value_kind:     hidden_remainder_y
      - .offset:         230
        .size:           2
        .value_kind:     hidden_remainder_z
      - .offset:         248
        .size:           8
        .value_kind:     hidden_global_offset_x
      - .offset:         256
        .size:           8
        .value_kind:     hidden_global_offset_y
      - .offset:         264
        .size:           8
        .value_kind:     hidden_global_offset_z
      - .offset:         272
        .size:           2
        .value_kind:     hidden_grid_dims
      - .offset:         288
        .size:           8
        .value_kind:     hidden_hostcall_buffer
    .group_segment_fixed_size: 0
    .kernarg_segment_align: 8
    .kernarg_segment_size: 464
    .language:       OpenCL C
    .language_version:
      - 2
      - 0
    .max_flat_workgroup_size: 128
    .name:           _ZL18flash_attn_ext_vecILi64ELi1EL9ggml_type3ELS0_3ELb1EEvPKcS2_S2_S2_S2_PKiPfP15HIP_vector_typeIfLj2EEffffjfiS6_IjLj3EEiiiiiiiiiiiliiliiiiil
    .private_segment_fixed_size: 16
    .sgpr_count:     36
    .sgpr_spill_count: 0
    .symbol:         _ZL18flash_attn_ext_vecILi64ELi1EL9ggml_type3ELS0_3ELb1EEvPKcS2_S2_S2_S2_PKiPfP15HIP_vector_typeIfLj2EEffffjfiS6_IjLj3EEiiiiiiiiiiiliiliiiiil.kd
    .uniform_work_group_size: 1
    .uses_dynamic_stack: false
    .vgpr_count:     37
    .vgpr_spill_count: 0
    .wavefront_size: 32
    .workgroup_processor_mode: 1
  - .args:
      - .address_space:  global
        .offset:         0
        .size:           8
        .value_kind:     global_buffer
      - .address_space:  global
        .offset:         8
        .size:           8
        .value_kind:     global_buffer
      - .address_space:  global
        .offset:         16
        .size:           8
        .value_kind:     global_buffer
      - .address_space:  global
        .offset:         24
        .size:           8
        .value_kind:     global_buffer
      - .address_space:  global
        .offset:         32
        .size:           8
        .value_kind:     global_buffer
      - .address_space:  global
        .offset:         40
        .size:           8
        .value_kind:     global_buffer
      - .address_space:  global
        .offset:         48
        .size:           8
        .value_kind:     global_buffer
      - .address_space:  global
        .offset:         56
        .size:           8
        .value_kind:     global_buffer
      - .offset:         64
        .size:           4
        .value_kind:     by_value
      - .offset:         68
        .size:           4
        .value_kind:     by_value
      - .offset:         72
        .size:           4
        .value_kind:     by_value
      - .offset:         76
        .size:           4
        .value_kind:     by_value
      - .offset:         80
        .size:           4
        .value_kind:     by_value
      - .offset:         84
        .size:           4
        .value_kind:     by_value
      - .offset:         88
        .size:           4
        .value_kind:     by_value
      - .offset:         92
        .size:           12
        .value_kind:     by_value
      - .offset:         104
        .size:           4
        .value_kind:     by_value
      - .offset:         108
        .size:           4
        .value_kind:     by_value
      - .offset:         112
        .size:           4
        .value_kind:     by_value
      - .offset:         116
        .size:           4
        .value_kind:     by_value
      - .offset:         120
        .size:           4
        .value_kind:     by_value
      - .offset:         124
        .size:           4
        .value_kind:     by_value
      - .offset:         128
        .size:           4
        .value_kind:     by_value
      - .offset:         132
        .size:           4
        .value_kind:     by_value
      - .offset:         136
        .size:           4
        .value_kind:     by_value
      - .offset:         140
        .size:           4
        .value_kind:     by_value
      - .offset:         144
        .size:           4
        .value_kind:     by_value
      - .offset:         152
        .size:           8
        .value_kind:     by_value
      - .offset:         160
        .size:           4
        .value_kind:     by_value
      - .offset:         164
        .size:           4
        .value_kind:     by_value
      - .offset:         168
        .size:           8
        .value_kind:     by_value
      - .offset:         176
        .size:           4
        .value_kind:     by_value
      - .offset:         180
        .size:           4
        .value_kind:     by_value
      - .offset:         184
        .size:           4
        .value_kind:     by_value
      - .offset:         188
        .size:           4
        .value_kind:     by_value
      - .offset:         192
        .size:           4
        .value_kind:     by_value
      - .offset:         200
        .size:           8
        .value_kind:     by_value
      - .offset:         208
        .size:           4
        .value_kind:     hidden_block_count_x
      - .offset:         212
        .size:           4
        .value_kind:     hidden_block_count_y
      - .offset:         216
        .size:           4
        .value_kind:     hidden_block_count_z
      - .offset:         220
        .size:           2
        .value_kind:     hidden_group_size_x
      - .offset:         222
        .size:           2
        .value_kind:     hidden_group_size_y
      - .offset:         224
        .size:           2
        .value_kind:     hidden_group_size_z
      - .offset:         226
        .size:           2
        .value_kind:     hidden_remainder_x
      - .offset:         228
        .size:           2
        .value_kind:     hidden_remainder_y
      - .offset:         230
        .size:           2
        .value_kind:     hidden_remainder_z
      - .offset:         248
        .size:           8
        .value_kind:     hidden_global_offset_x
      - .offset:         256
        .size:           8
        .value_kind:     hidden_global_offset_y
      - .offset:         264
        .size:           8
        .value_kind:     hidden_global_offset_z
      - .offset:         272
        .size:           2
        .value_kind:     hidden_grid_dims
    .group_segment_fixed_size: 3584
    .kernarg_segment_align: 8
    .kernarg_segment_size: 464
    .language:       OpenCL C
    .language_version:
      - 2
      - 0
    .max_flat_workgroup_size: 128
    .name:           _ZL18flash_attn_ext_vecILi64ELi2EL9ggml_type3ELS0_3ELb0EEvPKcS2_S2_S2_S2_PKiPfP15HIP_vector_typeIfLj2EEffffjfiS6_IjLj3EEiiiiiiiiiiiliiliiiiil
    .private_segment_fixed_size: 0
    .sgpr_count:     53
    .sgpr_spill_count: 0
    .symbol:         _ZL18flash_attn_ext_vecILi64ELi2EL9ggml_type3ELS0_3ELb0EEvPKcS2_S2_S2_S2_PKiPfP15HIP_vector_typeIfLj2EEffffjfiS6_IjLj3EEiiiiiiiiiiiliiliiiiil.kd
    .uniform_work_group_size: 1
    .uses_dynamic_stack: false
    .vgpr_count:     158
    .vgpr_spill_count: 0
    .wavefront_size: 32
    .workgroup_processor_mode: 1
  - .args:
      - .actual_access:  read_only
        .address_space:  global
        .offset:         0
        .size:           8
        .value_kind:     global_buffer
      - .actual_access:  write_only
        .address_space:  global
        .offset:         8
        .size:           8
        .value_kind:     global_buffer
      - .offset:         16
        .size:           4
        .value_kind:     by_value
      - .offset:         20
        .size:           4
        .value_kind:     by_value
      - .offset:         24
        .size:           4
        .value_kind:     by_value
      - .offset:         32
        .size:           4
        .value_kind:     hidden_block_count_x
      - .offset:         36
        .size:           4
        .value_kind:     hidden_block_count_y
      - .offset:         40
        .size:           4
        .value_kind:     hidden_block_count_z
      - .offset:         44
        .size:           2
        .value_kind:     hidden_group_size_x
      - .offset:         46
        .size:           2
        .value_kind:     hidden_group_size_y
      - .offset:         48
        .size:           2
        .value_kind:     hidden_group_size_z
      - .offset:         50
        .size:           2
        .value_kind:     hidden_remainder_x
      - .offset:         52
        .size:           2
        .value_kind:     hidden_remainder_y
      - .offset:         54
        .size:           2
        .value_kind:     hidden_remainder_z
      - .offset:         72
        .size:           8
        .value_kind:     hidden_global_offset_x
      - .offset:         80
        .size:           8
        .value_kind:     hidden_global_offset_y
      - .offset:         88
        .size:           8
        .value_kind:     hidden_global_offset_z
      - .offset:         96
        .size:           2
        .value_kind:     hidden_grid_dims
    .group_segment_fixed_size: 128
    .kernarg_segment_align: 8
    .kernarg_segment_size: 288
    .language:       OpenCL C
    .language_version:
      - 2
      - 0
    .max_flat_workgroup_size: 128
    .name:           _ZL25flash_attn_mask_to_KV_maxILi2EEvPK7__half2Piiii
    .private_segment_fixed_size: 0
    .sgpr_count:     18
    .sgpr_spill_count: 0
    .symbol:         _ZL25flash_attn_mask_to_KV_maxILi2EEvPK7__half2Piiii.kd
    .uniform_work_group_size: 1
    .uses_dynamic_stack: false
    .vgpr_count:     7
    .vgpr_spill_count: 0
    .wavefront_size: 32
    .workgroup_processor_mode: 1
  - .args:
      - .address_space:  global
        .offset:         0
        .size:           8
        .value_kind:     global_buffer
      - .address_space:  global
        .offset:         8
        .size:           8
        .value_kind:     global_buffer
      - .offset:         16
        .size:           4
        .value_kind:     by_value
      - .offset:         20
        .size:           4
        .value_kind:     by_value
      - .offset:         24
        .size:           4
        .value_kind:     by_value
      - .offset:         28
        .size:           4
        .value_kind:     by_value
      - .offset:         32
        .size:           4
        .value_kind:     by_value
      - .offset:         36
        .size:           4
        .value_kind:     by_value
      - .offset:         40
        .size:           12
        .value_kind:     by_value
      - .offset:         52
        .size:           12
        .value_kind:     by_value
      - .offset:         64
        .size:           12
        .value_kind:     by_value
    .group_segment_fixed_size: 0
    .kernarg_segment_align: 8
    .kernarg_segment_size: 76
    .language:       OpenCL C
    .language_version:
      - 2
      - 0
    .max_flat_workgroup_size: 64
    .name:           _ZL33flash_attn_stream_k_fixup_uniformILi64ELi2ELi1EEvPfPK15HIP_vector_typeIfLj2EEiiiiiiS1_IjLj3EES5_S5_
    .private_segment_fixed_size: 0
    .sgpr_count:     22
    .sgpr_spill_count: 0
    .symbol:         _ZL33flash_attn_stream_k_fixup_uniformILi64ELi2ELi1EEvPfPK15HIP_vector_typeIfLj2EEiiiiiiS1_IjLj3EES5_S5_.kd
    .uniform_work_group_size: 1
    .uses_dynamic_stack: false
    .vgpr_count:     15
    .vgpr_spill_count: 0
    .wavefront_size: 32
    .workgroup_processor_mode: 1
  - .args:
      - .address_space:  global
        .offset:         0
        .size:           8
        .value_kind:     global_buffer
      - .address_space:  global
        .offset:         8
        .size:           8
        .value_kind:     global_buffer
      - .offset:         16
        .size:           4
        .value_kind:     by_value
      - .offset:         20
        .size:           4
        .value_kind:     by_value
      - .offset:         24
        .size:           4
        .value_kind:     by_value
      - .offset:         28
        .size:           4
        .value_kind:     by_value
      - .offset:         32
        .size:           12
        .value_kind:     by_value
      - .offset:         44
        .size:           12
        .value_kind:     by_value
      - .offset:         56
        .size:           12
        .value_kind:     by_value
      - .offset:         68
        .size:           12
        .value_kind:     by_value
      - .offset:         80
        .size:           4
        .value_kind:     hidden_block_count_x
      - .offset:         84
        .size:           4
        .value_kind:     hidden_block_count_y
      - .offset:         88
        .size:           4
        .value_kind:     hidden_block_count_z
      - .offset:         92
        .size:           2
        .value_kind:     hidden_group_size_x
      - .offset:         94
        .size:           2
        .value_kind:     hidden_group_size_y
      - .offset:         96
        .size:           2
        .value_kind:     hidden_group_size_z
      - .offset:         98
        .size:           2
        .value_kind:     hidden_remainder_x
      - .offset:         100
        .size:           2
        .value_kind:     hidden_remainder_y
      - .offset:         102
        .size:           2
        .value_kind:     hidden_remainder_z
      - .offset:         120
        .size:           8
        .value_kind:     hidden_global_offset_x
      - .offset:         128
        .size:           8
        .value_kind:     hidden_global_offset_y
      - .offset:         136
        .size:           8
        .value_kind:     hidden_global_offset_z
      - .offset:         144
        .size:           2
        .value_kind:     hidden_grid_dims
    .group_segment_fixed_size: 0
    .kernarg_segment_align: 8
    .kernarg_segment_size: 336
    .language:       OpenCL C
    .language_version:
      - 2
      - 0
    .max_flat_workgroup_size: 64
    .name:           _ZL33flash_attn_stream_k_fixup_generalILi64ELi2ELi1EEvPfPK15HIP_vector_typeIfLj2EEiiiiS1_IjLj3EES5_S5_S5_
    .private_segment_fixed_size: 0
    .sgpr_count:     34
    .sgpr_spill_count: 0
    .symbol:         _ZL33flash_attn_stream_k_fixup_generalILi64ELi2ELi1EEvPfPK15HIP_vector_typeIfLj2EEiiiiS1_IjLj3EES5_S5_S5_.kd
    .uniform_work_group_size: 1
    .uses_dynamic_stack: false
    .vgpr_count:     19
    .vgpr_spill_count: 0
    .wavefront_size: 32
    .workgroup_processor_mode: 1
  - .args:
      - .address_space:  global
        .offset:         0
        .size:           8
        .value_kind:     global_buffer
      - .address_space:  global
        .offset:         8
        .size:           8
        .value_kind:     global_buffer
      - .address_space:  global
        .offset:         16
        .size:           8
        .value_kind:     global_buffer
      - .address_space:  global
        .offset:         24
        .size:           8
        .value_kind:     global_buffer
      - .address_space:  global
        .offset:         32
        .size:           8
        .value_kind:     global_buffer
      - .address_space:  global
        .offset:         40
        .size:           8
        .value_kind:     global_buffer
      - .address_space:  global
        .offset:         48
        .size:           8
        .value_kind:     global_buffer
      - .address_space:  global
        .offset:         56
        .size:           8
        .value_kind:     global_buffer
      - .offset:         64
        .size:           4
        .value_kind:     by_value
      - .offset:         68
        .size:           4
        .value_kind:     by_value
      - .offset:         72
        .size:           4
        .value_kind:     by_value
      - .offset:         76
        .size:           4
        .value_kind:     by_value
      - .offset:         80
        .size:           4
        .value_kind:     by_value
      - .offset:         84
        .size:           4
        .value_kind:     by_value
      - .offset:         88
        .size:           4
        .value_kind:     by_value
      - .offset:         92
        .size:           12
        .value_kind:     by_value
      - .offset:         104
        .size:           4
        .value_kind:     by_value
      - .offset:         108
        .size:           4
        .value_kind:     by_value
      - .offset:         112
        .size:           4
        .value_kind:     by_value
      - .offset:         116
        .size:           4
        .value_kind:     by_value
      - .offset:         120
        .size:           4
        .value_kind:     by_value
      - .offset:         124
        .size:           4
        .value_kind:     by_value
      - .offset:         128
        .size:           4
        .value_kind:     by_value
      - .offset:         132
        .size:           4
        .value_kind:     by_value
      - .offset:         136
        .size:           4
        .value_kind:     by_value
      - .offset:         140
        .size:           4
        .value_kind:     by_value
      - .offset:         144
        .size:           4
        .value_kind:     by_value
      - .offset:         152
        .size:           8
        .value_kind:     by_value
      - .offset:         160
        .size:           4
        .value_kind:     by_value
      - .offset:         164
        .size:           4
        .value_kind:     by_value
      - .offset:         168
        .size:           8
        .value_kind:     by_value
      - .offset:         176
        .size:           4
        .value_kind:     by_value
      - .offset:         180
        .size:           4
        .value_kind:     by_value
      - .offset:         184
        .size:           4
        .value_kind:     by_value
      - .offset:         188
        .size:           4
        .value_kind:     by_value
      - .offset:         192
        .size:           4
        .value_kind:     by_value
      - .offset:         200
        .size:           8
        .value_kind:     by_value
      - .offset:         208
        .size:           4
        .value_kind:     hidden_block_count_x
      - .offset:         212
        .size:           4
        .value_kind:     hidden_block_count_y
      - .offset:         216
        .size:           4
        .value_kind:     hidden_block_count_z
      - .offset:         220
        .size:           2
        .value_kind:     hidden_group_size_x
      - .offset:         222
        .size:           2
        .value_kind:     hidden_group_size_y
      - .offset:         224
        .size:           2
        .value_kind:     hidden_group_size_z
      - .offset:         226
        .size:           2
        .value_kind:     hidden_remainder_x
      - .offset:         228
        .size:           2
        .value_kind:     hidden_remainder_y
      - .offset:         230
        .size:           2
        .value_kind:     hidden_remainder_z
      - .offset:         248
        .size:           8
        .value_kind:     hidden_global_offset_x
      - .offset:         256
        .size:           8
        .value_kind:     hidden_global_offset_y
      - .offset:         264
        .size:           8
        .value_kind:     hidden_global_offset_z
      - .offset:         272
        .size:           2
        .value_kind:     hidden_grid_dims
      - .offset:         288
        .size:           8
        .value_kind:     hidden_hostcall_buffer
    .group_segment_fixed_size: 0
    .kernarg_segment_align: 8
    .kernarg_segment_size: 464
    .language:       OpenCL C
    .language_version:
      - 2
      - 0
    .max_flat_workgroup_size: 128
    .name:           _ZL18flash_attn_ext_vecILi64ELi2EL9ggml_type3ELS0_3ELb1EEvPKcS2_S2_S2_S2_PKiPfP15HIP_vector_typeIfLj2EEffffjfiS6_IjLj3EEiiiiiiiiiiiliiliiiiil
    .private_segment_fixed_size: 16
    .sgpr_count:     36
    .sgpr_spill_count: 0
    .symbol:         _ZL18flash_attn_ext_vecILi64ELi2EL9ggml_type3ELS0_3ELb1EEvPKcS2_S2_S2_S2_PKiPfP15HIP_vector_typeIfLj2EEffffjfiS6_IjLj3EEiiiiiiiiiiiliiliiiiil.kd
    .uniform_work_group_size: 1
    .uses_dynamic_stack: false
    .vgpr_count:     37
    .vgpr_spill_count: 0
    .wavefront_size: 32
    .workgroup_processor_mode: 1
  - .args:
      - .address_space:  global
        .offset:         0
        .size:           8
        .value_kind:     global_buffer
      - .address_space:  global
        .offset:         8
        .size:           8
        .value_kind:     global_buffer
      - .address_space:  global
        .offset:         16
        .size:           8
        .value_kind:     global_buffer
      - .address_space:  global
        .offset:         24
        .size:           8
        .value_kind:     global_buffer
      - .address_space:  global
        .offset:         32
        .size:           8
        .value_kind:     global_buffer
      - .address_space:  global
        .offset:         40
        .size:           8
        .value_kind:     global_buffer
      - .address_space:  global
        .offset:         48
        .size:           8
        .value_kind:     global_buffer
      - .address_space:  global
        .offset:         56
        .size:           8
        .value_kind:     global_buffer
      - .offset:         64
        .size:           4
        .value_kind:     by_value
      - .offset:         68
        .size:           4
        .value_kind:     by_value
      - .offset:         72
        .size:           4
        .value_kind:     by_value
      - .offset:         76
        .size:           4
        .value_kind:     by_value
      - .offset:         80
        .size:           4
        .value_kind:     by_value
      - .offset:         84
        .size:           4
        .value_kind:     by_value
      - .offset:         88
        .size:           4
        .value_kind:     by_value
      - .offset:         92
        .size:           12
        .value_kind:     by_value
      - .offset:         104
        .size:           4
        .value_kind:     by_value
      - .offset:         108
        .size:           4
        .value_kind:     by_value
      - .offset:         112
        .size:           4
        .value_kind:     by_value
      - .offset:         116
        .size:           4
        .value_kind:     by_value
      - .offset:         120
        .size:           4
        .value_kind:     by_value
      - .offset:         124
        .size:           4
        .value_kind:     by_value
      - .offset:         128
        .size:           4
        .value_kind:     by_value
      - .offset:         132
        .size:           4
        .value_kind:     by_value
      - .offset:         136
        .size:           4
        .value_kind:     by_value
      - .offset:         140
        .size:           4
        .value_kind:     by_value
      - .offset:         144
        .size:           4
        .value_kind:     by_value
      - .offset:         152
        .size:           8
        .value_kind:     by_value
      - .offset:         160
        .size:           4
        .value_kind:     by_value
      - .offset:         164
        .size:           4
        .value_kind:     by_value
      - .offset:         168
        .size:           8
        .value_kind:     by_value
      - .offset:         176
        .size:           4
        .value_kind:     by_value
      - .offset:         180
        .size:           4
        .value_kind:     by_value
      - .offset:         184
        .size:           4
        .value_kind:     by_value
      - .offset:         188
        .size:           4
        .value_kind:     by_value
      - .offset:         192
        .size:           4
        .value_kind:     by_value
      - .offset:         200
        .size:           8
        .value_kind:     by_value
      - .offset:         208
        .size:           4
        .value_kind:     hidden_block_count_x
      - .offset:         212
        .size:           4
        .value_kind:     hidden_block_count_y
      - .offset:         216
        .size:           4
        .value_kind:     hidden_block_count_z
      - .offset:         220
        .size:           2
        .value_kind:     hidden_group_size_x
      - .offset:         222
        .size:           2
        .value_kind:     hidden_group_size_y
      - .offset:         224
        .size:           2
        .value_kind:     hidden_group_size_z
      - .offset:         226
        .size:           2
        .value_kind:     hidden_remainder_x
      - .offset:         228
        .size:           2
        .value_kind:     hidden_remainder_y
      - .offset:         230
        .size:           2
        .value_kind:     hidden_remainder_z
      - .offset:         248
        .size:           8
        .value_kind:     hidden_global_offset_x
      - .offset:         256
        .size:           8
        .value_kind:     hidden_global_offset_y
      - .offset:         264
        .size:           8
        .value_kind:     hidden_global_offset_z
      - .offset:         272
        .size:           2
        .value_kind:     hidden_grid_dims
    .group_segment_fixed_size: 1280
    .kernarg_segment_align: 8
    .kernarg_segment_size: 464
    .language:       OpenCL C
    .language_version:
      - 2
      - 0
    .max_flat_workgroup_size: 128
    .name:           _ZL18flash_attn_ext_vecILi128ELi1EL9ggml_type3ELS0_3ELb0EEvPKcS2_S2_S2_S2_PKiPfP15HIP_vector_typeIfLj2EEffffjfiS6_IjLj3EEiiiiiiiiiiiliiliiiiil
    .private_segment_fixed_size: 0
    .sgpr_count:     53
    .sgpr_spill_count: 0
    .symbol:         _ZL18flash_attn_ext_vecILi128ELi1EL9ggml_type3ELS0_3ELb0EEvPKcS2_S2_S2_S2_PKiPfP15HIP_vector_typeIfLj2EEffffjfiS6_IjLj3EEiiiiiiiiiiiliiliiiiil.kd
    .uniform_work_group_size: 1
    .uses_dynamic_stack: false
    .vgpr_count:     218
    .vgpr_spill_count: 0
    .wavefront_size: 32
    .workgroup_processor_mode: 1
  - .args:
      - .address_space:  global
        .offset:         0
        .size:           8
        .value_kind:     global_buffer
      - .address_space:  global
        .offset:         8
        .size:           8
        .value_kind:     global_buffer
      - .offset:         16
        .size:           4
        .value_kind:     by_value
      - .offset:         20
        .size:           4
        .value_kind:     by_value
      - .offset:         24
        .size:           4
        .value_kind:     by_value
      - .offset:         28
        .size:           4
        .value_kind:     by_value
      - .offset:         32
        .size:           4
        .value_kind:     by_value
      - .offset:         36
        .size:           4
        .value_kind:     by_value
      - .offset:         40
        .size:           12
        .value_kind:     by_value
      - .offset:         52
        .size:           12
        .value_kind:     by_value
      - .offset:         64
        .size:           12
        .value_kind:     by_value
    .group_segment_fixed_size: 0
    .kernarg_segment_align: 8
    .kernarg_segment_size: 76
    .language:       OpenCL C
    .language_version:
      - 2
      - 0
    .max_flat_workgroup_size: 128
    .name:           _ZL33flash_attn_stream_k_fixup_uniformILi128ELi1ELi1EEvPfPK15HIP_vector_typeIfLj2EEiiiiiiS1_IjLj3EES5_S5_
    .private_segment_fixed_size: 0
    .sgpr_count:     22
    .sgpr_spill_count: 0
    .symbol:         _ZL33flash_attn_stream_k_fixup_uniformILi128ELi1ELi1EEvPfPK15HIP_vector_typeIfLj2EEiiiiiiS1_IjLj3EES5_S5_.kd
    .uniform_work_group_size: 1
    .uses_dynamic_stack: false
    .vgpr_count:     15
    .vgpr_spill_count: 0
    .wavefront_size: 32
    .workgroup_processor_mode: 1
  - .args:
      - .address_space:  global
        .offset:         0
        .size:           8
        .value_kind:     global_buffer
      - .address_space:  global
        .offset:         8
        .size:           8
        .value_kind:     global_buffer
      - .offset:         16
        .size:           4
        .value_kind:     by_value
      - .offset:         20
        .size:           4
        .value_kind:     by_value
      - .offset:         24
        .size:           4
        .value_kind:     by_value
      - .offset:         28
        .size:           4
        .value_kind:     by_value
      - .offset:         32
        .size:           12
        .value_kind:     by_value
      - .offset:         44
        .size:           12
        .value_kind:     by_value
      - .offset:         56
        .size:           12
        .value_kind:     by_value
      - .offset:         68
        .size:           12
        .value_kind:     by_value
      - .offset:         80
        .size:           4
        .value_kind:     hidden_block_count_x
      - .offset:         84
        .size:           4
        .value_kind:     hidden_block_count_y
      - .offset:         88
        .size:           4
        .value_kind:     hidden_block_count_z
      - .offset:         92
        .size:           2
        .value_kind:     hidden_group_size_x
      - .offset:         94
        .size:           2
        .value_kind:     hidden_group_size_y
      - .offset:         96
        .size:           2
        .value_kind:     hidden_group_size_z
      - .offset:         98
        .size:           2
        .value_kind:     hidden_remainder_x
      - .offset:         100
        .size:           2
        .value_kind:     hidden_remainder_y
      - .offset:         102
        .size:           2
        .value_kind:     hidden_remainder_z
      - .offset:         120
        .size:           8
        .value_kind:     hidden_global_offset_x
      - .offset:         128
        .size:           8
        .value_kind:     hidden_global_offset_y
      - .offset:         136
        .size:           8
        .value_kind:     hidden_global_offset_z
      - .offset:         144
        .size:           2
        .value_kind:     hidden_grid_dims
    .group_segment_fixed_size: 0
    .kernarg_segment_align: 8
    .kernarg_segment_size: 336
    .language:       OpenCL C
    .language_version:
      - 2
      - 0
    .max_flat_workgroup_size: 128
    .name:           _ZL33flash_attn_stream_k_fixup_generalILi128ELi1ELi1EEvPfPK15HIP_vector_typeIfLj2EEiiiiS1_IjLj3EES5_S5_S5_
    .private_segment_fixed_size: 0
    .sgpr_count:     34
    .sgpr_spill_count: 0
    .symbol:         _ZL33flash_attn_stream_k_fixup_generalILi128ELi1ELi1EEvPfPK15HIP_vector_typeIfLj2EEiiiiS1_IjLj3EES5_S5_S5_.kd
    .uniform_work_group_size: 1
    .uses_dynamic_stack: false
    .vgpr_count:     19
    .vgpr_spill_count: 0
    .wavefront_size: 32
    .workgroup_processor_mode: 1
  - .args:
      - .address_space:  global
        .offset:         0
        .size:           8
        .value_kind:     global_buffer
      - .address_space:  global
        .offset:         8
        .size:           8
        .value_kind:     global_buffer
      - .address_space:  global
        .offset:         16
        .size:           8
        .value_kind:     global_buffer
      - .offset:         24
        .size:           4
        .value_kind:     by_value
      - .offset:         32
        .size:           4
        .value_kind:     hidden_block_count_x
      - .offset:         36
        .size:           4
        .value_kind:     hidden_block_count_y
      - .offset:         40
        .size:           4
        .value_kind:     hidden_block_count_z
      - .offset:         44
        .size:           2
        .value_kind:     hidden_group_size_x
      - .offset:         46
        .size:           2
        .value_kind:     hidden_group_size_y
      - .offset:         48
        .size:           2
        .value_kind:     hidden_group_size_z
      - .offset:         50
        .size:           2
        .value_kind:     hidden_remainder_x
      - .offset:         52
        .size:           2
        .value_kind:     hidden_remainder_y
      - .offset:         54
        .size:           2
        .value_kind:     hidden_remainder_z
      - .offset:         72
        .size:           8
        .value_kind:     hidden_global_offset_x
      - .offset:         80
        .size:           8
        .value_kind:     hidden_global_offset_y
      - .offset:         88
        .size:           8
        .value_kind:     hidden_global_offset_z
      - .offset:         96
        .size:           2
        .value_kind:     hidden_grid_dims
      - .offset:         152
        .size:           4
        .value_kind:     hidden_dynamic_lds_size
    .group_segment_fixed_size: 0
    .kernarg_segment_align: 8
    .kernarg_segment_size: 288
    .language:       OpenCL C
    .language_version:
      - 2
      - 0
    .max_flat_workgroup_size: 128
    .name:           _ZL26flash_attn_combine_resultsILi128EEvPKfPK15HIP_vector_typeIfLj2EEPfi
    .private_segment_fixed_size: 0
    .sgpr_count:     18
    .sgpr_spill_count: 0
    .symbol:         _ZL26flash_attn_combine_resultsILi128EEvPKfPK15HIP_vector_typeIfLj2EEPfi.kd
    .uniform_work_group_size: 1
    .uses_dynamic_stack: false
    .vgpr_count:     55
    .vgpr_spill_count: 0
    .wavefront_size: 32
    .workgroup_processor_mode: 1
  - .args:
      - .address_space:  global
        .offset:         0
        .size:           8
        .value_kind:     global_buffer
      - .address_space:  global
        .offset:         8
        .size:           8
        .value_kind:     global_buffer
      - .address_space:  global
        .offset:         16
        .size:           8
        .value_kind:     global_buffer
      - .address_space:  global
        .offset:         24
        .size:           8
        .value_kind:     global_buffer
      - .address_space:  global
        .offset:         32
        .size:           8
        .value_kind:     global_buffer
      - .address_space:  global
        .offset:         40
        .size:           8
        .value_kind:     global_buffer
      - .address_space:  global
        .offset:         48
        .size:           8
        .value_kind:     global_buffer
      - .address_space:  global
        .offset:         56
        .size:           8
        .value_kind:     global_buffer
      - .offset:         64
        .size:           4
        .value_kind:     by_value
      - .offset:         68
        .size:           4
        .value_kind:     by_value
      - .offset:         72
        .size:           4
        .value_kind:     by_value
      - .offset:         76
        .size:           4
        .value_kind:     by_value
      - .offset:         80
        .size:           4
        .value_kind:     by_value
      - .offset:         84
        .size:           4
        .value_kind:     by_value
      - .offset:         88
        .size:           4
        .value_kind:     by_value
      - .offset:         92
        .size:           12
        .value_kind:     by_value
      - .offset:         104
        .size:           4
        .value_kind:     by_value
      - .offset:         108
        .size:           4
        .value_kind:     by_value
      - .offset:         112
        .size:           4
        .value_kind:     by_value
      - .offset:         116
        .size:           4
        .value_kind:     by_value
      - .offset:         120
        .size:           4
        .value_kind:     by_value
      - .offset:         124
        .size:           4
        .value_kind:     by_value
      - .offset:         128
        .size:           4
        .value_kind:     by_value
      - .offset:         132
        .size:           4
        .value_kind:     by_value
      - .offset:         136
        .size:           4
        .value_kind:     by_value
      - .offset:         140
        .size:           4
        .value_kind:     by_value
      - .offset:         144
        .size:           4
        .value_kind:     by_value
      - .offset:         152
        .size:           8
        .value_kind:     by_value
      - .offset:         160
        .size:           4
        .value_kind:     by_value
      - .offset:         164
        .size:           4
        .value_kind:     by_value
      - .offset:         168
        .size:           8
        .value_kind:     by_value
      - .offset:         176
        .size:           4
        .value_kind:     by_value
      - .offset:         180
        .size:           4
        .value_kind:     by_value
      - .offset:         184
        .size:           4
        .value_kind:     by_value
      - .offset:         188
        .size:           4
        .value_kind:     by_value
      - .offset:         192
        .size:           4
        .value_kind:     by_value
      - .offset:         200
        .size:           8
        .value_kind:     by_value
      - .offset:         208
        .size:           4
        .value_kind:     hidden_block_count_x
      - .offset:         212
        .size:           4
        .value_kind:     hidden_block_count_y
      - .offset:         216
        .size:           4
        .value_kind:     hidden_block_count_z
      - .offset:         220
        .size:           2
        .value_kind:     hidden_group_size_x
      - .offset:         222
        .size:           2
        .value_kind:     hidden_group_size_y
      - .offset:         224
        .size:           2
        .value_kind:     hidden_group_size_z
      - .offset:         226
        .size:           2
        .value_kind:     hidden_remainder_x
      - .offset:         228
        .size:           2
        .value_kind:     hidden_remainder_y
      - .offset:         230
        .size:           2
        .value_kind:     hidden_remainder_z
      - .offset:         248
        .size:           8
        .value_kind:     hidden_global_offset_x
      - .offset:         256
        .size:           8
        .value_kind:     hidden_global_offset_y
      - .offset:         264
        .size:           8
        .value_kind:     hidden_global_offset_z
      - .offset:         272
        .size:           2
        .value_kind:     hidden_grid_dims
    .group_segment_fixed_size: 1280
    .kernarg_segment_align: 8
    .kernarg_segment_size: 464
    .language:       OpenCL C
    .language_version:
      - 2
      - 0
    .max_flat_workgroup_size: 128
    .name:           _ZL18flash_attn_ext_vecILi128ELi1EL9ggml_type3ELS0_3ELb1EEvPKcS2_S2_S2_S2_PKiPfP15HIP_vector_typeIfLj2EEffffjfiS6_IjLj3EEiiiiiiiiiiiliiliiiiil
    .private_segment_fixed_size: 0
    .sgpr_count:     54
    .sgpr_spill_count: 0
    .symbol:         _ZL18flash_attn_ext_vecILi128ELi1EL9ggml_type3ELS0_3ELb1EEvPKcS2_S2_S2_S2_PKiPfP15HIP_vector_typeIfLj2EEffffjfiS6_IjLj3EEiiiiiiiiiiiliiliiiiil.kd
    .uniform_work_group_size: 1
    .uses_dynamic_stack: false
    .vgpr_count:     218
    .vgpr_spill_count: 0
    .wavefront_size: 32
    .workgroup_processor_mode: 1
  - .args:
      - .address_space:  global
        .offset:         0
        .size:           8
        .value_kind:     global_buffer
      - .address_space:  global
        .offset:         8
        .size:           8
        .value_kind:     global_buffer
      - .address_space:  global
        .offset:         16
        .size:           8
        .value_kind:     global_buffer
      - .address_space:  global
        .offset:         24
        .size:           8
        .value_kind:     global_buffer
      - .address_space:  global
        .offset:         32
        .size:           8
        .value_kind:     global_buffer
      - .address_space:  global
        .offset:         40
        .size:           8
        .value_kind:     global_buffer
      - .address_space:  global
        .offset:         48
        .size:           8
        .value_kind:     global_buffer
      - .address_space:  global
        .offset:         56
        .size:           8
        .value_kind:     global_buffer
      - .offset:         64
        .size:           4
        .value_kind:     by_value
      - .offset:         68
        .size:           4
        .value_kind:     by_value
      - .offset:         72
        .size:           4
        .value_kind:     by_value
      - .offset:         76
        .size:           4
        .value_kind:     by_value
      - .offset:         80
        .size:           4
        .value_kind:     by_value
      - .offset:         84
        .size:           4
        .value_kind:     by_value
      - .offset:         88
        .size:           4
        .value_kind:     by_value
      - .offset:         92
        .size:           12
        .value_kind:     by_value
      - .offset:         104
        .size:           4
        .value_kind:     by_value
      - .offset:         108
        .size:           4
        .value_kind:     by_value
      - .offset:         112
        .size:           4
        .value_kind:     by_value
      - .offset:         116
        .size:           4
        .value_kind:     by_value
      - .offset:         120
        .size:           4
        .value_kind:     by_value
      - .offset:         124
        .size:           4
        .value_kind:     by_value
      - .offset:         128
        .size:           4
        .value_kind:     by_value
      - .offset:         132
        .size:           4
        .value_kind:     by_value
      - .offset:         136
        .size:           4
        .value_kind:     by_value
      - .offset:         140
        .size:           4
        .value_kind:     by_value
      - .offset:         144
        .size:           4
        .value_kind:     by_value
      - .offset:         152
        .size:           8
        .value_kind:     by_value
      - .offset:         160
        .size:           4
        .value_kind:     by_value
      - .offset:         164
        .size:           4
        .value_kind:     by_value
      - .offset:         168
        .size:           8
        .value_kind:     by_value
      - .offset:         176
        .size:           4
        .value_kind:     by_value
      - .offset:         180
        .size:           4
        .value_kind:     by_value
      - .offset:         184
        .size:           4
        .value_kind:     by_value
      - .offset:         188
        .size:           4
        .value_kind:     by_value
      - .offset:         192
        .size:           4
        .value_kind:     by_value
      - .offset:         200
        .size:           8
        .value_kind:     by_value
      - .offset:         208
        .size:           4
        .value_kind:     hidden_block_count_x
      - .offset:         212
        .size:           4
        .value_kind:     hidden_block_count_y
      - .offset:         216
        .size:           4
        .value_kind:     hidden_block_count_z
      - .offset:         220
        .size:           2
        .value_kind:     hidden_group_size_x
      - .offset:         222
        .size:           2
        .value_kind:     hidden_group_size_y
      - .offset:         224
        .size:           2
        .value_kind:     hidden_group_size_z
      - .offset:         226
        .size:           2
        .value_kind:     hidden_remainder_x
      - .offset:         228
        .size:           2
        .value_kind:     hidden_remainder_y
      - .offset:         230
        .size:           2
        .value_kind:     hidden_remainder_z
      - .offset:         248
        .size:           8
        .value_kind:     hidden_global_offset_x
      - .offset:         256
        .size:           8
        .value_kind:     hidden_global_offset_y
      - .offset:         264
        .size:           8
        .value_kind:     hidden_global_offset_z
      - .offset:         272
        .size:           2
        .value_kind:     hidden_grid_dims
    .group_segment_fixed_size: 3584
    .kernarg_segment_align: 8
    .kernarg_segment_size: 464
    .language:       OpenCL C
    .language_version:
      - 2
      - 0
    .max_flat_workgroup_size: 128
    .name:           _ZL18flash_attn_ext_vecILi128ELi2EL9ggml_type3ELS0_3ELb0EEvPKcS2_S2_S2_S2_PKiPfP15HIP_vector_typeIfLj2EEffffjfiS6_IjLj3EEiiiiiiiiiiiliiliiiiil
    .private_segment_fixed_size: 0
    .sgpr_count:     54
    .sgpr_spill_count: 0
    .symbol:         _ZL18flash_attn_ext_vecILi128ELi2EL9ggml_type3ELS0_3ELb0EEvPKcS2_S2_S2_S2_PKiPfP15HIP_vector_typeIfLj2EEffffjfiS6_IjLj3EEiiiiiiiiiiiliiliiiiil.kd
    .uniform_work_group_size: 1
    .uses_dynamic_stack: false
    .vgpr_count:     256
    .vgpr_spill_count: 0
    .wavefront_size: 32
    .workgroup_processor_mode: 1
  - .args:
      - .address_space:  global
        .offset:         0
        .size:           8
        .value_kind:     global_buffer
      - .address_space:  global
        .offset:         8
        .size:           8
        .value_kind:     global_buffer
      - .offset:         16
        .size:           4
        .value_kind:     by_value
      - .offset:         20
        .size:           4
        .value_kind:     by_value
      - .offset:         24
        .size:           4
        .value_kind:     by_value
      - .offset:         28
        .size:           4
        .value_kind:     by_value
      - .offset:         32
        .size:           4
        .value_kind:     by_value
      - .offset:         36
        .size:           4
        .value_kind:     by_value
      - .offset:         40
        .size:           12
        .value_kind:     by_value
      - .offset:         52
        .size:           12
        .value_kind:     by_value
      - .offset:         64
        .size:           12
        .value_kind:     by_value
    .group_segment_fixed_size: 0
    .kernarg_segment_align: 8
    .kernarg_segment_size: 76
    .language:       OpenCL C
    .language_version:
      - 2
      - 0
    .max_flat_workgroup_size: 128
    .name:           _ZL33flash_attn_stream_k_fixup_uniformILi128ELi2ELi1EEvPfPK15HIP_vector_typeIfLj2EEiiiiiiS1_IjLj3EES5_S5_
    .private_segment_fixed_size: 0
    .sgpr_count:     22
    .sgpr_spill_count: 0
    .symbol:         _ZL33flash_attn_stream_k_fixup_uniformILi128ELi2ELi1EEvPfPK15HIP_vector_typeIfLj2EEiiiiiiS1_IjLj3EES5_S5_.kd
    .uniform_work_group_size: 1
    .uses_dynamic_stack: false
    .vgpr_count:     15
    .vgpr_spill_count: 0
    .wavefront_size: 32
    .workgroup_processor_mode: 1
  - .args:
      - .address_space:  global
        .offset:         0
        .size:           8
        .value_kind:     global_buffer
      - .address_space:  global
        .offset:         8
        .size:           8
        .value_kind:     global_buffer
      - .offset:         16
        .size:           4
        .value_kind:     by_value
      - .offset:         20
        .size:           4
        .value_kind:     by_value
      - .offset:         24
        .size:           4
        .value_kind:     by_value
      - .offset:         28
        .size:           4
        .value_kind:     by_value
      - .offset:         32
        .size:           12
        .value_kind:     by_value
      - .offset:         44
        .size:           12
        .value_kind:     by_value
      - .offset:         56
        .size:           12
        .value_kind:     by_value
      - .offset:         68
        .size:           12
        .value_kind:     by_value
      - .offset:         80
        .size:           4
        .value_kind:     hidden_block_count_x
      - .offset:         84
        .size:           4
        .value_kind:     hidden_block_count_y
      - .offset:         88
        .size:           4
        .value_kind:     hidden_block_count_z
      - .offset:         92
        .size:           2
        .value_kind:     hidden_group_size_x
      - .offset:         94
        .size:           2
        .value_kind:     hidden_group_size_y
      - .offset:         96
        .size:           2
        .value_kind:     hidden_group_size_z
      - .offset:         98
        .size:           2
        .value_kind:     hidden_remainder_x
      - .offset:         100
        .size:           2
        .value_kind:     hidden_remainder_y
      - .offset:         102
        .size:           2
        .value_kind:     hidden_remainder_z
      - .offset:         120
        .size:           8
        .value_kind:     hidden_global_offset_x
      - .offset:         128
        .size:           8
        .value_kind:     hidden_global_offset_y
      - .offset:         136
        .size:           8
        .value_kind:     hidden_global_offset_z
      - .offset:         144
        .size:           2
        .value_kind:     hidden_grid_dims
    .group_segment_fixed_size: 0
    .kernarg_segment_align: 8
    .kernarg_segment_size: 336
    .language:       OpenCL C
    .language_version:
      - 2
      - 0
    .max_flat_workgroup_size: 128
    .name:           _ZL33flash_attn_stream_k_fixup_generalILi128ELi2ELi1EEvPfPK15HIP_vector_typeIfLj2EEiiiiS1_IjLj3EES5_S5_S5_
    .private_segment_fixed_size: 0
    .sgpr_count:     34
    .sgpr_spill_count: 0
    .symbol:         _ZL33flash_attn_stream_k_fixup_generalILi128ELi2ELi1EEvPfPK15HIP_vector_typeIfLj2EEiiiiS1_IjLj3EES5_S5_S5_.kd
    .uniform_work_group_size: 1
    .uses_dynamic_stack: false
    .vgpr_count:     19
    .vgpr_spill_count: 0
    .wavefront_size: 32
    .workgroup_processor_mode: 1
  - .args:
      - .address_space:  global
        .offset:         0
        .size:           8
        .value_kind:     global_buffer
      - .address_space:  global
        .offset:         8
        .size:           8
        .value_kind:     global_buffer
      - .address_space:  global
        .offset:         16
        .size:           8
        .value_kind:     global_buffer
      - .address_space:  global
        .offset:         24
        .size:           8
        .value_kind:     global_buffer
      - .address_space:  global
        .offset:         32
        .size:           8
        .value_kind:     global_buffer
      - .address_space:  global
        .offset:         40
        .size:           8
        .value_kind:     global_buffer
      - .address_space:  global
        .offset:         48
        .size:           8
        .value_kind:     global_buffer
      - .address_space:  global
        .offset:         56
        .size:           8
        .value_kind:     global_buffer
      - .offset:         64
        .size:           4
        .value_kind:     by_value
      - .offset:         68
        .size:           4
        .value_kind:     by_value
      - .offset:         72
        .size:           4
        .value_kind:     by_value
      - .offset:         76
        .size:           4
        .value_kind:     by_value
      - .offset:         80
        .size:           4
        .value_kind:     by_value
      - .offset:         84
        .size:           4
        .value_kind:     by_value
      - .offset:         88
        .size:           4
        .value_kind:     by_value
      - .offset:         92
        .size:           12
        .value_kind:     by_value
      - .offset:         104
        .size:           4
        .value_kind:     by_value
      - .offset:         108
        .size:           4
        .value_kind:     by_value
      - .offset:         112
        .size:           4
        .value_kind:     by_value
      - .offset:         116
        .size:           4
        .value_kind:     by_value
      - .offset:         120
        .size:           4
        .value_kind:     by_value
      - .offset:         124
        .size:           4
        .value_kind:     by_value
      - .offset:         128
        .size:           4
        .value_kind:     by_value
      - .offset:         132
        .size:           4
        .value_kind:     by_value
      - .offset:         136
        .size:           4
        .value_kind:     by_value
      - .offset:         140
        .size:           4
        .value_kind:     by_value
      - .offset:         144
        .size:           4
        .value_kind:     by_value
      - .offset:         152
        .size:           8
        .value_kind:     by_value
      - .offset:         160
        .size:           4
        .value_kind:     by_value
      - .offset:         164
        .size:           4
        .value_kind:     by_value
      - .offset:         168
        .size:           8
        .value_kind:     by_value
      - .offset:         176
        .size:           4
        .value_kind:     by_value
      - .offset:         180
        .size:           4
        .value_kind:     by_value
      - .offset:         184
        .size:           4
        .value_kind:     by_value
      - .offset:         188
        .size:           4
        .value_kind:     by_value
      - .offset:         192
        .size:           4
        .value_kind:     by_value
      - .offset:         200
        .size:           8
        .value_kind:     by_value
      - .offset:         208
        .size:           4
        .value_kind:     hidden_block_count_x
      - .offset:         212
        .size:           4
        .value_kind:     hidden_block_count_y
      - .offset:         216
        .size:           4
        .value_kind:     hidden_block_count_z
      - .offset:         220
        .size:           2
        .value_kind:     hidden_group_size_x
      - .offset:         222
        .size:           2
        .value_kind:     hidden_group_size_y
      - .offset:         224
        .size:           2
        .value_kind:     hidden_group_size_z
      - .offset:         226
        .size:           2
        .value_kind:     hidden_remainder_x
      - .offset:         228
        .size:           2
        .value_kind:     hidden_remainder_y
      - .offset:         230
        .size:           2
        .value_kind:     hidden_remainder_z
      - .offset:         248
        .size:           8
        .value_kind:     hidden_global_offset_x
      - .offset:         256
        .size:           8
        .value_kind:     hidden_global_offset_y
      - .offset:         264
        .size:           8
        .value_kind:     hidden_global_offset_z
      - .offset:         272
        .size:           2
        .value_kind:     hidden_grid_dims
    .group_segment_fixed_size: 3584
    .kernarg_segment_align: 8
    .kernarg_segment_size: 464
    .language:       OpenCL C
    .language_version:
      - 2
      - 0
    .max_flat_workgroup_size: 128
    .name:           _ZL18flash_attn_ext_vecILi128ELi2EL9ggml_type3ELS0_3ELb1EEvPKcS2_S2_S2_S2_PKiPfP15HIP_vector_typeIfLj2EEffffjfiS6_IjLj3EEiiiiiiiiiiiliiliiiiil
    .private_segment_fixed_size: 0
    .sgpr_count:     55
    .sgpr_spill_count: 0
    .symbol:         _ZL18flash_attn_ext_vecILi128ELi2EL9ggml_type3ELS0_3ELb1EEvPKcS2_S2_S2_S2_PKiPfP15HIP_vector_typeIfLj2EEffffjfiS6_IjLj3EEiiiiiiiiiiiliiliiiiil.kd
    .uniform_work_group_size: 1
    .uses_dynamic_stack: false
    .vgpr_count:     256
    .vgpr_spill_count: 0
    .wavefront_size: 32
    .workgroup_processor_mode: 1
  - .args:
      - .address_space:  global
        .offset:         0
        .size:           8
        .value_kind:     global_buffer
      - .address_space:  global
        .offset:         8
        .size:           8
        .value_kind:     global_buffer
      - .address_space:  global
        .offset:         16
        .size:           8
        .value_kind:     global_buffer
      - .address_space:  global
        .offset:         24
        .size:           8
        .value_kind:     global_buffer
      - .address_space:  global
        .offset:         32
        .size:           8
        .value_kind:     global_buffer
      - .address_space:  global
        .offset:         40
        .size:           8
        .value_kind:     global_buffer
      - .address_space:  global
        .offset:         48
        .size:           8
        .value_kind:     global_buffer
      - .address_space:  global
        .offset:         56
        .size:           8
        .value_kind:     global_buffer
      - .offset:         64
        .size:           4
        .value_kind:     by_value
      - .offset:         68
        .size:           4
        .value_kind:     by_value
      - .offset:         72
        .size:           4
        .value_kind:     by_value
      - .offset:         76
        .size:           4
        .value_kind:     by_value
      - .offset:         80
        .size:           4
        .value_kind:     by_value
      - .offset:         84
        .size:           4
        .value_kind:     by_value
      - .offset:         88
        .size:           4
        .value_kind:     by_value
      - .offset:         92
        .size:           12
        .value_kind:     by_value
      - .offset:         104
        .size:           4
        .value_kind:     by_value
      - .offset:         108
        .size:           4
        .value_kind:     by_value
      - .offset:         112
        .size:           4
        .value_kind:     by_value
      - .offset:         116
        .size:           4
        .value_kind:     by_value
      - .offset:         120
        .size:           4
        .value_kind:     by_value
      - .offset:         124
        .size:           4
        .value_kind:     by_value
      - .offset:         128
        .size:           4
        .value_kind:     by_value
      - .offset:         132
        .size:           4
        .value_kind:     by_value
      - .offset:         136
        .size:           4
        .value_kind:     by_value
      - .offset:         140
        .size:           4
        .value_kind:     by_value
      - .offset:         144
        .size:           4
        .value_kind:     by_value
      - .offset:         152
        .size:           8
        .value_kind:     by_value
      - .offset:         160
        .size:           4
        .value_kind:     by_value
      - .offset:         164
        .size:           4
        .value_kind:     by_value
      - .offset:         168
        .size:           8
        .value_kind:     by_value
      - .offset:         176
        .size:           4
        .value_kind:     by_value
      - .offset:         180
        .size:           4
        .value_kind:     by_value
      - .offset:         184
        .size:           4
        .value_kind:     by_value
      - .offset:         188
        .size:           4
        .value_kind:     by_value
      - .offset:         192
        .size:           4
        .value_kind:     by_value
      - .offset:         200
        .size:           8
        .value_kind:     by_value
      - .offset:         208
        .size:           4
        .value_kind:     hidden_block_count_x
      - .offset:         212
        .size:           4
        .value_kind:     hidden_block_count_y
      - .offset:         216
        .size:           4
        .value_kind:     hidden_block_count_z
      - .offset:         220
        .size:           2
        .value_kind:     hidden_group_size_x
      - .offset:         222
        .size:           2
        .value_kind:     hidden_group_size_y
      - .offset:         224
        .size:           2
        .value_kind:     hidden_group_size_z
      - .offset:         226
        .size:           2
        .value_kind:     hidden_remainder_x
      - .offset:         228
        .size:           2
        .value_kind:     hidden_remainder_y
      - .offset:         230
        .size:           2
        .value_kind:     hidden_remainder_z
      - .offset:         248
        .size:           8
        .value_kind:     hidden_global_offset_x
      - .offset:         256
        .size:           8
        .value_kind:     hidden_global_offset_y
      - .offset:         264
        .size:           8
        .value_kind:     hidden_global_offset_z
      - .offset:         272
        .size:           2
        .value_kind:     hidden_grid_dims
    .group_segment_fixed_size: 2304
    .kernarg_segment_align: 8
    .kernarg_segment_size: 464
    .language:       OpenCL C
    .language_version:
      - 2
      - 0
    .max_flat_workgroup_size: 128
    .name:           _ZL18flash_attn_ext_vecILi256ELi1EL9ggml_type3ELS0_3ELb0EEvPKcS2_S2_S2_S2_PKiPfP15HIP_vector_typeIfLj2EEffffjfiS6_IjLj3EEiiiiiiiiiiiliiliiiiil
    .private_segment_fixed_size: 680
    .sgpr_count:     101
    .sgpr_spill_count: 0
    .symbol:         _ZL18flash_attn_ext_vecILi256ELi1EL9ggml_type3ELS0_3ELb0EEvPKcS2_S2_S2_S2_PKiPfP15HIP_vector_typeIfLj2EEffffjfiS6_IjLj3EEiiiiiiiiiiiliiliiiiil.kd
    .uniform_work_group_size: 1
    .uses_dynamic_stack: false
    .vgpr_count:     256
    .vgpr_spill_count: 272
    .wavefront_size: 32
    .workgroup_processor_mode: 1
  - .args:
      - .address_space:  global
        .offset:         0
        .size:           8
        .value_kind:     global_buffer
      - .address_space:  global
        .offset:         8
        .size:           8
        .value_kind:     global_buffer
      - .offset:         16
        .size:           4
        .value_kind:     by_value
      - .offset:         20
        .size:           4
        .value_kind:     by_value
      - .offset:         24
        .size:           4
        .value_kind:     by_value
      - .offset:         28
        .size:           4
        .value_kind:     by_value
      - .offset:         32
        .size:           4
        .value_kind:     by_value
      - .offset:         36
        .size:           4
        .value_kind:     by_value
      - .offset:         40
        .size:           12
        .value_kind:     by_value
      - .offset:         52
        .size:           12
        .value_kind:     by_value
      - .offset:         64
        .size:           12
        .value_kind:     by_value
    .group_segment_fixed_size: 0
    .kernarg_segment_align: 8
    .kernarg_segment_size: 76
    .language:       OpenCL C
    .language_version:
      - 2
      - 0
    .max_flat_workgroup_size: 256
    .name:           _ZL33flash_attn_stream_k_fixup_uniformILi256ELi1ELi1EEvPfPK15HIP_vector_typeIfLj2EEiiiiiiS1_IjLj3EES5_S5_
    .private_segment_fixed_size: 0
    .sgpr_count:     22
    .sgpr_spill_count: 0
    .symbol:         _ZL33flash_attn_stream_k_fixup_uniformILi256ELi1ELi1EEvPfPK15HIP_vector_typeIfLj2EEiiiiiiS1_IjLj3EES5_S5_.kd
    .uniform_work_group_size: 1
    .uses_dynamic_stack: false
    .vgpr_count:     15
    .vgpr_spill_count: 0
    .wavefront_size: 32
    .workgroup_processor_mode: 1
  - .args:
      - .address_space:  global
        .offset:         0
        .size:           8
        .value_kind:     global_buffer
      - .address_space:  global
        .offset:         8
        .size:           8
        .value_kind:     global_buffer
      - .offset:         16
        .size:           4
        .value_kind:     by_value
      - .offset:         20
        .size:           4
        .value_kind:     by_value
      - .offset:         24
        .size:           4
        .value_kind:     by_value
      - .offset:         28
        .size:           4
        .value_kind:     by_value
      - .offset:         32
        .size:           12
        .value_kind:     by_value
      - .offset:         44
        .size:           12
        .value_kind:     by_value
      - .offset:         56
        .size:           12
        .value_kind:     by_value
      - .offset:         68
        .size:           12
        .value_kind:     by_value
      - .offset:         80
        .size:           4
        .value_kind:     hidden_block_count_x
      - .offset:         84
        .size:           4
        .value_kind:     hidden_block_count_y
      - .offset:         88
        .size:           4
        .value_kind:     hidden_block_count_z
      - .offset:         92
        .size:           2
        .value_kind:     hidden_group_size_x
      - .offset:         94
        .size:           2
        .value_kind:     hidden_group_size_y
      - .offset:         96
        .size:           2
        .value_kind:     hidden_group_size_z
      - .offset:         98
        .size:           2
        .value_kind:     hidden_remainder_x
      - .offset:         100
        .size:           2
        .value_kind:     hidden_remainder_y
      - .offset:         102
        .size:           2
        .value_kind:     hidden_remainder_z
      - .offset:         120
        .size:           8
        .value_kind:     hidden_global_offset_x
      - .offset:         128
        .size:           8
        .value_kind:     hidden_global_offset_y
      - .offset:         136
        .size:           8
        .value_kind:     hidden_global_offset_z
      - .offset:         144
        .size:           2
        .value_kind:     hidden_grid_dims
    .group_segment_fixed_size: 0
    .kernarg_segment_align: 8
    .kernarg_segment_size: 336
    .language:       OpenCL C
    .language_version:
      - 2
      - 0
    .max_flat_workgroup_size: 256
    .name:           _ZL33flash_attn_stream_k_fixup_generalILi256ELi1ELi1EEvPfPK15HIP_vector_typeIfLj2EEiiiiS1_IjLj3EES5_S5_S5_
    .private_segment_fixed_size: 0
    .sgpr_count:     34
    .sgpr_spill_count: 0
    .symbol:         _ZL33flash_attn_stream_k_fixup_generalILi256ELi1ELi1EEvPfPK15HIP_vector_typeIfLj2EEiiiiS1_IjLj3EES5_S5_S5_.kd
    .uniform_work_group_size: 1
    .uses_dynamic_stack: false
    .vgpr_count:     19
    .vgpr_spill_count: 0
    .wavefront_size: 32
    .workgroup_processor_mode: 1
  - .args:
      - .address_space:  global
        .offset:         0
        .size:           8
        .value_kind:     global_buffer
      - .address_space:  global
        .offset:         8
        .size:           8
        .value_kind:     global_buffer
      - .address_space:  global
        .offset:         16
        .size:           8
        .value_kind:     global_buffer
      - .offset:         24
        .size:           4
        .value_kind:     by_value
      - .offset:         32
        .size:           4
        .value_kind:     hidden_block_count_x
      - .offset:         36
        .size:           4
        .value_kind:     hidden_block_count_y
      - .offset:         40
        .size:           4
        .value_kind:     hidden_block_count_z
      - .offset:         44
        .size:           2
        .value_kind:     hidden_group_size_x
      - .offset:         46
        .size:           2
        .value_kind:     hidden_group_size_y
      - .offset:         48
        .size:           2
        .value_kind:     hidden_group_size_z
      - .offset:         50
        .size:           2
        .value_kind:     hidden_remainder_x
      - .offset:         52
        .size:           2
        .value_kind:     hidden_remainder_y
      - .offset:         54
        .size:           2
        .value_kind:     hidden_remainder_z
      - .offset:         72
        .size:           8
        .value_kind:     hidden_global_offset_x
      - .offset:         80
        .size:           8
        .value_kind:     hidden_global_offset_y
      - .offset:         88
        .size:           8
        .value_kind:     hidden_global_offset_z
      - .offset:         96
        .size:           2
        .value_kind:     hidden_grid_dims
      - .offset:         152
        .size:           4
        .value_kind:     hidden_dynamic_lds_size
    .group_segment_fixed_size: 0
    .kernarg_segment_align: 8
    .kernarg_segment_size: 288
    .language:       OpenCL C
    .language_version:
      - 2
      - 0
    .max_flat_workgroup_size: 256
    .name:           _ZL26flash_attn_combine_resultsILi256EEvPKfPK15HIP_vector_typeIfLj2EEPfi
    .private_segment_fixed_size: 0
    .sgpr_count:     18
    .sgpr_spill_count: 0
    .symbol:         _ZL26flash_attn_combine_resultsILi256EEvPKfPK15HIP_vector_typeIfLj2EEPfi.kd
    .uniform_work_group_size: 1
    .uses_dynamic_stack: false
    .vgpr_count:     55
    .vgpr_spill_count: 0
    .wavefront_size: 32
    .workgroup_processor_mode: 1
  - .args:
      - .address_space:  global
        .offset:         0
        .size:           8
        .value_kind:     global_buffer
      - .address_space:  global
        .offset:         8
        .size:           8
        .value_kind:     global_buffer
      - .address_space:  global
        .offset:         16
        .size:           8
        .value_kind:     global_buffer
      - .address_space:  global
        .offset:         24
        .size:           8
        .value_kind:     global_buffer
      - .address_space:  global
        .offset:         32
        .size:           8
        .value_kind:     global_buffer
      - .address_space:  global
        .offset:         40
        .size:           8
        .value_kind:     global_buffer
      - .address_space:  global
        .offset:         48
        .size:           8
        .value_kind:     global_buffer
      - .address_space:  global
        .offset:         56
        .size:           8
        .value_kind:     global_buffer
      - .offset:         64
        .size:           4
        .value_kind:     by_value
      - .offset:         68
        .size:           4
        .value_kind:     by_value
      - .offset:         72
        .size:           4
        .value_kind:     by_value
      - .offset:         76
        .size:           4
        .value_kind:     by_value
      - .offset:         80
        .size:           4
        .value_kind:     by_value
      - .offset:         84
        .size:           4
        .value_kind:     by_value
      - .offset:         88
        .size:           4
        .value_kind:     by_value
      - .offset:         92
        .size:           12
        .value_kind:     by_value
      - .offset:         104
        .size:           4
        .value_kind:     by_value
      - .offset:         108
        .size:           4
        .value_kind:     by_value
      - .offset:         112
        .size:           4
        .value_kind:     by_value
      - .offset:         116
        .size:           4
        .value_kind:     by_value
      - .offset:         120
        .size:           4
        .value_kind:     by_value
      - .offset:         124
        .size:           4
        .value_kind:     by_value
      - .offset:         128
        .size:           4
        .value_kind:     by_value
      - .offset:         132
        .size:           4
        .value_kind:     by_value
      - .offset:         136
        .size:           4
        .value_kind:     by_value
      - .offset:         140
        .size:           4
        .value_kind:     by_value
      - .offset:         144
        .size:           4
        .value_kind:     by_value
      - .offset:         152
        .size:           8
        .value_kind:     by_value
      - .offset:         160
        .size:           4
        .value_kind:     by_value
      - .offset:         164
        .size:           4
        .value_kind:     by_value
      - .offset:         168
        .size:           8
        .value_kind:     by_value
      - .offset:         176
        .size:           4
        .value_kind:     by_value
      - .offset:         180
        .size:           4
        .value_kind:     by_value
      - .offset:         184
        .size:           4
        .value_kind:     by_value
      - .offset:         188
        .size:           4
        .value_kind:     by_value
      - .offset:         192
        .size:           4
        .value_kind:     by_value
      - .offset:         200
        .size:           8
        .value_kind:     by_value
      - .offset:         208
        .size:           4
        .value_kind:     hidden_block_count_x
      - .offset:         212
        .size:           4
        .value_kind:     hidden_block_count_y
      - .offset:         216
        .size:           4
        .value_kind:     hidden_block_count_z
      - .offset:         220
        .size:           2
        .value_kind:     hidden_group_size_x
      - .offset:         222
        .size:           2
        .value_kind:     hidden_group_size_y
      - .offset:         224
        .size:           2
        .value_kind:     hidden_group_size_z
      - .offset:         226
        .size:           2
        .value_kind:     hidden_remainder_x
      - .offset:         228
        .size:           2
        .value_kind:     hidden_remainder_y
      - .offset:         230
        .size:           2
        .value_kind:     hidden_remainder_z
      - .offset:         248
        .size:           8
        .value_kind:     hidden_global_offset_x
      - .offset:         256
        .size:           8
        .value_kind:     hidden_global_offset_y
      - .offset:         264
        .size:           8
        .value_kind:     hidden_global_offset_z
      - .offset:         272
        .size:           2
        .value_kind:     hidden_grid_dims
    .group_segment_fixed_size: 2304
    .kernarg_segment_align: 8
    .kernarg_segment_size: 464
    .language:       OpenCL C
    .language_version:
      - 2
      - 0
    .max_flat_workgroup_size: 128
    .name:           _ZL18flash_attn_ext_vecILi256ELi1EL9ggml_type3ELS0_3ELb1EEvPKcS2_S2_S2_S2_PKiPfP15HIP_vector_typeIfLj2EEffffjfiS6_IjLj3EEiiiiiiiiiiiliiliiiiil
    .private_segment_fixed_size: 700
    .sgpr_count:     102
    .sgpr_spill_count: 0
    .symbol:         _ZL18flash_attn_ext_vecILi256ELi1EL9ggml_type3ELS0_3ELb1EEvPKcS2_S2_S2_S2_PKiPfP15HIP_vector_typeIfLj2EEffffjfiS6_IjLj3EEiiiiiiiiiiiliiliiiiil.kd
    .uniform_work_group_size: 1
    .uses_dynamic_stack: false
    .vgpr_count:     256
    .vgpr_spill_count: 268
    .wavefront_size: 32
    .workgroup_processor_mode: 1
  - .args:
      - .address_space:  global
        .offset:         0
        .size:           8
        .value_kind:     global_buffer
      - .address_space:  global
        .offset:         8
        .size:           8
        .value_kind:     global_buffer
      - .address_space:  global
        .offset:         16
        .size:           8
        .value_kind:     global_buffer
      - .address_space:  global
        .offset:         24
        .size:           8
        .value_kind:     global_buffer
      - .address_space:  global
        .offset:         32
        .size:           8
        .value_kind:     global_buffer
      - .address_space:  global
        .offset:         40
        .size:           8
        .value_kind:     global_buffer
      - .address_space:  global
        .offset:         48
        .size:           8
        .value_kind:     global_buffer
      - .address_space:  global
        .offset:         56
        .size:           8
        .value_kind:     global_buffer
      - .offset:         64
        .size:           4
        .value_kind:     by_value
      - .offset:         68
        .size:           4
        .value_kind:     by_value
      - .offset:         72
        .size:           4
        .value_kind:     by_value
      - .offset:         76
        .size:           4
        .value_kind:     by_value
      - .offset:         80
        .size:           4
        .value_kind:     by_value
      - .offset:         84
        .size:           4
        .value_kind:     by_value
      - .offset:         88
        .size:           4
        .value_kind:     by_value
      - .offset:         92
        .size:           12
        .value_kind:     by_value
      - .offset:         104
        .size:           4
        .value_kind:     by_value
      - .offset:         108
        .size:           4
        .value_kind:     by_value
      - .offset:         112
        .size:           4
        .value_kind:     by_value
      - .offset:         116
        .size:           4
        .value_kind:     by_value
      - .offset:         120
        .size:           4
        .value_kind:     by_value
      - .offset:         124
        .size:           4
        .value_kind:     by_value
      - .offset:         128
        .size:           4
        .value_kind:     by_value
      - .offset:         132
        .size:           4
        .value_kind:     by_value
      - .offset:         136
        .size:           4
        .value_kind:     by_value
      - .offset:         140
        .size:           4
        .value_kind:     by_value
      - .offset:         144
        .size:           4
        .value_kind:     by_value
      - .offset:         152
        .size:           8
        .value_kind:     by_value
      - .offset:         160
        .size:           4
        .value_kind:     by_value
      - .offset:         164
        .size:           4
        .value_kind:     by_value
      - .offset:         168
        .size:           8
        .value_kind:     by_value
      - .offset:         176
        .size:           4
        .value_kind:     by_value
      - .offset:         180
        .size:           4
        .value_kind:     by_value
      - .offset:         184
        .size:           4
        .value_kind:     by_value
      - .offset:         188
        .size:           4
        .value_kind:     by_value
      - .offset:         192
        .size:           4
        .value_kind:     by_value
      - .offset:         200
        .size:           8
        .value_kind:     by_value
      - .offset:         208
        .size:           4
        .value_kind:     hidden_block_count_x
      - .offset:         212
        .size:           4
        .value_kind:     hidden_block_count_y
      - .offset:         216
        .size:           4
        .value_kind:     hidden_block_count_z
      - .offset:         220
        .size:           2
        .value_kind:     hidden_group_size_x
      - .offset:         222
        .size:           2
        .value_kind:     hidden_group_size_y
      - .offset:         224
        .size:           2
        .value_kind:     hidden_group_size_z
      - .offset:         226
        .size:           2
        .value_kind:     hidden_remainder_x
      - .offset:         228
        .size:           2
        .value_kind:     hidden_remainder_y
      - .offset:         230
        .size:           2
        .value_kind:     hidden_remainder_z
      - .offset:         248
        .size:           8
        .value_kind:     hidden_global_offset_x
      - .offset:         256
        .size:           8
        .value_kind:     hidden_global_offset_y
      - .offset:         264
        .size:           8
        .value_kind:     hidden_global_offset_z
      - .offset:         272
        .size:           2
        .value_kind:     hidden_grid_dims
    .group_segment_fixed_size: 6656
    .kernarg_segment_align: 8
    .kernarg_segment_size: 464
    .language:       OpenCL C
    .language_version:
      - 2
      - 0
    .max_flat_workgroup_size: 128
    .name:           _ZL18flash_attn_ext_vecILi256ELi2EL9ggml_type3ELS0_3ELb0EEvPKcS2_S2_S2_S2_PKiPfP15HIP_vector_typeIfLj2EEffffjfiS6_IjLj3EEiiiiiiiiiiiliiliiiiil
    .private_segment_fixed_size: 1036
    .sgpr_count:     96
    .sgpr_spill_count: 0
    .symbol:         _ZL18flash_attn_ext_vecILi256ELi2EL9ggml_type3ELS0_3ELb0EEvPKcS2_S2_S2_S2_PKiPfP15HIP_vector_typeIfLj2EEffffjfiS6_IjLj3EEiiiiiiiiiiiliiliiiiil.kd
    .uniform_work_group_size: 1
    .uses_dynamic_stack: false
    .vgpr_count:     256
    .vgpr_spill_count: 403
    .wavefront_size: 32
    .workgroup_processor_mode: 1
  - .args:
      - .address_space:  global
        .offset:         0
        .size:           8
        .value_kind:     global_buffer
      - .address_space:  global
        .offset:         8
        .size:           8
        .value_kind:     global_buffer
      - .offset:         16
        .size:           4
        .value_kind:     by_value
      - .offset:         20
        .size:           4
        .value_kind:     by_value
      - .offset:         24
        .size:           4
        .value_kind:     by_value
      - .offset:         28
        .size:           4
        .value_kind:     by_value
      - .offset:         32
        .size:           4
        .value_kind:     by_value
      - .offset:         36
        .size:           4
        .value_kind:     by_value
      - .offset:         40
        .size:           12
        .value_kind:     by_value
      - .offset:         52
        .size:           12
        .value_kind:     by_value
      - .offset:         64
        .size:           12
        .value_kind:     by_value
    .group_segment_fixed_size: 0
    .kernarg_segment_align: 8
    .kernarg_segment_size: 76
    .language:       OpenCL C
    .language_version:
      - 2
      - 0
    .max_flat_workgroup_size: 256
    .name:           _ZL33flash_attn_stream_k_fixup_uniformILi256ELi2ELi1EEvPfPK15HIP_vector_typeIfLj2EEiiiiiiS1_IjLj3EES5_S5_
    .private_segment_fixed_size: 0
    .sgpr_count:     22
    .sgpr_spill_count: 0
    .symbol:         _ZL33flash_attn_stream_k_fixup_uniformILi256ELi2ELi1EEvPfPK15HIP_vector_typeIfLj2EEiiiiiiS1_IjLj3EES5_S5_.kd
    .uniform_work_group_size: 1
    .uses_dynamic_stack: false
    .vgpr_count:     15
    .vgpr_spill_count: 0
    .wavefront_size: 32
    .workgroup_processor_mode: 1
  - .args:
      - .address_space:  global
        .offset:         0
        .size:           8
        .value_kind:     global_buffer
      - .address_space:  global
        .offset:         8
        .size:           8
        .value_kind:     global_buffer
      - .offset:         16
        .size:           4
        .value_kind:     by_value
      - .offset:         20
        .size:           4
        .value_kind:     by_value
      - .offset:         24
        .size:           4
        .value_kind:     by_value
      - .offset:         28
        .size:           4
        .value_kind:     by_value
      - .offset:         32
        .size:           12
        .value_kind:     by_value
      - .offset:         44
        .size:           12
        .value_kind:     by_value
      - .offset:         56
        .size:           12
        .value_kind:     by_value
      - .offset:         68
        .size:           12
        .value_kind:     by_value
      - .offset:         80
        .size:           4
        .value_kind:     hidden_block_count_x
      - .offset:         84
        .size:           4
        .value_kind:     hidden_block_count_y
      - .offset:         88
        .size:           4
        .value_kind:     hidden_block_count_z
      - .offset:         92
        .size:           2
        .value_kind:     hidden_group_size_x
      - .offset:         94
        .size:           2
        .value_kind:     hidden_group_size_y
      - .offset:         96
        .size:           2
        .value_kind:     hidden_group_size_z
      - .offset:         98
        .size:           2
        .value_kind:     hidden_remainder_x
      - .offset:         100
        .size:           2
        .value_kind:     hidden_remainder_y
      - .offset:         102
        .size:           2
        .value_kind:     hidden_remainder_z
      - .offset:         120
        .size:           8
        .value_kind:     hidden_global_offset_x
      - .offset:         128
        .size:           8
        .value_kind:     hidden_global_offset_y
      - .offset:         136
        .size:           8
        .value_kind:     hidden_global_offset_z
      - .offset:         144
        .size:           2
        .value_kind:     hidden_grid_dims
    .group_segment_fixed_size: 0
    .kernarg_segment_align: 8
    .kernarg_segment_size: 336
    .language:       OpenCL C
    .language_version:
      - 2
      - 0
    .max_flat_workgroup_size: 256
    .name:           _ZL33flash_attn_stream_k_fixup_generalILi256ELi2ELi1EEvPfPK15HIP_vector_typeIfLj2EEiiiiS1_IjLj3EES5_S5_S5_
    .private_segment_fixed_size: 0
    .sgpr_count:     34
    .sgpr_spill_count: 0
    .symbol:         _ZL33flash_attn_stream_k_fixup_generalILi256ELi2ELi1EEvPfPK15HIP_vector_typeIfLj2EEiiiiS1_IjLj3EES5_S5_S5_.kd
    .uniform_work_group_size: 1
    .uses_dynamic_stack: false
    .vgpr_count:     19
    .vgpr_spill_count: 0
    .wavefront_size: 32
    .workgroup_processor_mode: 1
  - .args:
      - .address_space:  global
        .offset:         0
        .size:           8
        .value_kind:     global_buffer
      - .address_space:  global
        .offset:         8
        .size:           8
        .value_kind:     global_buffer
      - .address_space:  global
        .offset:         16
        .size:           8
        .value_kind:     global_buffer
      - .address_space:  global
        .offset:         24
        .size:           8
        .value_kind:     global_buffer
      - .address_space:  global
        .offset:         32
        .size:           8
        .value_kind:     global_buffer
      - .address_space:  global
        .offset:         40
        .size:           8
        .value_kind:     global_buffer
      - .address_space:  global
        .offset:         48
        .size:           8
        .value_kind:     global_buffer
      - .address_space:  global
        .offset:         56
        .size:           8
        .value_kind:     global_buffer
      - .offset:         64
        .size:           4
        .value_kind:     by_value
      - .offset:         68
        .size:           4
        .value_kind:     by_value
      - .offset:         72
        .size:           4
        .value_kind:     by_value
      - .offset:         76
        .size:           4
        .value_kind:     by_value
      - .offset:         80
        .size:           4
        .value_kind:     by_value
      - .offset:         84
        .size:           4
        .value_kind:     by_value
      - .offset:         88
        .size:           4
        .value_kind:     by_value
      - .offset:         92
        .size:           12
        .value_kind:     by_value
      - .offset:         104
        .size:           4
        .value_kind:     by_value
      - .offset:         108
        .size:           4
        .value_kind:     by_value
      - .offset:         112
        .size:           4
        .value_kind:     by_value
      - .offset:         116
        .size:           4
        .value_kind:     by_value
      - .offset:         120
        .size:           4
        .value_kind:     by_value
      - .offset:         124
        .size:           4
        .value_kind:     by_value
      - .offset:         128
        .size:           4
        .value_kind:     by_value
      - .offset:         132
        .size:           4
        .value_kind:     by_value
      - .offset:         136
        .size:           4
        .value_kind:     by_value
      - .offset:         140
        .size:           4
        .value_kind:     by_value
      - .offset:         144
        .size:           4
        .value_kind:     by_value
      - .offset:         152
        .size:           8
        .value_kind:     by_value
      - .offset:         160
        .size:           4
        .value_kind:     by_value
      - .offset:         164
        .size:           4
        .value_kind:     by_value
      - .offset:         168
        .size:           8
        .value_kind:     by_value
      - .offset:         176
        .size:           4
        .value_kind:     by_value
      - .offset:         180
        .size:           4
        .value_kind:     by_value
      - .offset:         184
        .size:           4
        .value_kind:     by_value
      - .offset:         188
        .size:           4
        .value_kind:     by_value
      - .offset:         192
        .size:           4
        .value_kind:     by_value
      - .offset:         200
        .size:           8
        .value_kind:     by_value
      - .offset:         208
        .size:           4
        .value_kind:     hidden_block_count_x
      - .offset:         212
        .size:           4
        .value_kind:     hidden_block_count_y
      - .offset:         216
        .size:           4
        .value_kind:     hidden_block_count_z
      - .offset:         220
        .size:           2
        .value_kind:     hidden_group_size_x
      - .offset:         222
        .size:           2
        .value_kind:     hidden_group_size_y
      - .offset:         224
        .size:           2
        .value_kind:     hidden_group_size_z
      - .offset:         226
        .size:           2
        .value_kind:     hidden_remainder_x
      - .offset:         228
        .size:           2
        .value_kind:     hidden_remainder_y
      - .offset:         230
        .size:           2
        .value_kind:     hidden_remainder_z
      - .offset:         248
        .size:           8
        .value_kind:     hidden_global_offset_x
      - .offset:         256
        .size:           8
        .value_kind:     hidden_global_offset_y
      - .offset:         264
        .size:           8
        .value_kind:     hidden_global_offset_z
      - .offset:         272
        .size:           2
        .value_kind:     hidden_grid_dims
    .group_segment_fixed_size: 6656
    .kernarg_segment_align: 8
    .kernarg_segment_size: 464
    .language:       OpenCL C
    .language_version:
      - 2
      - 0
    .max_flat_workgroup_size: 128
    .name:           _ZL18flash_attn_ext_vecILi256ELi2EL9ggml_type3ELS0_3ELb1EEvPKcS2_S2_S2_S2_PKiPfP15HIP_vector_typeIfLj2EEffffjfiS6_IjLj3EEiiiiiiiiiiiliiliiiiil
    .private_segment_fixed_size: 1452
    .sgpr_count:     97
    .sgpr_spill_count: 0
    .symbol:         _ZL18flash_attn_ext_vecILi256ELi2EL9ggml_type3ELS0_3ELb1EEvPKcS2_S2_S2_S2_PKiPfP15HIP_vector_typeIfLj2EEffffjfiS6_IjLj3EEiiiiiiiiiiiliiliiiiil.kd
    .uniform_work_group_size: 1
    .uses_dynamic_stack: false
    .vgpr_count:     256
    .vgpr_spill_count: 611
    .wavefront_size: 32
    .workgroup_processor_mode: 1
amdhsa.target:   amdgcn-amd-amdhsa--gfx1100
amdhsa.version:
  - 1
  - 2
...

	.end_amdgpu_metadata
